;; amdgpu-corpus repo=ROCm/hipCUB kind=compiled arch=gfx1030 opt=O3
	.amdgcn_target "amdgcn-amd-amdhsa--gfx1030"
	.amdhsa_code_object_version 6
	.section	.text._Z9sort_keysILj256ELj4ELj1EiN10test_utils4lessEEvPKT2_PS2_T3_,"axG",@progbits,_Z9sort_keysILj256ELj4ELj1EiN10test_utils4lessEEvPKT2_PS2_T3_,comdat
	.protected	_Z9sort_keysILj256ELj4ELj1EiN10test_utils4lessEEvPKT2_PS2_T3_ ; -- Begin function _Z9sort_keysILj256ELj4ELj1EiN10test_utils4lessEEvPKT2_PS2_T3_
	.globl	_Z9sort_keysILj256ELj4ELj1EiN10test_utils4lessEEvPKT2_PS2_T3_
	.p2align	8
	.type	_Z9sort_keysILj256ELj4ELj1EiN10test_utils4lessEEvPKT2_PS2_T3_,@function
_Z9sort_keysILj256ELj4ELj1EiN10test_utils4lessEEvPKT2_PS2_T3_: ; @_Z9sort_keysILj256ELj4ELj1EiN10test_utils4lessEEvPKT2_PS2_T3_
; %bb.0:
	s_load_dwordx4 s[0:3], s[4:5], 0x0
	s_mov_b32 s7, 0
	s_lshl_b32 s6, s6, 8
	v_lshlrev_b32_e32 v1, 2, v0
	s_lshl_b64 s[4:5], s[6:7], 2
	v_mbcnt_lo_u32_b32 v3, -1, 0
	v_lshrrev_b32_e32 v0, 2, v0
	v_mov_b32_e32 v7, 0
	v_and_b32_e32 v6, 2, v3
	v_and_b32_e32 v2, 3, v3
	v_and_b32_e32 v5, 1, v3
	v_or_b32_e32 v4, 1, v6
	v_lshlrev_b32_e32 v9, 2, v2
	v_sub_nc_u32_e32 v3, v4, v6
	s_waitcnt lgkmcnt(0)
	s_add_u32 s0, s0, s4
	s_addc_u32 s1, s1, s5
	global_load_dword v8, v1, s[0:1]
	v_min_i32_e32 v10, v5, v3
	v_mad_u32_u24 v3, v0, 20, v9
	v_mul_u32_u24_e32 v0, 20, v0
	s_mov_b32 s0, exec_lo
	; wave barrier
	s_waitcnt vmcnt(0)
	ds_write_b32 v3, v8
	; wave barrier
	v_cmpx_lt_i32_e32 0, v10
	s_cbranch_execz .LBB0_4
; %bb.1:
	v_lshl_add_u32 v8, v6, 2, v0
	v_mov_b32_e32 v9, 1
	v_mov_b32_e32 v7, 0
	v_lshl_add_u32 v10, v5, 2, v8
	.p2align	6
.LBB0_2:                                ; =>This Inner Loop Header: Depth=1
	v_sub_nc_u32_e32 v11, v9, v7
	v_lshrrev_b32_e32 v11, 1, v11
	v_add_nc_u32_e32 v11, v11, v7
	v_not_b32_e32 v12, v11
	v_lshl_add_u32 v13, v11, 2, v8
	v_add_nc_u32_e32 v14, 1, v11
	v_lshl_add_u32 v12, v12, 2, v10
	ds_read_b32 v13, v13
	ds_read_b32 v12, v12 offset:4
	s_waitcnt lgkmcnt(0)
	v_cmp_lt_i32_e32 vcc_lo, v12, v13
	v_cndmask_b32_e32 v9, v9, v11, vcc_lo
	v_cndmask_b32_e32 v7, v14, v7, vcc_lo
	v_cmp_ge_i32_e32 vcc_lo, v7, v9
	s_or_b32 s7, vcc_lo, s7
	s_andn2_b32 exec_lo, exec_lo, s7
	s_cbranch_execnz .LBB0_2
; %bb.3:
	s_or_b32 exec_lo, exec_lo, s7
.LBB0_4:
	s_or_b32 exec_lo, exec_lo, s0
	v_add_nc_u32_e32 v8, v6, v5
	v_lshlrev_b32_e32 v9, 2, v7
	v_lshlrev_b32_e32 v6, 2, v6
	v_add_nc_u32_e32 v5, v4, v5
	v_cmp_lt_i32_e32 vcc_lo, 0, v7
	v_sub_nc_u32_e32 v8, v8, v7
	v_add3_u32 v6, v0, v9, v6
	v_sub_nc_u32_e32 v5, v5, v7
	v_lshl_add_u32 v8, v8, 2, v0
	ds_read_b32 v6, v6
	ds_read_b32 v8, v8 offset:4
	v_cmp_ge_i32_e64 s1, v4, v5
	v_sub_nc_u32_e64 v4, v2, 2 clamp
	v_min_u32_e32 v5, 2, v2
	; wave barrier
	s_waitcnt lgkmcnt(0)
	v_cmp_lt_i32_e64 s0, v8, v6
	s_or_b32 s0, vcc_lo, s0
	s_and_b32 vcc_lo, s1, s0
	s_mov_b32 s0, 0
	v_cndmask_b32_e32 v6, v6, v8, vcc_lo
	s_mov_b32 s1, exec_lo
	ds_write_b32 v3, v6
	; wave barrier
	v_cmpx_lt_u32_e64 v4, v5
	s_cbranch_execz .LBB0_7
	.p2align	6
.LBB0_5:                                ; =>This Inner Loop Header: Depth=1
	v_sub_nc_u32_e32 v6, v5, v4
	v_lshrrev_b32_e32 v6, 1, v6
	v_add_nc_u32_e32 v6, v6, v4
	v_not_b32_e32 v7, v6
	v_lshl_add_u32 v8, v6, 2, v0
	v_add_nc_u32_e32 v9, 1, v6
	v_lshl_add_u32 v7, v7, 2, v3
	ds_read_b32 v8, v8
	ds_read_b32 v7, v7 offset:8
	s_waitcnt lgkmcnt(0)
	v_cmp_lt_i32_e32 vcc_lo, v7, v8
	v_cndmask_b32_e32 v5, v5, v6, vcc_lo
	v_cndmask_b32_e32 v4, v9, v4, vcc_lo
	v_cmp_ge_i32_e32 vcc_lo, v4, v5
	s_or_b32 s0, vcc_lo, s0
	s_andn2_b32 exec_lo, exec_lo, s0
	s_cbranch_execnz .LBB0_5
; %bb.6:
	s_or_b32 exec_lo, exec_lo, s0
.LBB0_7:
	s_or_b32 exec_lo, exec_lo, s1
	v_sub_nc_u32_e32 v2, v2, v4
	v_lshl_add_u32 v3, v4, 2, v0
	v_cmp_lt_i32_e32 vcc_lo, 1, v4
	v_lshl_add_u32 v0, v2, 2, v0
	v_add_nc_u32_e32 v2, 2, v2
	ds_read_b32 v3, v3
	ds_read_b32 v0, v0 offset:8
	v_cmp_gt_i32_e64 s1, 4, v2
	s_waitcnt lgkmcnt(0)
	v_cmp_lt_i32_e64 s0, v0, v3
	s_or_b32 s0, vcc_lo, s0
	s_and_b32 vcc_lo, s1, s0
	s_add_u32 s0, s2, s4
	v_cndmask_b32_e32 v0, v3, v0, vcc_lo
	s_addc_u32 s1, s3, s5
	global_store_dword v1, v0, s[0:1]
	s_endpgm
	.section	.rodata,"a",@progbits
	.p2align	6, 0x0
	.amdhsa_kernel _Z9sort_keysILj256ELj4ELj1EiN10test_utils4lessEEvPKT2_PS2_T3_
		.amdhsa_group_segment_fixed_size 1280
		.amdhsa_private_segment_fixed_size 0
		.amdhsa_kernarg_size 20
		.amdhsa_user_sgpr_count 6
		.amdhsa_user_sgpr_private_segment_buffer 1
		.amdhsa_user_sgpr_dispatch_ptr 0
		.amdhsa_user_sgpr_queue_ptr 0
		.amdhsa_user_sgpr_kernarg_segment_ptr 1
		.amdhsa_user_sgpr_dispatch_id 0
		.amdhsa_user_sgpr_flat_scratch_init 0
		.amdhsa_user_sgpr_private_segment_size 0
		.amdhsa_wavefront_size32 1
		.amdhsa_uses_dynamic_stack 0
		.amdhsa_system_sgpr_private_segment_wavefront_offset 0
		.amdhsa_system_sgpr_workgroup_id_x 1
		.amdhsa_system_sgpr_workgroup_id_y 0
		.amdhsa_system_sgpr_workgroup_id_z 0
		.amdhsa_system_sgpr_workgroup_info 0
		.amdhsa_system_vgpr_workitem_id 0
		.amdhsa_next_free_vgpr 15
		.amdhsa_next_free_sgpr 8
		.amdhsa_reserve_vcc 1
		.amdhsa_reserve_flat_scratch 0
		.amdhsa_float_round_mode_32 0
		.amdhsa_float_round_mode_16_64 0
		.amdhsa_float_denorm_mode_32 3
		.amdhsa_float_denorm_mode_16_64 3
		.amdhsa_dx10_clamp 1
		.amdhsa_ieee_mode 1
		.amdhsa_fp16_overflow 0
		.amdhsa_workgroup_processor_mode 1
		.amdhsa_memory_ordered 1
		.amdhsa_forward_progress 1
		.amdhsa_shared_vgpr_count 0
		.amdhsa_exception_fp_ieee_invalid_op 0
		.amdhsa_exception_fp_denorm_src 0
		.amdhsa_exception_fp_ieee_div_zero 0
		.amdhsa_exception_fp_ieee_overflow 0
		.amdhsa_exception_fp_ieee_underflow 0
		.amdhsa_exception_fp_ieee_inexact 0
		.amdhsa_exception_int_div_zero 0
	.end_amdhsa_kernel
	.section	.text._Z9sort_keysILj256ELj4ELj1EiN10test_utils4lessEEvPKT2_PS2_T3_,"axG",@progbits,_Z9sort_keysILj256ELj4ELj1EiN10test_utils4lessEEvPKT2_PS2_T3_,comdat
.Lfunc_end0:
	.size	_Z9sort_keysILj256ELj4ELj1EiN10test_utils4lessEEvPKT2_PS2_T3_, .Lfunc_end0-_Z9sort_keysILj256ELj4ELj1EiN10test_utils4lessEEvPKT2_PS2_T3_
                                        ; -- End function
	.set _Z9sort_keysILj256ELj4ELj1EiN10test_utils4lessEEvPKT2_PS2_T3_.num_vgpr, 15
	.set _Z9sort_keysILj256ELj4ELj1EiN10test_utils4lessEEvPKT2_PS2_T3_.num_agpr, 0
	.set _Z9sort_keysILj256ELj4ELj1EiN10test_utils4lessEEvPKT2_PS2_T3_.numbered_sgpr, 8
	.set _Z9sort_keysILj256ELj4ELj1EiN10test_utils4lessEEvPKT2_PS2_T3_.num_named_barrier, 0
	.set _Z9sort_keysILj256ELj4ELj1EiN10test_utils4lessEEvPKT2_PS2_T3_.private_seg_size, 0
	.set _Z9sort_keysILj256ELj4ELj1EiN10test_utils4lessEEvPKT2_PS2_T3_.uses_vcc, 1
	.set _Z9sort_keysILj256ELj4ELj1EiN10test_utils4lessEEvPKT2_PS2_T3_.uses_flat_scratch, 0
	.set _Z9sort_keysILj256ELj4ELj1EiN10test_utils4lessEEvPKT2_PS2_T3_.has_dyn_sized_stack, 0
	.set _Z9sort_keysILj256ELj4ELj1EiN10test_utils4lessEEvPKT2_PS2_T3_.has_recursion, 0
	.set _Z9sort_keysILj256ELj4ELj1EiN10test_utils4lessEEvPKT2_PS2_T3_.has_indirect_call, 0
	.section	.AMDGPU.csdata,"",@progbits
; Kernel info:
; codeLenInByte = 636
; TotalNumSgprs: 10
; NumVgprs: 15
; ScratchSize: 0
; MemoryBound: 0
; FloatMode: 240
; IeeeMode: 1
; LDSByteSize: 1280 bytes/workgroup (compile time only)
; SGPRBlocks: 0
; VGPRBlocks: 1
; NumSGPRsForWavesPerEU: 10
; NumVGPRsForWavesPerEU: 15
; Occupancy: 16
; WaveLimiterHint : 0
; COMPUTE_PGM_RSRC2:SCRATCH_EN: 0
; COMPUTE_PGM_RSRC2:USER_SGPR: 6
; COMPUTE_PGM_RSRC2:TRAP_HANDLER: 0
; COMPUTE_PGM_RSRC2:TGID_X_EN: 1
; COMPUTE_PGM_RSRC2:TGID_Y_EN: 0
; COMPUTE_PGM_RSRC2:TGID_Z_EN: 0
; COMPUTE_PGM_RSRC2:TIDIG_COMP_CNT: 0
	.section	.text._Z10sort_pairsILj256ELj4ELj1EiN10test_utils4lessEEvPKT2_PS2_T3_,"axG",@progbits,_Z10sort_pairsILj256ELj4ELj1EiN10test_utils4lessEEvPKT2_PS2_T3_,comdat
	.protected	_Z10sort_pairsILj256ELj4ELj1EiN10test_utils4lessEEvPKT2_PS2_T3_ ; -- Begin function _Z10sort_pairsILj256ELj4ELj1EiN10test_utils4lessEEvPKT2_PS2_T3_
	.globl	_Z10sort_pairsILj256ELj4ELj1EiN10test_utils4lessEEvPKT2_PS2_T3_
	.p2align	8
	.type	_Z10sort_pairsILj256ELj4ELj1EiN10test_utils4lessEEvPKT2_PS2_T3_,@function
_Z10sort_pairsILj256ELj4ELj1EiN10test_utils4lessEEvPKT2_PS2_T3_: ; @_Z10sort_pairsILj256ELj4ELj1EiN10test_utils4lessEEvPKT2_PS2_T3_
; %bb.0:
	s_load_dwordx4 s[0:3], s[4:5], 0x0
	s_mov_b32 s7, 0
	s_lshl_b32 s6, s6, 8
	v_lshlrev_b32_e32 v1, 2, v0
	s_lshl_b64 s[4:5], s[6:7], 2
	v_mbcnt_lo_u32_b32 v3, -1, 0
	v_and_b32_e32 v5, 2, v3
	v_and_b32_e32 v2, 3, v3
	;; [unrolled: 1-line block ×3, first 2 shown]
	v_lshrrev_b32_e32 v3, 2, v0
	v_or_b32_e32 v6, 1, v5
	v_lshlrev_b32_e32 v0, 2, v2
	v_lshlrev_b32_e32 v9, 2, v5
	v_sub_nc_u32_e32 v8, v6, v5
	s_waitcnt lgkmcnt(0)
	s_add_u32 s0, s0, s4
	s_addc_u32 s1, s1, s5
	v_mad_u32_u24 v0, v3, 20, v0
	global_load_dword v4, v1, s[0:1]
	v_min_i32_e32 v10, v7, v8
	v_mov_b32_e32 v8, 0
	v_mad_u32_u24 v9, v3, 20, v9
	s_mov_b32 s0, exec_lo
	; wave barrier
	s_waitcnt vmcnt(0)
	ds_write_b32 v0, v4
	; wave barrier
	v_cmpx_lt_i32_e32 0, v10
	s_cbranch_execz .LBB1_4
; %bb.1:
	v_lshl_add_u32 v10, v7, 2, v9
	v_mov_b32_e32 v11, 1
	v_mov_b32_e32 v8, 0
	.p2align	6
.LBB1_2:                                ; =>This Inner Loop Header: Depth=1
	v_sub_nc_u32_e32 v12, v11, v8
	v_lshrrev_b32_e32 v12, 1, v12
	v_add_nc_u32_e32 v12, v12, v8
	v_not_b32_e32 v13, v12
	v_lshl_add_u32 v14, v12, 2, v9
	v_add_nc_u32_e32 v15, 1, v12
	v_lshl_add_u32 v13, v13, 2, v10
	ds_read_b32 v14, v14
	ds_read_b32 v13, v13 offset:4
	s_waitcnt lgkmcnt(0)
	v_cmp_lt_i32_e32 vcc_lo, v13, v14
	v_cndmask_b32_e32 v11, v11, v12, vcc_lo
	v_cndmask_b32_e32 v8, v15, v8, vcc_lo
	v_cmp_ge_i32_e32 vcc_lo, v8, v11
	s_or_b32 s7, vcc_lo, s7
	s_andn2_b32 exec_lo, exec_lo, s7
	s_cbranch_execnz .LBB1_2
; %bb.3:
	s_or_b32 exec_lo, exec_lo, s7
.LBB1_4:
	s_or_b32 exec_lo, exec_lo, s0
	v_add_nc_u32_e32 v10, v5, v7
	v_mul_u32_u24_e32 v3, 20, v3
	v_lshl_add_u32 v9, v8, 2, v9
	v_add_nc_u32_e32 v7, v6, v7
	v_cmp_lt_i32_e32 vcc_lo, 0, v8
	v_sub_nc_u32_e32 v10, v10, v8
	v_add_nc_u32_e32 v5, v8, v5
	v_add_nc_u32_e32 v4, 1, v4
	v_sub_nc_u32_e32 v7, v7, v8
	v_lshl_add_u32 v10, v10, 2, v3
	ds_read_b32 v9, v9
	ds_read_b32 v10, v10 offset:4
	v_cmp_ge_i32_e64 s1, v6, v7
	; wave barrier
	ds_write_b32 v0, v4
	; wave barrier
	v_min_u32_e32 v6, 2, v2
	s_waitcnt lgkmcnt(1)
	v_cmp_lt_i32_e64 s0, v10, v9
	s_or_b32 s0, vcc_lo, s0
	s_and_b32 vcc_lo, s1, s0
	s_mov_b32 s0, 0
	v_cndmask_b32_e32 v5, v5, v7, vcc_lo
	v_cndmask_b32_e32 v8, v9, v10, vcc_lo
	s_mov_b32 s1, exec_lo
	v_lshl_add_u32 v5, v5, 2, v3
	ds_read_b32 v4, v5
	v_sub_nc_u32_e64 v5, v2, 2 clamp
	; wave barrier
	ds_write_b32 v0, v8
	; wave barrier
	v_cmpx_lt_u32_e64 v5, v6
	s_cbranch_execz .LBB1_7
	.p2align	6
.LBB1_5:                                ; =>This Inner Loop Header: Depth=1
	v_sub_nc_u32_e32 v7, v6, v5
	v_lshrrev_b32_e32 v7, 1, v7
	v_add_nc_u32_e32 v7, v7, v5
	v_not_b32_e32 v8, v7
	v_lshl_add_u32 v9, v7, 2, v3
	v_add_nc_u32_e32 v10, 1, v7
	v_lshl_add_u32 v8, v8, 2, v0
	ds_read_b32 v9, v9
	ds_read_b32 v8, v8 offset:8
	s_waitcnt lgkmcnt(0)
	v_cmp_lt_i32_e32 vcc_lo, v8, v9
	v_cndmask_b32_e32 v6, v6, v7, vcc_lo
	v_cndmask_b32_e32 v5, v10, v5, vcc_lo
	v_cmp_ge_i32_e32 vcc_lo, v5, v6
	s_or_b32 s0, vcc_lo, s0
	s_andn2_b32 exec_lo, exec_lo, s0
	s_cbranch_execnz .LBB1_5
; %bb.6:
	s_or_b32 exec_lo, exec_lo, s0
.LBB1_7:
	s_or_b32 exec_lo, exec_lo, s1
	v_sub_nc_u32_e32 v2, v2, v5
	v_lshl_add_u32 v6, v5, 2, v3
	v_cmp_lt_i32_e32 vcc_lo, 1, v5
	v_lshl_add_u32 v7, v2, 2, v3
	v_add_nc_u32_e32 v2, 2, v2
	ds_read_b32 v6, v6
	ds_read_b32 v7, v7 offset:8
	v_cmp_gt_i32_e64 s1, 4, v2
	; wave barrier
	s_waitcnt lgkmcnt(3)
	ds_write_b32 v0, v4
	; wave barrier
	s_waitcnt lgkmcnt(1)
	v_cmp_lt_i32_e64 s0, v7, v6
	s_or_b32 s0, vcc_lo, s0
	s_and_b32 vcc_lo, s1, s0
	s_add_u32 s0, s2, s4
	v_cndmask_b32_e32 v2, v5, v2, vcc_lo
	v_cndmask_b32_e32 v6, v6, v7, vcc_lo
	s_addc_u32 s1, s3, s5
	v_lshl_add_u32 v2, v2, 2, v3
	ds_read_b32 v0, v2
	s_waitcnt lgkmcnt(0)
	v_add_nc_u32_e32 v0, v0, v6
	global_store_dword v1, v0, s[0:1]
	s_endpgm
	.section	.rodata,"a",@progbits
	.p2align	6, 0x0
	.amdhsa_kernel _Z10sort_pairsILj256ELj4ELj1EiN10test_utils4lessEEvPKT2_PS2_T3_
		.amdhsa_group_segment_fixed_size 1280
		.amdhsa_private_segment_fixed_size 0
		.amdhsa_kernarg_size 20
		.amdhsa_user_sgpr_count 6
		.amdhsa_user_sgpr_private_segment_buffer 1
		.amdhsa_user_sgpr_dispatch_ptr 0
		.amdhsa_user_sgpr_queue_ptr 0
		.amdhsa_user_sgpr_kernarg_segment_ptr 1
		.amdhsa_user_sgpr_dispatch_id 0
		.amdhsa_user_sgpr_flat_scratch_init 0
		.amdhsa_user_sgpr_private_segment_size 0
		.amdhsa_wavefront_size32 1
		.amdhsa_uses_dynamic_stack 0
		.amdhsa_system_sgpr_private_segment_wavefront_offset 0
		.amdhsa_system_sgpr_workgroup_id_x 1
		.amdhsa_system_sgpr_workgroup_id_y 0
		.amdhsa_system_sgpr_workgroup_id_z 0
		.amdhsa_system_sgpr_workgroup_info 0
		.amdhsa_system_vgpr_workitem_id 0
		.amdhsa_next_free_vgpr 16
		.amdhsa_next_free_sgpr 8
		.amdhsa_reserve_vcc 1
		.amdhsa_reserve_flat_scratch 0
		.amdhsa_float_round_mode_32 0
		.amdhsa_float_round_mode_16_64 0
		.amdhsa_float_denorm_mode_32 3
		.amdhsa_float_denorm_mode_16_64 3
		.amdhsa_dx10_clamp 1
		.amdhsa_ieee_mode 1
		.amdhsa_fp16_overflow 0
		.amdhsa_workgroup_processor_mode 1
		.amdhsa_memory_ordered 1
		.amdhsa_forward_progress 1
		.amdhsa_shared_vgpr_count 0
		.amdhsa_exception_fp_ieee_invalid_op 0
		.amdhsa_exception_fp_denorm_src 0
		.amdhsa_exception_fp_ieee_div_zero 0
		.amdhsa_exception_fp_ieee_overflow 0
		.amdhsa_exception_fp_ieee_underflow 0
		.amdhsa_exception_fp_ieee_inexact 0
		.amdhsa_exception_int_div_zero 0
	.end_amdhsa_kernel
	.section	.text._Z10sort_pairsILj256ELj4ELj1EiN10test_utils4lessEEvPKT2_PS2_T3_,"axG",@progbits,_Z10sort_pairsILj256ELj4ELj1EiN10test_utils4lessEEvPKT2_PS2_T3_,comdat
.Lfunc_end1:
	.size	_Z10sort_pairsILj256ELj4ELj1EiN10test_utils4lessEEvPKT2_PS2_T3_, .Lfunc_end1-_Z10sort_pairsILj256ELj4ELj1EiN10test_utils4lessEEvPKT2_PS2_T3_
                                        ; -- End function
	.set _Z10sort_pairsILj256ELj4ELj1EiN10test_utils4lessEEvPKT2_PS2_T3_.num_vgpr, 16
	.set _Z10sort_pairsILj256ELj4ELj1EiN10test_utils4lessEEvPKT2_PS2_T3_.num_agpr, 0
	.set _Z10sort_pairsILj256ELj4ELj1EiN10test_utils4lessEEvPKT2_PS2_T3_.numbered_sgpr, 8
	.set _Z10sort_pairsILj256ELj4ELj1EiN10test_utils4lessEEvPKT2_PS2_T3_.num_named_barrier, 0
	.set _Z10sort_pairsILj256ELj4ELj1EiN10test_utils4lessEEvPKT2_PS2_T3_.private_seg_size, 0
	.set _Z10sort_pairsILj256ELj4ELj1EiN10test_utils4lessEEvPKT2_PS2_T3_.uses_vcc, 1
	.set _Z10sort_pairsILj256ELj4ELj1EiN10test_utils4lessEEvPKT2_PS2_T3_.uses_flat_scratch, 0
	.set _Z10sort_pairsILj256ELj4ELj1EiN10test_utils4lessEEvPKT2_PS2_T3_.has_dyn_sized_stack, 0
	.set _Z10sort_pairsILj256ELj4ELj1EiN10test_utils4lessEEvPKT2_PS2_T3_.has_recursion, 0
	.set _Z10sort_pairsILj256ELj4ELj1EiN10test_utils4lessEEvPKT2_PS2_T3_.has_indirect_call, 0
	.section	.AMDGPU.csdata,"",@progbits
; Kernel info:
; codeLenInByte = 676
; TotalNumSgprs: 10
; NumVgprs: 16
; ScratchSize: 0
; MemoryBound: 0
; FloatMode: 240
; IeeeMode: 1
; LDSByteSize: 1280 bytes/workgroup (compile time only)
; SGPRBlocks: 0
; VGPRBlocks: 1
; NumSGPRsForWavesPerEU: 10
; NumVGPRsForWavesPerEU: 16
; Occupancy: 16
; WaveLimiterHint : 0
; COMPUTE_PGM_RSRC2:SCRATCH_EN: 0
; COMPUTE_PGM_RSRC2:USER_SGPR: 6
; COMPUTE_PGM_RSRC2:TRAP_HANDLER: 0
; COMPUTE_PGM_RSRC2:TGID_X_EN: 1
; COMPUTE_PGM_RSRC2:TGID_Y_EN: 0
; COMPUTE_PGM_RSRC2:TGID_Z_EN: 0
; COMPUTE_PGM_RSRC2:TIDIG_COMP_CNT: 0
	.section	.text._Z19sort_keys_segmentedILj256ELj4ELj1EiN10test_utils4lessEEvPKT2_PS2_PKjT3_,"axG",@progbits,_Z19sort_keys_segmentedILj256ELj4ELj1EiN10test_utils4lessEEvPKT2_PS2_PKjT3_,comdat
	.protected	_Z19sort_keys_segmentedILj256ELj4ELj1EiN10test_utils4lessEEvPKT2_PS2_PKjT3_ ; -- Begin function _Z19sort_keys_segmentedILj256ELj4ELj1EiN10test_utils4lessEEvPKT2_PS2_PKjT3_
	.globl	_Z19sort_keys_segmentedILj256ELj4ELj1EiN10test_utils4lessEEvPKT2_PS2_PKjT3_
	.p2align	8
	.type	_Z19sort_keys_segmentedILj256ELj4ELj1EiN10test_utils4lessEEvPKT2_PS2_PKjT3_,@function
_Z19sort_keys_segmentedILj256ELj4ELj1EiN10test_utils4lessEEvPKT2_PS2_PKjT3_: ; @_Z19sort_keys_segmentedILj256ELj4ELj1EiN10test_utils4lessEEvPKT2_PS2_PKjT3_
; %bb.0:
	s_load_dwordx2 s[0:1], s[4:5], 0x10
	v_lshrrev_b32_e32 v10, 2, v0
	v_mov_b32_e32 v1, 0
	v_lshl_or_b32 v0, s6, 6, v10
	s_load_dwordx4 s[4:7], s[4:5], 0x0
	v_lshlrev_b64 v[2:3], 2, v[0:1]
	v_lshlrev_b32_e32 v0, 2, v0
	s_waitcnt lgkmcnt(0)
	v_add_co_u32 v2, vcc_lo, s0, v2
	v_add_co_ci_u32_e64 v3, null, s1, v3, vcc_lo
	global_load_dword v4, v[2:3], off
	v_mbcnt_lo_u32_b32 v2, -1, 0
	v_and_b32_e32 v5, 3, v2
	s_waitcnt vmcnt(0)
	v_cmp_ge_u32_e64 s0, v5, v4
	v_cmp_lt_u32_e32 vcc_lo, v5, v4
	s_and_saveexec_b32 s1, s0
	s_xor_b32 s0, exec_lo, s1
	s_or_saveexec_b32 s1, s0
	v_lshlrev_b64 v[0:1], 2, v[0:1]
                                        ; implicit-def: $vgpr15
	s_xor_b32 exec_lo, exec_lo, s1
	s_cbranch_execz .LBB2_2
; %bb.1:
	v_lshlrev_b32_e32 v3, 2, v5
	v_add_co_u32 v6, s0, s4, v0
	v_add_co_ci_u32_e64 v7, null, s5, v1, s0
	v_add_co_u32 v6, s0, v6, v3
	v_add_co_ci_u32_e64 v7, null, 0, v7, s0
	global_load_dword v15, v[6:7], off
.LBB2_2:
	s_or_b32 exec_lo, exec_lo, s1
	v_and_b32_e32 v3, 2, v2
	v_and_b32_e32 v2, 1, v2
	s_mov_b32 s2, 0
	s_mov_b32 s1, exec_lo
	v_min_i32_e32 v9, v4, v3
	v_min_i32_e32 v12, v4, v2
	v_lshlrev_b32_e32 v2, 2, v5
	; wave barrier
	v_add_nc_u32_e32 v3, 1, v9
	v_lshlrev_b32_e32 v16, 2, v9
	v_min_i32_e32 v8, v4, v3
	v_add_nc_u32_e32 v3, 1, v8
	v_sub_nc_u32_e32 v14, v8, v9
	v_min_i32_e32 v6, v4, v3
	v_mul_u32_u24_e32 v3, 20, v10
	v_min_i32_e32 v14, v12, v14
	v_sub_nc_u32_e32 v7, v6, v8
	v_sub_nc_u32_e32 v11, v12, v7
	v_cmp_ge_i32_e64 s0, v12, v7
	v_mad_u32_u24 v7, v10, 20, v2
	v_cndmask_b32_e64 v13, 0, v11, s0
	v_mad_u32_u24 v11, v10, 20, v16
	s_waitcnt vmcnt(0)
	ds_write_b32 v7, v15
	; wave barrier
	v_cmpx_lt_i32_e64 v13, v14
	s_cbranch_execz .LBB2_6
; %bb.3:
	v_lshlrev_b32_e32 v10, 2, v8
	v_lshlrev_b32_e32 v15, 2, v12
	v_add3_u32 v10, v3, v10, v15
	.p2align	6
.LBB2_4:                                ; =>This Inner Loop Header: Depth=1
	v_sub_nc_u32_e32 v15, v14, v13
	v_lshrrev_b32_e32 v15, 1, v15
	v_add_nc_u32_e32 v15, v15, v13
	v_not_b32_e32 v16, v15
	v_lshl_add_u32 v17, v15, 2, v11
	v_add_nc_u32_e32 v18, 1, v15
	v_lshl_add_u32 v16, v16, 2, v10
	ds_read_b32 v17, v17
	ds_read_b32 v16, v16
	s_waitcnt lgkmcnt(0)
	v_cmp_lt_i32_e64 s0, v16, v17
	v_cndmask_b32_e64 v14, v14, v15, s0
	v_cndmask_b32_e64 v13, v18, v13, s0
	v_cmp_ge_i32_e64 s0, v13, v14
	s_or_b32 s2, s0, s2
	s_andn2_b32 exec_lo, exec_lo, s2
	s_cbranch_execnz .LBB2_4
; %bb.5:
	s_or_b32 exec_lo, exec_lo, s2
.LBB2_6:
	s_or_b32 exec_lo, exec_lo, s1
	v_add_nc_u32_e32 v10, v8, v12
	v_lshl_add_u32 v11, v13, 2, v11
	v_add_nc_u32_e32 v9, v13, v9
	s_mov_b32 s3, 0
	v_sub_nc_u32_e32 v14, v10, v13
	v_min_i32_e32 v10, 0, v4
	v_cmp_le_i32_e64 s0, v8, v9
	v_lshl_add_u32 v12, v14, 2, v3
	v_add_nc_u32_e32 v15, 2, v10
	v_cmp_gt_i32_e64 s2, v6, v14
	v_lshl_add_u32 v6, v10, 2, v3
	ds_read_b32 v16, v11
	ds_read_b32 v17, v12
	v_min_i32_e32 v12, v4, v15
	; wave barrier
	v_add_nc_u32_e32 v11, 2, v12
	v_sub_nc_u32_e32 v8, v12, v10
	v_min_i32_e32 v11, v4, v11
	v_min_i32_e32 v4, v4, v5
	v_sub_nc_u32_e32 v5, v11, v12
	v_min_i32_e32 v8, v4, v8
	s_waitcnt lgkmcnt(0)
	v_cmp_lt_i32_e64 s1, v17, v16
	v_sub_nc_u32_e32 v9, v4, v5
	s_or_b32 s1, s0, s1
	v_cmp_ge_i32_e64 s0, v4, v5
	v_cndmask_b32_e64 v5, 0, v9, s0
	s_and_b32 s0, s2, s1
	s_mov_b32 s1, exec_lo
	v_cndmask_b32_e64 v9, v16, v17, s0
	ds_write_b32 v7, v9
	; wave barrier
	v_cmpx_lt_i32_e64 v5, v8
	s_cbranch_execnz .LBB2_9
; %bb.7:
	s_or_b32 exec_lo, exec_lo, s1
	s_and_saveexec_b32 s0, vcc_lo
	s_cbranch_execnz .LBB2_12
.LBB2_8:
	s_endpgm
.LBB2_9:
	v_lshlrev_b32_e32 v7, 2, v12
	v_lshlrev_b32_e32 v9, 2, v4
	v_add3_u32 v7, v3, v7, v9
	.p2align	6
.LBB2_10:                               ; =>This Inner Loop Header: Depth=1
	v_sub_nc_u32_e32 v9, v8, v5
	v_lshrrev_b32_e32 v9, 1, v9
	v_add_nc_u32_e32 v9, v9, v5
	v_not_b32_e32 v13, v9
	v_lshl_add_u32 v14, v9, 2, v6
	v_add_nc_u32_e32 v15, 1, v9
	v_lshl_add_u32 v13, v13, 2, v7
	ds_read_b32 v14, v14
	ds_read_b32 v13, v13
	s_waitcnt lgkmcnt(0)
	v_cmp_lt_i32_e64 s0, v13, v14
	v_cndmask_b32_e64 v8, v8, v9, s0
	v_cndmask_b32_e64 v5, v15, v5, s0
	v_cmp_ge_i32_e64 s0, v5, v8
	s_or_b32 s3, s0, s3
	s_andn2_b32 exec_lo, exec_lo, s3
	s_cbranch_execnz .LBB2_10
; %bb.11:
	s_or_b32 exec_lo, exec_lo, s3
	s_or_b32 exec_lo, exec_lo, s1
	s_and_saveexec_b32 s0, vcc_lo
	s_cbranch_execz .LBB2_8
.LBB2_12:
	v_add_nc_u32_e32 v4, v12, v4
	v_lshl_add_u32 v6, v5, 2, v6
	v_add_co_u32 v0, s1, s6, v0
	v_add_co_ci_u32_e64 v1, null, s7, v1, s1
	v_sub_nc_u32_e32 v4, v4, v5
	v_add_nc_u32_e32 v5, v5, v10
	v_lshl_add_u32 v3, v4, 2, v3
	v_cmp_le_i32_e32 vcc_lo, v12, v5
	v_cmp_gt_i32_e64 s1, v11, v4
	ds_read_b32 v3, v3
	ds_read_b32 v6, v6
	s_waitcnt lgkmcnt(0)
	v_cmp_lt_i32_e64 s0, v3, v6
	s_or_b32 s0, vcc_lo, s0
	v_add_co_u32 v0, vcc_lo, v0, v2
	v_add_co_ci_u32_e64 v1, null, 0, v1, vcc_lo
	s_and_b32 vcc_lo, s1, s0
	v_cndmask_b32_e32 v2, v6, v3, vcc_lo
	global_store_dword v[0:1], v2, off
	s_endpgm
	.section	.rodata,"a",@progbits
	.p2align	6, 0x0
	.amdhsa_kernel _Z19sort_keys_segmentedILj256ELj4ELj1EiN10test_utils4lessEEvPKT2_PS2_PKjT3_
		.amdhsa_group_segment_fixed_size 1280
		.amdhsa_private_segment_fixed_size 0
		.amdhsa_kernarg_size 28
		.amdhsa_user_sgpr_count 6
		.amdhsa_user_sgpr_private_segment_buffer 1
		.amdhsa_user_sgpr_dispatch_ptr 0
		.amdhsa_user_sgpr_queue_ptr 0
		.amdhsa_user_sgpr_kernarg_segment_ptr 1
		.amdhsa_user_sgpr_dispatch_id 0
		.amdhsa_user_sgpr_flat_scratch_init 0
		.amdhsa_user_sgpr_private_segment_size 0
		.amdhsa_wavefront_size32 1
		.amdhsa_uses_dynamic_stack 0
		.amdhsa_system_sgpr_private_segment_wavefront_offset 0
		.amdhsa_system_sgpr_workgroup_id_x 1
		.amdhsa_system_sgpr_workgroup_id_y 0
		.amdhsa_system_sgpr_workgroup_id_z 0
		.amdhsa_system_sgpr_workgroup_info 0
		.amdhsa_system_vgpr_workitem_id 0
		.amdhsa_next_free_vgpr 19
		.amdhsa_next_free_sgpr 8
		.amdhsa_reserve_vcc 1
		.amdhsa_reserve_flat_scratch 0
		.amdhsa_float_round_mode_32 0
		.amdhsa_float_round_mode_16_64 0
		.amdhsa_float_denorm_mode_32 3
		.amdhsa_float_denorm_mode_16_64 3
		.amdhsa_dx10_clamp 1
		.amdhsa_ieee_mode 1
		.amdhsa_fp16_overflow 0
		.amdhsa_workgroup_processor_mode 1
		.amdhsa_memory_ordered 1
		.amdhsa_forward_progress 1
		.amdhsa_shared_vgpr_count 0
		.amdhsa_exception_fp_ieee_invalid_op 0
		.amdhsa_exception_fp_denorm_src 0
		.amdhsa_exception_fp_ieee_div_zero 0
		.amdhsa_exception_fp_ieee_overflow 0
		.amdhsa_exception_fp_ieee_underflow 0
		.amdhsa_exception_fp_ieee_inexact 0
		.amdhsa_exception_int_div_zero 0
	.end_amdhsa_kernel
	.section	.text._Z19sort_keys_segmentedILj256ELj4ELj1EiN10test_utils4lessEEvPKT2_PS2_PKjT3_,"axG",@progbits,_Z19sort_keys_segmentedILj256ELj4ELj1EiN10test_utils4lessEEvPKT2_PS2_PKjT3_,comdat
.Lfunc_end2:
	.size	_Z19sort_keys_segmentedILj256ELj4ELj1EiN10test_utils4lessEEvPKT2_PS2_PKjT3_, .Lfunc_end2-_Z19sort_keys_segmentedILj256ELj4ELj1EiN10test_utils4lessEEvPKT2_PS2_PKjT3_
                                        ; -- End function
	.set _Z19sort_keys_segmentedILj256ELj4ELj1EiN10test_utils4lessEEvPKT2_PS2_PKjT3_.num_vgpr, 19
	.set _Z19sort_keys_segmentedILj256ELj4ELj1EiN10test_utils4lessEEvPKT2_PS2_PKjT3_.num_agpr, 0
	.set _Z19sort_keys_segmentedILj256ELj4ELj1EiN10test_utils4lessEEvPKT2_PS2_PKjT3_.numbered_sgpr, 8
	.set _Z19sort_keys_segmentedILj256ELj4ELj1EiN10test_utils4lessEEvPKT2_PS2_PKjT3_.num_named_barrier, 0
	.set _Z19sort_keys_segmentedILj256ELj4ELj1EiN10test_utils4lessEEvPKT2_PS2_PKjT3_.private_seg_size, 0
	.set _Z19sort_keys_segmentedILj256ELj4ELj1EiN10test_utils4lessEEvPKT2_PS2_PKjT3_.uses_vcc, 1
	.set _Z19sort_keys_segmentedILj256ELj4ELj1EiN10test_utils4lessEEvPKT2_PS2_PKjT3_.uses_flat_scratch, 0
	.set _Z19sort_keys_segmentedILj256ELj4ELj1EiN10test_utils4lessEEvPKT2_PS2_PKjT3_.has_dyn_sized_stack, 0
	.set _Z19sort_keys_segmentedILj256ELj4ELj1EiN10test_utils4lessEEvPKT2_PS2_PKjT3_.has_recursion, 0
	.set _Z19sort_keys_segmentedILj256ELj4ELj1EiN10test_utils4lessEEvPKT2_PS2_PKjT3_.has_indirect_call, 0
	.section	.AMDGPU.csdata,"",@progbits
; Kernel info:
; codeLenInByte = 880
; TotalNumSgprs: 10
; NumVgprs: 19
; ScratchSize: 0
; MemoryBound: 0
; FloatMode: 240
; IeeeMode: 1
; LDSByteSize: 1280 bytes/workgroup (compile time only)
; SGPRBlocks: 0
; VGPRBlocks: 2
; NumSGPRsForWavesPerEU: 10
; NumVGPRsForWavesPerEU: 19
; Occupancy: 16
; WaveLimiterHint : 0
; COMPUTE_PGM_RSRC2:SCRATCH_EN: 0
; COMPUTE_PGM_RSRC2:USER_SGPR: 6
; COMPUTE_PGM_RSRC2:TRAP_HANDLER: 0
; COMPUTE_PGM_RSRC2:TGID_X_EN: 1
; COMPUTE_PGM_RSRC2:TGID_Y_EN: 0
; COMPUTE_PGM_RSRC2:TGID_Z_EN: 0
; COMPUTE_PGM_RSRC2:TIDIG_COMP_CNT: 0
	.section	.text._Z20sort_pairs_segmentedILj256ELj4ELj1EiN10test_utils4lessEEvPKT2_PS2_PKjT3_,"axG",@progbits,_Z20sort_pairs_segmentedILj256ELj4ELj1EiN10test_utils4lessEEvPKT2_PS2_PKjT3_,comdat
	.protected	_Z20sort_pairs_segmentedILj256ELj4ELj1EiN10test_utils4lessEEvPKT2_PS2_PKjT3_ ; -- Begin function _Z20sort_pairs_segmentedILj256ELj4ELj1EiN10test_utils4lessEEvPKT2_PS2_PKjT3_
	.globl	_Z20sort_pairs_segmentedILj256ELj4ELj1EiN10test_utils4lessEEvPKT2_PS2_PKjT3_
	.p2align	8
	.type	_Z20sort_pairs_segmentedILj256ELj4ELj1EiN10test_utils4lessEEvPKT2_PS2_PKjT3_,@function
_Z20sort_pairs_segmentedILj256ELj4ELj1EiN10test_utils4lessEEvPKT2_PS2_PKjT3_: ; @_Z20sort_pairs_segmentedILj256ELj4ELj1EiN10test_utils4lessEEvPKT2_PS2_PKjT3_
; %bb.0:
	s_load_dwordx2 s[0:1], s[4:5], 0x10
	v_lshrrev_b32_e32 v10, 2, v0
	v_mov_b32_e32 v1, 0
	v_lshl_or_b32 v0, s6, 6, v10
	s_load_dwordx4 s[4:7], s[4:5], 0x0
	v_lshlrev_b64 v[2:3], 2, v[0:1]
	v_lshlrev_b32_e32 v0, 2, v0
	s_waitcnt lgkmcnt(0)
	v_add_co_u32 v2, vcc_lo, s0, v2
	v_add_co_ci_u32_e64 v3, null, s1, v3, vcc_lo
	global_load_dword v4, v[2:3], off
	v_mbcnt_lo_u32_b32 v2, -1, 0
	v_and_b32_e32 v6, 3, v2
	s_waitcnt vmcnt(0)
	v_cmp_ge_u32_e64 s0, v6, v4
	v_cmp_lt_u32_e32 vcc_lo, v6, v4
	s_and_saveexec_b32 s1, s0
	s_xor_b32 s0, exec_lo, s1
	s_or_saveexec_b32 s1, s0
	v_lshlrev_b64 v[0:1], 2, v[0:1]
                                        ; implicit-def: $vgpr7
	s_xor_b32 exec_lo, exec_lo, s1
	s_cbranch_execz .LBB3_2
; %bb.1:
	v_lshlrev_b32_e32 v3, 2, v6
	v_add_co_u32 v5, s0, s4, v0
	v_add_co_ci_u32_e64 v8, null, s5, v1, s0
	v_add_co_u32 v7, s0, v5, v3
	v_add_co_ci_u32_e64 v8, null, 0, v8, s0
	global_load_dword v7, v[7:8], off
.LBB3_2:
	s_or_b32 exec_lo, exec_lo, s1
	v_and_b32_e32 v3, 2, v2
	v_and_b32_e32 v2, 1, v2
	s_mov_b32 s2, 0
	s_mov_b32 s1, exec_lo
	v_min_i32_e32 v11, v4, v3
	v_min_i32_e32 v12, v4, v2
	v_lshlrev_b32_e32 v2, 2, v6
	; wave barrier
	v_add_nc_u32_e32 v3, 1, v11
	v_lshlrev_b32_e32 v15, 2, v11
	v_min_i32_e32 v8, v4, v3
	v_add_nc_u32_e32 v3, 1, v8
	v_sub_nc_u32_e32 v14, v8, v11
	v_min_i32_e32 v9, v4, v3
	v_mul_u32_u24_e32 v3, 20, v10
	v_min_i32_e32 v14, v12, v14
	v_sub_nc_u32_e32 v5, v9, v8
	v_sub_nc_u32_e32 v13, v12, v5
	v_cmp_ge_i32_e64 s0, v12, v5
	v_mad_u32_u24 v5, v10, 20, v2
	v_mad_u32_u24 v10, v10, 20, v15
	v_cndmask_b32_e64 v13, 0, v13, s0
	s_waitcnt vmcnt(0)
	ds_write_b32 v5, v7
	; wave barrier
	v_cmpx_lt_i32_e64 v13, v14
	s_cbranch_execz .LBB3_6
; %bb.3:
	v_lshlrev_b32_e32 v15, 2, v8
	v_lshlrev_b32_e32 v16, 2, v12
	v_add3_u32 v15, v3, v15, v16
	.p2align	6
.LBB3_4:                                ; =>This Inner Loop Header: Depth=1
	v_sub_nc_u32_e32 v16, v14, v13
	v_lshrrev_b32_e32 v16, 1, v16
	v_add_nc_u32_e32 v16, v16, v13
	v_not_b32_e32 v17, v16
	v_lshl_add_u32 v18, v16, 2, v10
	v_add_nc_u32_e32 v19, 1, v16
	v_lshl_add_u32 v17, v17, 2, v15
	ds_read_b32 v18, v18
	ds_read_b32 v17, v17
	s_waitcnt lgkmcnt(0)
	v_cmp_lt_i32_e64 s0, v17, v18
	v_cndmask_b32_e64 v14, v14, v16, s0
	v_cndmask_b32_e64 v13, v19, v13, s0
	v_cmp_ge_i32_e64 s0, v13, v14
	s_or_b32 s2, s0, s2
	s_andn2_b32 exec_lo, exec_lo, s2
	s_cbranch_execnz .LBB3_4
; %bb.5:
	s_or_b32 exec_lo, exec_lo, s2
.LBB3_6:
	s_or_b32 exec_lo, exec_lo, s1
	v_add_nc_u32_e32 v12, v8, v12
	v_lshl_add_u32 v10, v13, 2, v10
	v_add_nc_u32_e32 v11, v13, v11
	v_add_nc_u32_e32 v7, 1, v7
	v_sub_nc_u32_e32 v12, v12, v13
	v_cmp_le_i32_e64 s0, v8, v11
	v_lshl_add_u32 v14, v12, 2, v3
	v_cmp_gt_i32_e64 s2, v9, v12
	ds_read_b32 v15, v10
	ds_read_b32 v14, v14
	v_min_i32_e32 v10, 0, v4
	; wave barrier
	ds_write_b32 v5, v7
	v_add_nc_u32_e32 v8, 2, v10
	; wave barrier
	v_min_i32_e32 v8, v4, v8
	v_add_nc_u32_e32 v9, 2, v8
	s_waitcnt lgkmcnt(1)
	v_cmp_lt_i32_e64 s1, v14, v15
	v_min_i32_e32 v7, v4, v9
	v_min_i32_e32 v9, v4, v6
	s_or_b32 s0, s0, s1
	v_sub_nc_u32_e32 v4, v7, v8
	s_and_b32 s0, s2, s0
	s_mov_b32 s2, 0
	v_cndmask_b32_e64 v11, v11, v12, s0
	v_cndmask_b32_e64 v13, v15, v14, s0
	v_sub_nc_u32_e32 v12, v8, v10
	v_cmp_ge_i32_e64 s0, v9, v4
	s_mov_b32 s1, exec_lo
	v_lshl_add_u32 v11, v11, 2, v3
	v_min_i32_e32 v12, v9, v12
	ds_read_b32 v6, v11
	v_sub_nc_u32_e32 v11, v9, v4
	; wave barrier
	ds_write_b32 v5, v13
	v_cndmask_b32_e64 v4, 0, v11, s0
	v_lshl_add_u32 v11, v10, 2, v3
	; wave barrier
	v_cmpx_lt_i32_e64 v4, v12
	s_cbranch_execz .LBB3_10
; %bb.7:
	v_lshlrev_b32_e32 v13, 2, v8
	v_lshlrev_b32_e32 v14, 2, v9
	v_add3_u32 v13, v3, v13, v14
	.p2align	6
.LBB3_8:                                ; =>This Inner Loop Header: Depth=1
	v_sub_nc_u32_e32 v14, v12, v4
	v_lshrrev_b32_e32 v14, 1, v14
	v_add_nc_u32_e32 v14, v14, v4
	v_not_b32_e32 v15, v14
	v_lshl_add_u32 v16, v14, 2, v11
	v_add_nc_u32_e32 v17, 1, v14
	v_lshl_add_u32 v15, v15, 2, v13
	ds_read_b32 v16, v16
	ds_read_b32 v15, v15
	s_waitcnt lgkmcnt(0)
	v_cmp_lt_i32_e64 s0, v15, v16
	v_cndmask_b32_e64 v12, v12, v14, s0
	v_cndmask_b32_e64 v4, v17, v4, s0
	v_cmp_ge_i32_e64 s0, v4, v12
	s_or_b32 s2, s0, s2
	s_andn2_b32 exec_lo, exec_lo, s2
	s_cbranch_execnz .LBB3_8
; %bb.9:
	s_or_b32 exec_lo, exec_lo, s2
.LBB3_10:
	s_or_b32 exec_lo, exec_lo, s1
	v_add_nc_u32_e32 v9, v8, v9
	v_lshl_add_u32 v11, v4, 2, v11
	v_sub_nc_u32_e32 v9, v9, v4
	v_lshl_add_u32 v12, v9, 2, v3
	ds_read_b32 v11, v11
	ds_read_b32 v12, v12
	; wave barrier
	s_waitcnt lgkmcnt(3)
	ds_write_b32 v5, v6
	; wave barrier
	s_and_saveexec_b32 s0, vcc_lo
	s_cbranch_execz .LBB3_12
; %bb.11:
	v_add_nc_u32_e32 v4, v4, v10
	s_waitcnt lgkmcnt(1)
	v_cmp_lt_i32_e32 vcc_lo, v12, v11
	v_cmp_gt_i32_e64 s1, v7, v9
	v_cmp_le_i32_e64 s0, v8, v4
	s_or_b32 s0, s0, vcc_lo
	s_and_b32 vcc_lo, s1, s0
	v_cndmask_b32_e32 v4, v4, v9, vcc_lo
	v_cndmask_b32_e32 v5, v11, v12, vcc_lo
	v_add_co_u32 v0, vcc_lo, s6, v0
	v_add_co_ci_u32_e64 v1, null, s7, v1, vcc_lo
	v_lshl_add_u32 v3, v4, 2, v3
	v_add_co_u32 v0, vcc_lo, v0, v2
	v_add_co_ci_u32_e64 v1, null, 0, v1, vcc_lo
	ds_read_b32 v3, v3
	s_waitcnt lgkmcnt(0)
	v_add_nc_u32_e32 v3, v3, v5
	global_store_dword v[0:1], v3, off
.LBB3_12:
	s_endpgm
	.section	.rodata,"a",@progbits
	.p2align	6, 0x0
	.amdhsa_kernel _Z20sort_pairs_segmentedILj256ELj4ELj1EiN10test_utils4lessEEvPKT2_PS2_PKjT3_
		.amdhsa_group_segment_fixed_size 1280
		.amdhsa_private_segment_fixed_size 0
		.amdhsa_kernarg_size 28
		.amdhsa_user_sgpr_count 6
		.amdhsa_user_sgpr_private_segment_buffer 1
		.amdhsa_user_sgpr_dispatch_ptr 0
		.amdhsa_user_sgpr_queue_ptr 0
		.amdhsa_user_sgpr_kernarg_segment_ptr 1
		.amdhsa_user_sgpr_dispatch_id 0
		.amdhsa_user_sgpr_flat_scratch_init 0
		.amdhsa_user_sgpr_private_segment_size 0
		.amdhsa_wavefront_size32 1
		.amdhsa_uses_dynamic_stack 0
		.amdhsa_system_sgpr_private_segment_wavefront_offset 0
		.amdhsa_system_sgpr_workgroup_id_x 1
		.amdhsa_system_sgpr_workgroup_id_y 0
		.amdhsa_system_sgpr_workgroup_id_z 0
		.amdhsa_system_sgpr_workgroup_info 0
		.amdhsa_system_vgpr_workitem_id 0
		.amdhsa_next_free_vgpr 20
		.amdhsa_next_free_sgpr 8
		.amdhsa_reserve_vcc 1
		.amdhsa_reserve_flat_scratch 0
		.amdhsa_float_round_mode_32 0
		.amdhsa_float_round_mode_16_64 0
		.amdhsa_float_denorm_mode_32 3
		.amdhsa_float_denorm_mode_16_64 3
		.amdhsa_dx10_clamp 1
		.amdhsa_ieee_mode 1
		.amdhsa_fp16_overflow 0
		.amdhsa_workgroup_processor_mode 1
		.amdhsa_memory_ordered 1
		.amdhsa_forward_progress 1
		.amdhsa_shared_vgpr_count 0
		.amdhsa_exception_fp_ieee_invalid_op 0
		.amdhsa_exception_fp_denorm_src 0
		.amdhsa_exception_fp_ieee_div_zero 0
		.amdhsa_exception_fp_ieee_overflow 0
		.amdhsa_exception_fp_ieee_underflow 0
		.amdhsa_exception_fp_ieee_inexact 0
		.amdhsa_exception_int_div_zero 0
	.end_amdhsa_kernel
	.section	.text._Z20sort_pairs_segmentedILj256ELj4ELj1EiN10test_utils4lessEEvPKT2_PS2_PKjT3_,"axG",@progbits,_Z20sort_pairs_segmentedILj256ELj4ELj1EiN10test_utils4lessEEvPKT2_PS2_PKjT3_,comdat
.Lfunc_end3:
	.size	_Z20sort_pairs_segmentedILj256ELj4ELj1EiN10test_utils4lessEEvPKT2_PS2_PKjT3_, .Lfunc_end3-_Z20sort_pairs_segmentedILj256ELj4ELj1EiN10test_utils4lessEEvPKT2_PS2_PKjT3_
                                        ; -- End function
	.set _Z20sort_pairs_segmentedILj256ELj4ELj1EiN10test_utils4lessEEvPKT2_PS2_PKjT3_.num_vgpr, 20
	.set _Z20sort_pairs_segmentedILj256ELj4ELj1EiN10test_utils4lessEEvPKT2_PS2_PKjT3_.num_agpr, 0
	.set _Z20sort_pairs_segmentedILj256ELj4ELj1EiN10test_utils4lessEEvPKT2_PS2_PKjT3_.numbered_sgpr, 8
	.set _Z20sort_pairs_segmentedILj256ELj4ELj1EiN10test_utils4lessEEvPKT2_PS2_PKjT3_.num_named_barrier, 0
	.set _Z20sort_pairs_segmentedILj256ELj4ELj1EiN10test_utils4lessEEvPKT2_PS2_PKjT3_.private_seg_size, 0
	.set _Z20sort_pairs_segmentedILj256ELj4ELj1EiN10test_utils4lessEEvPKT2_PS2_PKjT3_.uses_vcc, 1
	.set _Z20sort_pairs_segmentedILj256ELj4ELj1EiN10test_utils4lessEEvPKT2_PS2_PKjT3_.uses_flat_scratch, 0
	.set _Z20sort_pairs_segmentedILj256ELj4ELj1EiN10test_utils4lessEEvPKT2_PS2_PKjT3_.has_dyn_sized_stack, 0
	.set _Z20sort_pairs_segmentedILj256ELj4ELj1EiN10test_utils4lessEEvPKT2_PS2_PKjT3_.has_recursion, 0
	.set _Z20sort_pairs_segmentedILj256ELj4ELj1EiN10test_utils4lessEEvPKT2_PS2_PKjT3_.has_indirect_call, 0
	.section	.AMDGPU.csdata,"",@progbits
; Kernel info:
; codeLenInByte = 984
; TotalNumSgprs: 10
; NumVgprs: 20
; ScratchSize: 0
; MemoryBound: 0
; FloatMode: 240
; IeeeMode: 1
; LDSByteSize: 1280 bytes/workgroup (compile time only)
; SGPRBlocks: 0
; VGPRBlocks: 2
; NumSGPRsForWavesPerEU: 10
; NumVGPRsForWavesPerEU: 20
; Occupancy: 16
; WaveLimiterHint : 0
; COMPUTE_PGM_RSRC2:SCRATCH_EN: 0
; COMPUTE_PGM_RSRC2:USER_SGPR: 6
; COMPUTE_PGM_RSRC2:TRAP_HANDLER: 0
; COMPUTE_PGM_RSRC2:TGID_X_EN: 1
; COMPUTE_PGM_RSRC2:TGID_Y_EN: 0
; COMPUTE_PGM_RSRC2:TGID_Z_EN: 0
; COMPUTE_PGM_RSRC2:TIDIG_COMP_CNT: 0
	.section	.text._Z9sort_keysILj256ELj4ELj4EiN10test_utils4lessEEvPKT2_PS2_T3_,"axG",@progbits,_Z9sort_keysILj256ELj4ELj4EiN10test_utils4lessEEvPKT2_PS2_T3_,comdat
	.protected	_Z9sort_keysILj256ELj4ELj4EiN10test_utils4lessEEvPKT2_PS2_T3_ ; -- Begin function _Z9sort_keysILj256ELj4ELj4EiN10test_utils4lessEEvPKT2_PS2_T3_
	.globl	_Z9sort_keysILj256ELj4ELj4EiN10test_utils4lessEEvPKT2_PS2_T3_
	.p2align	8
	.type	_Z9sort_keysILj256ELj4ELj4EiN10test_utils4lessEEvPKT2_PS2_T3_,@function
_Z9sort_keysILj256ELj4ELj4EiN10test_utils4lessEEvPKT2_PS2_T3_: ; @_Z9sort_keysILj256ELj4ELj4EiN10test_utils4lessEEvPKT2_PS2_T3_
; %bb.0:
	s_load_dwordx4 s[8:11], s[4:5], 0x0
	s_mov_b32 s3, 0
	s_lshl_b32 s2, s6, 10
	v_lshlrev_b32_e32 v1, 4, v0
	s_lshl_b64 s[4:5], s[2:3], 2
	v_lshlrev_b32_e32 v4, 2, v0
	v_lshrrev_b32_e32 v0, 2, v0
	v_mov_b32_e32 v5, 0
	s_waitcnt lgkmcnt(0)
	s_add_u32 s0, s8, s4
	s_addc_u32 s1, s9, s5
	global_load_dwordx4 v[10:13], v1, s[0:1]
	v_mbcnt_lo_u32_b32 v1, -1, 0
	; wave barrier
	v_lshlrev_b32_e32 v2, 2, v1
	v_and_b32_e32 v6, 8, v2
	v_and_b32_e32 v1, 12, v2
	;; [unrolled: 1-line block ×3, first 2 shown]
	v_or_b32_e32 v3, 4, v6
	s_waitcnt vmcnt(0)
	v_cmp_lt_i32_e32 vcc_lo, v11, v10
	v_min_i32_e32 v7, v11, v10
	v_max_i32_e32 v8, v11, v10
	v_cmp_lt_i32_e64 s0, v13, v12
	v_min_i32_e32 v14, v13, v12
	v_max_i32_e32 v16, v13, v12
	v_cndmask_b32_e32 v2, v10, v11, vcc_lo
	v_cndmask_b32_e32 v10, v11, v10, vcc_lo
	v_cndmask_b32_e64 v15, v13, v12, s0
	v_cndmask_b32_e64 v11, v12, v13, s0
	v_cmp_lt_i32_e32 vcc_lo, v14, v8
	v_max_i32_e32 v12, v14, v8
	v_min_i32_e32 v13, v14, v8
	v_cmp_lt_i32_e64 s0, v14, v7
	v_cmp_gt_i32_e64 s1, v8, v16
	v_cndmask_b32_e32 v8, v11, v8, vcc_lo
	v_cndmask_b32_e32 v10, v10, v14, vcc_lo
	v_cndmask_b32_e64 v11, v2, v13, s0
	v_cndmask_b32_e64 v13, v13, v7, s0
	;; [unrolled: 1-line block ×4, first 2 shown]
	v_lshlrev_b32_e32 v2, 2, v1
	v_sub_nc_u32_e32 v15, v3, v6
	v_cndmask_b32_e64 v7, v10, v7, s0
	v_cndmask_b32_e64 v10, v8, v16, s1
	v_cmp_lt_i32_e32 vcc_lo, v12, v13
	v_lshlrev_b32_e32 v16, 2, v6
	v_mad_u32_u24 v2, 0x44, v0, v2
	v_min_i32_e32 v8, v9, v15
	s_mov_b32 s0, exec_lo
	v_cndmask_b32_e32 v12, v7, v12, vcc_lo
	v_mad_u32_u24 v7, 0x44, v0, v16
	v_cndmask_b32_e32 v10, v10, v13, vcc_lo
	ds_write2_b32 v2, v11, v12 offset1:1
	ds_write2_b32 v2, v10, v14 offset0:2 offset1:3
	; wave barrier
	v_cmpx_lt_i32_e32 0, v8
	s_cbranch_execz .LBB4_4
; %bb.1:
	v_lshl_add_u32 v10, v9, 2, v7
	v_mov_b32_e32 v5, 0
	.p2align	6
.LBB4_2:                                ; =>This Inner Loop Header: Depth=1
	v_sub_nc_u32_e32 v11, v8, v5
	v_lshrrev_b32_e32 v11, 1, v11
	v_add_nc_u32_e32 v11, v11, v5
	v_not_b32_e32 v12, v11
	v_lshl_add_u32 v13, v11, 2, v7
	v_add_nc_u32_e32 v14, 1, v11
	v_lshl_add_u32 v12, v12, 2, v10
	ds_read_b32 v13, v13
	ds_read_b32 v12, v12 offset:16
	s_waitcnt lgkmcnt(0)
	v_cmp_lt_i32_e32 vcc_lo, v12, v13
	v_cndmask_b32_e32 v8, v8, v11, vcc_lo
	v_cndmask_b32_e32 v5, v14, v5, vcc_lo
	v_cmp_ge_i32_e32 vcc_lo, v5, v8
	s_or_b32 s3, vcc_lo, s3
	s_andn2_b32 exec_lo, exec_lo, s3
	s_cbranch_execnz .LBB4_2
; %bb.3:
	s_or_b32 exec_lo, exec_lo, s3
.LBB4_4:
	s_or_b32 exec_lo, exec_lo, s0
	v_add_nc_u32_e32 v8, v6, v9
	v_mul_u32_u24_e32 v0, 0x44, v0
	v_lshl_add_u32 v11, v5, 2, v7
	v_add_nc_u32_e32 v10, v3, v9
	v_add_nc_u32_e32 v9, 8, v6
	v_sub_nc_u32_e32 v8, v8, v5
	v_cmp_lt_i32_e32 vcc_lo, 3, v5
	v_sub_nc_u32_e32 v12, v10, v5
                                        ; implicit-def: $vgpr10
	v_lshl_add_u32 v13, v8, 2, v0
	ds_read_b32 v7, v11
	ds_read_b32 v8, v13 offset:16
	v_cmp_gt_i32_e64 s1, v9, v12
	s_waitcnt lgkmcnt(0)
	v_cmp_lt_i32_e64 s0, v8, v7
	s_or_b32 s0, vcc_lo, s0
	s_and_b32 vcc_lo, s1, s0
	s_xor_b32 s0, vcc_lo, -1
	s_and_saveexec_b32 s1, s0
	s_xor_b32 s0, exec_lo, s1
; %bb.5:
	ds_read_b32 v10, v11 offset:4
                                        ; implicit-def: $vgpr13
; %bb.6:
	s_or_saveexec_b32 s0, s0
	v_mov_b32_e32 v11, v8
	s_xor_b32 exec_lo, exec_lo, s0
	s_cbranch_execz .LBB4_8
; %bb.7:
	ds_read_b32 v11, v13 offset:20
	s_waitcnt lgkmcnt(1)
	v_mov_b32_e32 v10, v7
.LBB4_8:
	s_or_b32 exec_lo, exec_lo, s0
	v_add_nc_u32_e32 v5, v5, v6
	v_add_nc_u32_e32 v14, 1, v12
	s_waitcnt lgkmcnt(0)
	v_cmp_lt_i32_e64 s1, v11, v10
	v_add_nc_u32_e32 v6, 1, v5
	v_cndmask_b32_e32 v12, v12, v14, vcc_lo
	v_cndmask_b32_e32 v13, v6, v5, vcc_lo
	v_cmp_lt_i32_e64 s2, v12, v9
                                        ; implicit-def: $vgpr5
	v_cmp_ge_i32_e64 s0, v13, v3
	s_or_b32 s0, s0, s1
	s_and_b32 s0, s2, s0
	s_xor_b32 s1, s0, -1
	s_and_saveexec_b32 s2, s1
	s_xor_b32 s1, exec_lo, s2
; %bb.9:
	v_lshl_add_u32 v5, v13, 2, v0
	ds_read_b32 v5, v5 offset:4
; %bb.10:
	s_or_saveexec_b32 s1, s1
	v_mov_b32_e32 v6, v11
	s_xor_b32 exec_lo, exec_lo, s1
	s_cbranch_execz .LBB4_12
; %bb.11:
	s_waitcnt lgkmcnt(0)
	v_lshl_add_u32 v5, v12, 2, v0
	ds_read_b32 v6, v5 offset:4
	v_mov_b32_e32 v5, v10
.LBB4_12:
	s_or_b32 exec_lo, exec_lo, s1
	v_add_nc_u32_e32 v14, 1, v13
	v_add_nc_u32_e32 v16, 1, v12
	s_waitcnt lgkmcnt(0)
	v_cmp_lt_i32_e64 s2, v6, v5
	v_cndmask_b32_e64 v15, v14, v13, s0
	v_cndmask_b32_e64 v14, v12, v16, s0
                                        ; implicit-def: $vgpr12
	v_cmp_ge_i32_e64 s1, v15, v3
	v_cmp_lt_i32_e64 s3, v14, v9
	s_or_b32 s1, s1, s2
	s_and_b32 s1, s3, s1
	s_xor_b32 s2, s1, -1
	s_and_saveexec_b32 s3, s2
	s_xor_b32 s2, exec_lo, s3
; %bb.13:
	v_lshl_add_u32 v12, v15, 2, v0
	ds_read_b32 v12, v12 offset:4
; %bb.14:
	s_or_saveexec_b32 s2, s2
	v_mov_b32_e32 v13, v6
	s_xor_b32 exec_lo, exec_lo, s2
	s_cbranch_execz .LBB4_16
; %bb.15:
	s_waitcnt lgkmcnt(0)
	v_lshl_add_u32 v12, v14, 2, v0
	ds_read_b32 v13, v12 offset:4
	v_mov_b32_e32 v12, v5
.LBB4_16:
	s_or_b32 exec_lo, exec_lo, s2
	v_add_nc_u32_e32 v16, 1, v15
	v_add_nc_u32_e32 v17, 1, v14
	v_cndmask_b32_e64 v5, v5, v6, s1
	v_cndmask_b32_e64 v6, v10, v11, s0
	v_cndmask_b32_e32 v8, v7, v8, vcc_lo
	v_cndmask_b32_e64 v15, v16, v15, s1
	v_cndmask_b32_e64 v14, v14, v17, s1
	s_waitcnt lgkmcnt(0)
	v_cmp_lt_i32_e64 s1, v13, v12
	v_sub_nc_u32_e64 v7, v1, 8 clamp
	v_cmp_ge_i32_e64 s2, v15, v3
	v_cmp_lt_i32_e64 s0, v14, v9
	v_min_u32_e32 v3, 8, v1
	; wave barrier
	s_or_b32 s1, s2, s1
	s_and_b32 vcc_lo, s0, s1
	s_mov_b32 s0, exec_lo
	v_cndmask_b32_e32 v9, v12, v13, vcc_lo
	ds_write2_b32 v2, v8, v6 offset1:1
	ds_write2_b32 v2, v5, v9 offset0:2 offset1:3
	; wave barrier
	v_cmpx_lt_u32_e64 v7, v3
	s_cbranch_execz .LBB4_20
; %bb.17:
	s_mov_b32 s1, 0
	.p2align	6
.LBB4_18:                               ; =>This Inner Loop Header: Depth=1
	v_sub_nc_u32_e32 v5, v3, v7
	v_lshrrev_b32_e32 v5, 1, v5
	v_add_nc_u32_e32 v5, v5, v7
	v_not_b32_e32 v6, v5
	v_lshl_add_u32 v8, v5, 2, v0
	v_add_nc_u32_e32 v9, 1, v5
	v_lshl_add_u32 v6, v6, 2, v2
	ds_read_b32 v8, v8
	ds_read_b32 v6, v6 offset:32
	s_waitcnt lgkmcnt(0)
	v_cmp_lt_i32_e32 vcc_lo, v6, v8
	v_cndmask_b32_e32 v3, v3, v5, vcc_lo
	v_cndmask_b32_e32 v7, v9, v7, vcc_lo
	v_cmp_ge_i32_e32 vcc_lo, v7, v3
	s_or_b32 s1, vcc_lo, s1
	s_andn2_b32 exec_lo, exec_lo, s1
	s_cbranch_execnz .LBB4_18
; %bb.19:
	s_or_b32 exec_lo, exec_lo, s1
.LBB4_20:
	s_or_b32 exec_lo, exec_lo, s0
	v_sub_nc_u32_e32 v1, v1, v7
	v_lshl_add_u32 v6, v7, 2, v0
	v_cmp_lt_i32_e32 vcc_lo, 7, v7
	v_lshl_add_u32 v8, v1, 2, v0
	v_add_nc_u32_e32 v2, 8, v1
                                        ; implicit-def: $vgpr1
	ds_read_b32 v3, v6
	ds_read_b32 v5, v8 offset:32
	v_cmp_gt_i32_e64 s1, 16, v2
	s_waitcnt lgkmcnt(0)
	v_cmp_lt_i32_e64 s0, v5, v3
	s_or_b32 s0, vcc_lo, s0
	s_and_b32 vcc_lo, s1, s0
	s_xor_b32 s0, vcc_lo, -1
	s_and_saveexec_b32 s1, s0
	s_xor_b32 s0, exec_lo, s1
; %bb.21:
	ds_read_b32 v1, v6 offset:4
                                        ; implicit-def: $vgpr8
; %bb.22:
	s_or_saveexec_b32 s0, s0
	v_mov_b32_e32 v6, v5
	s_xor_b32 exec_lo, exec_lo, s0
	s_cbranch_execz .LBB4_24
; %bb.23:
	ds_read_b32 v6, v8 offset:36
	s_waitcnt lgkmcnt(1)
	v_mov_b32_e32 v1, v3
.LBB4_24:
	s_or_b32 exec_lo, exec_lo, s0
	v_add_nc_u32_e32 v8, 1, v7
	v_add_nc_u32_e32 v10, 1, v2
	s_waitcnt lgkmcnt(0)
	v_cmp_lt_i32_e64 s1, v6, v1
	v_cndmask_b32_e32 v9, v8, v7, vcc_lo
	v_cndmask_b32_e32 v2, v2, v10, vcc_lo
                                        ; implicit-def: $vgpr8
	v_cmp_lt_i32_e64 s0, 7, v9
	v_cmp_gt_i32_e64 s2, 16, v2
	s_or_b32 s0, s0, s1
	s_and_b32 s0, s2, s0
	s_xor_b32 s1, s0, -1
	s_and_saveexec_b32 s2, s1
	s_xor_b32 s1, exec_lo, s2
; %bb.25:
	v_lshl_add_u32 v7, v9, 2, v0
	ds_read_b32 v8, v7 offset:4
; %bb.26:
	s_or_saveexec_b32 s1, s1
	v_mov_b32_e32 v7, v6
	s_xor_b32 exec_lo, exec_lo, s1
	s_cbranch_execz .LBB4_28
; %bb.27:
	v_lshl_add_u32 v7, v2, 2, v0
	s_waitcnt lgkmcnt(0)
	v_mov_b32_e32 v8, v1
	ds_read_b32 v7, v7 offset:4
.LBB4_28:
	s_or_b32 exec_lo, exec_lo, s1
	v_add_nc_u32_e32 v10, 1, v9
	v_add_nc_u32_e32 v12, 1, v2
	s_waitcnt lgkmcnt(0)
	v_cmp_ge_i32_e64 s2, v7, v8
	v_cndmask_b32_e64 v11, v10, v9, s0
	v_cndmask_b32_e64 v9, v2, v12, s0
                                        ; implicit-def: $vgpr10
                                        ; implicit-def: $vgpr12
	v_cmp_gt_i32_e64 s1, 8, v11
	v_cmp_lt_i32_e64 s3, 15, v9
	s_and_b32 s1, s1, s2
	s_or_b32 s1, s3, s1
	s_and_saveexec_b32 s2, s1
	s_xor_b32 s1, exec_lo, s2
; %bb.29:
	v_lshl_add_u32 v0, v11, 2, v0
	v_add_nc_u32_e32 v12, 1, v11
                                        ; implicit-def: $vgpr11
	ds_read_b32 v10, v0 offset:4
                                        ; implicit-def: $vgpr0
; %bb.30:
	s_or_saveexec_b32 s1, s1
	v_mov_b32_e32 v2, v8
	s_xor_b32 exec_lo, exec_lo, s1
	s_cbranch_execz .LBB4_32
; %bb.31:
	v_lshl_add_u32 v0, v9, 2, v0
	v_add_nc_u32_e32 v9, 1, v9
	v_mov_b32_e32 v2, v7
	v_mov_b32_e32 v12, v11
	s_waitcnt lgkmcnt(0)
	v_mov_b32_e32 v10, v8
	ds_read_b32 v0, v0 offset:4
	s_waitcnt lgkmcnt(0)
	v_mov_b32_e32 v7, v0
.LBB4_32:
	s_or_b32 exec_lo, exec_lo, s1
	v_cmp_lt_i32_e64 s1, 7, v12
	s_waitcnt lgkmcnt(0)
	v_cmp_lt_i32_e64 s2, v7, v10
	v_cmp_gt_i32_e64 s3, 16, v9
	v_cndmask_b32_e64 v1, v1, v6, s0
	v_cndmask_b32_e32 v0, v3, v5, vcc_lo
	v_lshlrev_b32_e32 v4, 2, v4
	s_or_b32 s0, s1, s2
	s_and_b32 vcc_lo, s3, s0
	s_add_u32 s0, s10, s4
	v_cndmask_b32_e32 v3, v10, v7, vcc_lo
	s_addc_u32 s1, s11, s5
	global_store_dwordx4 v4, v[0:3], s[0:1]
	s_endpgm
	.section	.rodata,"a",@progbits
	.p2align	6, 0x0
	.amdhsa_kernel _Z9sort_keysILj256ELj4ELj4EiN10test_utils4lessEEvPKT2_PS2_T3_
		.amdhsa_group_segment_fixed_size 4352
		.amdhsa_private_segment_fixed_size 0
		.amdhsa_kernarg_size 20
		.amdhsa_user_sgpr_count 6
		.amdhsa_user_sgpr_private_segment_buffer 1
		.amdhsa_user_sgpr_dispatch_ptr 0
		.amdhsa_user_sgpr_queue_ptr 0
		.amdhsa_user_sgpr_kernarg_segment_ptr 1
		.amdhsa_user_sgpr_dispatch_id 0
		.amdhsa_user_sgpr_flat_scratch_init 0
		.amdhsa_user_sgpr_private_segment_size 0
		.amdhsa_wavefront_size32 1
		.amdhsa_uses_dynamic_stack 0
		.amdhsa_system_sgpr_private_segment_wavefront_offset 0
		.amdhsa_system_sgpr_workgroup_id_x 1
		.amdhsa_system_sgpr_workgroup_id_y 0
		.amdhsa_system_sgpr_workgroup_id_z 0
		.amdhsa_system_sgpr_workgroup_info 0
		.amdhsa_system_vgpr_workitem_id 0
		.amdhsa_next_free_vgpr 18
		.amdhsa_next_free_sgpr 12
		.amdhsa_reserve_vcc 1
		.amdhsa_reserve_flat_scratch 0
		.amdhsa_float_round_mode_32 0
		.amdhsa_float_round_mode_16_64 0
		.amdhsa_float_denorm_mode_32 3
		.amdhsa_float_denorm_mode_16_64 3
		.amdhsa_dx10_clamp 1
		.amdhsa_ieee_mode 1
		.amdhsa_fp16_overflow 0
		.amdhsa_workgroup_processor_mode 1
		.amdhsa_memory_ordered 1
		.amdhsa_forward_progress 1
		.amdhsa_shared_vgpr_count 0
		.amdhsa_exception_fp_ieee_invalid_op 0
		.amdhsa_exception_fp_denorm_src 0
		.amdhsa_exception_fp_ieee_div_zero 0
		.amdhsa_exception_fp_ieee_overflow 0
		.amdhsa_exception_fp_ieee_underflow 0
		.amdhsa_exception_fp_ieee_inexact 0
		.amdhsa_exception_int_div_zero 0
	.end_amdhsa_kernel
	.section	.text._Z9sort_keysILj256ELj4ELj4EiN10test_utils4lessEEvPKT2_PS2_T3_,"axG",@progbits,_Z9sort_keysILj256ELj4ELj4EiN10test_utils4lessEEvPKT2_PS2_T3_,comdat
.Lfunc_end4:
	.size	_Z9sort_keysILj256ELj4ELj4EiN10test_utils4lessEEvPKT2_PS2_T3_, .Lfunc_end4-_Z9sort_keysILj256ELj4ELj4EiN10test_utils4lessEEvPKT2_PS2_T3_
                                        ; -- End function
	.set _Z9sort_keysILj256ELj4ELj4EiN10test_utils4lessEEvPKT2_PS2_T3_.num_vgpr, 18
	.set _Z9sort_keysILj256ELj4ELj4EiN10test_utils4lessEEvPKT2_PS2_T3_.num_agpr, 0
	.set _Z9sort_keysILj256ELj4ELj4EiN10test_utils4lessEEvPKT2_PS2_T3_.numbered_sgpr, 12
	.set _Z9sort_keysILj256ELj4ELj4EiN10test_utils4lessEEvPKT2_PS2_T3_.num_named_barrier, 0
	.set _Z9sort_keysILj256ELj4ELj4EiN10test_utils4lessEEvPKT2_PS2_T3_.private_seg_size, 0
	.set _Z9sort_keysILj256ELj4ELj4EiN10test_utils4lessEEvPKT2_PS2_T3_.uses_vcc, 1
	.set _Z9sort_keysILj256ELj4ELj4EiN10test_utils4lessEEvPKT2_PS2_T3_.uses_flat_scratch, 0
	.set _Z9sort_keysILj256ELj4ELj4EiN10test_utils4lessEEvPKT2_PS2_T3_.has_dyn_sized_stack, 0
	.set _Z9sort_keysILj256ELj4ELj4EiN10test_utils4lessEEvPKT2_PS2_T3_.has_recursion, 0
	.set _Z9sort_keysILj256ELj4ELj4EiN10test_utils4lessEEvPKT2_PS2_T3_.has_indirect_call, 0
	.section	.AMDGPU.csdata,"",@progbits
; Kernel info:
; codeLenInByte = 1532
; TotalNumSgprs: 14
; NumVgprs: 18
; ScratchSize: 0
; MemoryBound: 0
; FloatMode: 240
; IeeeMode: 1
; LDSByteSize: 4352 bytes/workgroup (compile time only)
; SGPRBlocks: 0
; VGPRBlocks: 2
; NumSGPRsForWavesPerEU: 14
; NumVGPRsForWavesPerEU: 18
; Occupancy: 16
; WaveLimiterHint : 0
; COMPUTE_PGM_RSRC2:SCRATCH_EN: 0
; COMPUTE_PGM_RSRC2:USER_SGPR: 6
; COMPUTE_PGM_RSRC2:TRAP_HANDLER: 0
; COMPUTE_PGM_RSRC2:TGID_X_EN: 1
; COMPUTE_PGM_RSRC2:TGID_Y_EN: 0
; COMPUTE_PGM_RSRC2:TGID_Z_EN: 0
; COMPUTE_PGM_RSRC2:TIDIG_COMP_CNT: 0
	.section	.text._Z10sort_pairsILj256ELj4ELj4EiN10test_utils4lessEEvPKT2_PS2_T3_,"axG",@progbits,_Z10sort_pairsILj256ELj4ELj4EiN10test_utils4lessEEvPKT2_PS2_T3_,comdat
	.protected	_Z10sort_pairsILj256ELj4ELj4EiN10test_utils4lessEEvPKT2_PS2_T3_ ; -- Begin function _Z10sort_pairsILj256ELj4ELj4EiN10test_utils4lessEEvPKT2_PS2_T3_
	.globl	_Z10sort_pairsILj256ELj4ELj4EiN10test_utils4lessEEvPKT2_PS2_T3_
	.p2align	8
	.type	_Z10sort_pairsILj256ELj4ELj4EiN10test_utils4lessEEvPKT2_PS2_T3_,@function
_Z10sort_pairsILj256ELj4ELj4EiN10test_utils4lessEEvPKT2_PS2_T3_: ; @_Z10sort_pairsILj256ELj4ELj4EiN10test_utils4lessEEvPKT2_PS2_T3_
; %bb.0:
	s_load_dwordx4 s[8:11], s[4:5], 0x0
	s_mov_b32 s7, 0
	s_lshl_b32 s6, s6, 10
	v_lshlrev_b32_e32 v1, 4, v0
	s_lshl_b64 s[12:13], s[6:7], 2
	v_mbcnt_lo_u32_b32 v7, -1, 0
	v_lshlrev_b32_e32 v5, 2, v0
	v_lshrrev_b32_e32 v6, 2, v0
	v_mov_b32_e32 v12, 0
	s_mov_b32 s6, exec_lo
	v_lshlrev_b32_e32 v0, 2, v7
	v_and_b32_e32 v16, 8, v0
	v_and_b32_e32 v7, 12, v0
	;; [unrolled: 1-line block ×3, first 2 shown]
	s_waitcnt lgkmcnt(0)
	s_add_u32 s0, s8, s12
	s_addc_u32 s1, s9, s13
	v_lshlrev_b32_e32 v0, 2, v7
	global_load_dwordx4 v[1:4], v1, s[0:1]
	; wave barrier
	v_mad_u32_u24 v0, 0x44, v6, v0
	s_waitcnt vmcnt(0)
	v_cmp_lt_i32_e32 vcc_lo, v2, v1
	v_cmp_lt_i32_e64 s0, v4, v3
	v_min_i32_e32 v8, v4, v3
	v_cndmask_b32_e32 v10, v2, v1, vcc_lo
	v_cndmask_b32_e32 v9, v1, v2, vcc_lo
	v_cndmask_b32_e64 v14, v3, v4, s0
	v_cndmask_b32_e64 v13, v4, v3, s0
	v_cmp_lt_i32_e64 s4, v8, v10
	v_min_i32_e32 v15, v8, v10
	v_cndmask_b32_e64 v14, v14, v10, s4
	v_cndmask_b32_e64 v10, v10, v8, s4
	v_cmp_lt_i32_e64 s1, v15, v9
	v_or_b32_e32 v8, 4, v16
	v_cmp_lt_i32_e64 s2, v13, v14
	v_min_i32_e32 v17, v13, v14
	v_cndmask_b32_e64 v18, v10, v9, s1
	v_cndmask_b32_e64 v15, v9, v15, s1
	v_lshlrev_b32_e32 v9, 2, v16
	v_sub_nc_u32_e32 v10, v8, v16
	v_cndmask_b32_e64 v19, v13, v14, s2
	v_cndmask_b32_e64 v13, v14, v13, s2
	v_cmp_lt_i32_e64 s3, v17, v18
	v_mad_u32_u24 v9, 0x44, v6, v9
	v_min_i32_e32 v10, v11, v10
	v_cndmask_b32_e64 v13, v13, v18, s3
	v_cndmask_b32_e64 v14, v18, v17, s3
	ds_write2_b32 v0, v13, v19 offset0:2 offset1:3
	ds_write2_b32 v0, v15, v14 offset1:1
	; wave barrier
	v_cmpx_lt_i32_e32 0, v10
	s_cbranch_execz .LBB5_4
; %bb.1:
	v_lshl_add_u32 v13, v11, 2, v9
	v_mov_b32_e32 v12, 0
	.p2align	6
.LBB5_2:                                ; =>This Inner Loop Header: Depth=1
	v_sub_nc_u32_e32 v14, v10, v12
	v_lshrrev_b32_e32 v14, 1, v14
	v_add_nc_u32_e32 v14, v14, v12
	v_not_b32_e32 v15, v14
	v_lshl_add_u32 v17, v14, 2, v9
	v_add_nc_u32_e32 v18, 1, v14
	v_lshl_add_u32 v15, v15, 2, v13
	ds_read_b32 v17, v17
	ds_read_b32 v15, v15 offset:16
	s_waitcnt lgkmcnt(0)
	v_cmp_lt_i32_e64 s5, v15, v17
	v_cndmask_b32_e64 v10, v10, v14, s5
	v_cndmask_b32_e64 v12, v18, v12, s5
	v_cmp_ge_i32_e64 s5, v12, v10
	s_or_b32 s7, s5, s7
	s_andn2_b32 exec_lo, exec_lo, s7
	s_cbranch_execnz .LBB5_2
; %bb.3:
	s_or_b32 exec_lo, exec_lo, s7
.LBB5_4:
	s_or_b32 exec_lo, exec_lo, s6
	v_add_nc_u32_e32 v10, v16, v11
	v_mul_u32_u24_e32 v6, 0x44, v6
	v_lshl_add_u32 v14, v12, 2, v9
	v_add_nc_u32_e32 v11, v8, v11
	v_add_nc_u32_e32 v13, 8, v16
	v_sub_nc_u32_e32 v10, v10, v12
	v_cmp_lt_i32_e64 s5, 3, v12
	v_sub_nc_u32_e32 v15, v11, v12
                                        ; implicit-def: $vgpr11
	v_lshl_add_u32 v17, v10, 2, v6
	ds_read_b32 v9, v14
	ds_read_b32 v10, v17 offset:16
	v_cmp_gt_i32_e64 s7, v13, v15
	s_waitcnt lgkmcnt(0)
	v_cmp_lt_i32_e64 s6, v10, v9
	s_or_b32 s5, s5, s6
	s_and_b32 s5, s7, s5
	s_xor_b32 s6, s5, -1
	s_and_saveexec_b32 s7, s6
	s_xor_b32 s6, exec_lo, s7
; %bb.5:
	ds_read_b32 v11, v14 offset:4
                                        ; implicit-def: $vgpr17
; %bb.6:
	s_or_saveexec_b32 s6, s6
	v_mov_b32_e32 v14, v10
	s_xor_b32 exec_lo, exec_lo, s6
	s_cbranch_execz .LBB5_8
; %bb.7:
	ds_read_b32 v14, v17 offset:20
	s_waitcnt lgkmcnt(1)
	v_mov_b32_e32 v11, v9
.LBB5_8:
	s_or_b32 exec_lo, exec_lo, s6
	v_add_nc_u32_e32 v17, v12, v16
	v_add_nc_u32_e32 v16, 1, v15
	s_waitcnt lgkmcnt(0)
	v_cmp_lt_i32_e64 s7, v14, v11
	v_add_nc_u32_e32 v12, 1, v17
	v_cndmask_b32_e64 v19, v15, v16, s5
	v_cndmask_b32_e64 v18, v12, v17, s5
	v_cmp_lt_i32_e64 s8, v19, v13
                                        ; implicit-def: $vgpr12
	v_cmp_ge_i32_e64 s6, v18, v8
	s_or_b32 s6, s6, s7
	s_and_b32 s6, s8, s6
	s_xor_b32 s7, s6, -1
	s_and_saveexec_b32 s8, s7
	s_xor_b32 s7, exec_lo, s8
; %bb.9:
	v_lshl_add_u32 v12, v18, 2, v6
	ds_read_b32 v12, v12 offset:4
; %bb.10:
	s_or_saveexec_b32 s7, s7
	v_mov_b32_e32 v16, v14
	s_xor_b32 exec_lo, exec_lo, s7
	s_cbranch_execz .LBB5_12
; %bb.11:
	s_waitcnt lgkmcnt(0)
	v_lshl_add_u32 v12, v19, 2, v6
	ds_read_b32 v16, v12 offset:4
	v_mov_b32_e32 v12, v11
.LBB5_12:
	s_or_b32 exec_lo, exec_lo, s7
	v_add_nc_u32_e32 v20, 1, v18
	v_add_nc_u32_e32 v22, 1, v19
	s_waitcnt lgkmcnt(0)
	v_cmp_lt_i32_e64 s8, v16, v12
	v_cndmask_b32_e64 v21, v20, v18, s6
	v_cndmask_b32_e64 v22, v19, v22, s6
                                        ; implicit-def: $vgpr20
	v_cmp_ge_i32_e64 s7, v21, v8
	v_cmp_lt_i32_e64 s9, v22, v13
	s_or_b32 s7, s7, s8
	s_and_b32 s7, s9, s7
	s_xor_b32 s8, s7, -1
	s_and_saveexec_b32 s9, s8
	s_xor_b32 s8, exec_lo, s9
; %bb.13:
	v_lshl_add_u32 v20, v21, 2, v6
	ds_read_b32 v20, v20 offset:4
; %bb.14:
	s_or_saveexec_b32 s8, s8
	v_mov_b32_e32 v23, v16
	s_xor_b32 exec_lo, exec_lo, s8
	s_cbranch_execz .LBB5_16
; %bb.15:
	s_waitcnt lgkmcnt(0)
	v_lshl_add_u32 v20, v22, 2, v6
	ds_read_b32 v23, v20 offset:4
	v_mov_b32_e32 v20, v12
.LBB5_16:
	s_or_b32 exec_lo, exec_lo, s8
	v_add_nc_u32_e32 v1, 1, v1
	v_add_nc_u32_e32 v2, 1, v2
	;; [unrolled: 1-line block ×6, first 2 shown]
	v_cndmask_b32_e32 v26, v2, v1, vcc_lo
	v_cndmask_b32_e32 v1, v1, v2, vcc_lo
	v_cndmask_b32_e64 v27, v3, v4, s0
	v_cndmask_b32_e64 v25, v25, v21, s7
	;; [unrolled: 1-line block ×4, first 2 shown]
	s_waitcnt lgkmcnt(0)
	v_cmp_lt_i32_e64 s0, v23, v20
	v_cndmask_b32_e64 v3, v26, v27, s4
	v_cndmask_b32_e64 v4, v27, v26, s4
	v_cmp_ge_i32_e32 vcc_lo, v25, v8
	v_cndmask_b32_e64 v18, v18, v19, s6
	v_cndmask_b32_e64 v15, v17, v15, s5
	;; [unrolled: 1-line block ×5, first 2 shown]
	v_cmp_lt_i32_e64 s1, v24, v13
	s_or_b32 s0, vcc_lo, s0
	v_cndmask_b32_e64 v2, v2, v4, s2
	v_cndmask_b32_e64 v4, v17, v19, s3
	;; [unrolled: 1-line block ×3, first 2 shown]
	s_and_b32 vcc_lo, s1, s0
	v_cndmask_b32_e64 v21, v21, v22, s7
	v_cndmask_b32_e32 v8, v25, v24, vcc_lo
	; wave barrier
	ds_write2_b32 v0, v1, v4 offset1:1
	ds_write2_b32 v0, v3, v2 offset0:2 offset1:3
	v_lshl_add_u32 v1, v15, 2, v6
	v_lshl_add_u32 v2, v18, 2, v6
	;; [unrolled: 1-line block ×4, first 2 shown]
	; wave barrier
	ds_read_b32 v1, v1
	ds_read_b32 v2, v2
	;; [unrolled: 1-line block ×4, first 2 shown]
	v_cndmask_b32_e64 v14, v11, v14, s6
	v_sub_nc_u32_e64 v8, v7, 8 clamp
	v_min_u32_e32 v11, 8, v7
	v_cndmask_b32_e64 v9, v9, v10, s5
	v_cndmask_b32_e32 v13, v20, v23, vcc_lo
	v_cndmask_b32_e64 v10, v12, v16, s7
	s_mov_b32 s0, exec_lo
	; wave barrier
	ds_write2_b32 v0, v9, v14 offset1:1
	ds_write2_b32 v0, v10, v13 offset0:2 offset1:3
	; wave barrier
	v_cmpx_lt_u32_e64 v8, v11
	s_cbranch_execz .LBB5_20
; %bb.17:
	s_mov_b32 s1, 0
	.p2align	6
.LBB5_18:                               ; =>This Inner Loop Header: Depth=1
	v_sub_nc_u32_e32 v9, v11, v8
	v_lshrrev_b32_e32 v9, 1, v9
	v_add_nc_u32_e32 v9, v9, v8
	v_not_b32_e32 v10, v9
	v_lshl_add_u32 v12, v9, 2, v6
	v_add_nc_u32_e32 v13, 1, v9
	v_lshl_add_u32 v10, v10, 2, v0
	ds_read_b32 v12, v12
	ds_read_b32 v10, v10 offset:32
	s_waitcnt lgkmcnt(0)
	v_cmp_lt_i32_e32 vcc_lo, v10, v12
	v_cndmask_b32_e32 v11, v11, v9, vcc_lo
	v_cndmask_b32_e32 v8, v13, v8, vcc_lo
	v_cmp_ge_i32_e32 vcc_lo, v8, v11
	s_or_b32 s1, vcc_lo, s1
	s_andn2_b32 exec_lo, exec_lo, s1
	s_cbranch_execnz .LBB5_18
; %bb.19:
	s_or_b32 exec_lo, exec_lo, s1
.LBB5_20:
	s_or_b32 exec_lo, exec_lo, s0
	v_sub_nc_u32_e32 v10, v7, v8
	v_lshl_add_u32 v11, v8, 2, v6
	v_cmp_lt_i32_e32 vcc_lo, 7, v8
	v_lshl_add_u32 v13, v10, 2, v6
	v_add_nc_u32_e32 v12, 8, v10
                                        ; implicit-def: $vgpr10
	ds_read_b32 v7, v11
	ds_read_b32 v9, v13 offset:32
	v_cmp_gt_i32_e64 s1, 16, v12
	s_waitcnt lgkmcnt(0)
	v_cmp_lt_i32_e64 s0, v9, v7
	s_or_b32 s0, vcc_lo, s0
	s_and_b32 vcc_lo, s1, s0
	s_xor_b32 s0, vcc_lo, -1
	s_and_saveexec_b32 s1, s0
	s_xor_b32 s0, exec_lo, s1
; %bb.21:
	ds_read_b32 v10, v11 offset:4
                                        ; implicit-def: $vgpr13
; %bb.22:
	s_or_saveexec_b32 s0, s0
	v_mov_b32_e32 v11, v9
	s_xor_b32 exec_lo, exec_lo, s0
	s_cbranch_execz .LBB5_24
; %bb.23:
	ds_read_b32 v11, v13 offset:36
	s_waitcnt lgkmcnt(1)
	v_mov_b32_e32 v10, v7
.LBB5_24:
	s_or_b32 exec_lo, exec_lo, s0
	v_add_nc_u32_e32 v13, 1, v8
	v_add_nc_u32_e32 v14, 1, v12
	s_waitcnt lgkmcnt(0)
	v_cmp_lt_i32_e64 s1, v11, v10
                                        ; implicit-def: $vgpr16
	v_cndmask_b32_e32 v13, v13, v8, vcc_lo
	v_cndmask_b32_e32 v14, v12, v14, vcc_lo
	v_cmp_lt_i32_e64 s0, 7, v13
	v_cmp_gt_i32_e64 s2, 16, v14
	s_or_b32 s0, s0, s1
	s_and_b32 s0, s2, s0
	s_xor_b32 s1, s0, -1
	s_and_saveexec_b32 s2, s1
	s_xor_b32 s1, exec_lo, s2
; %bb.25:
	v_lshl_add_u32 v15, v13, 2, v6
	ds_read_b32 v16, v15 offset:4
; %bb.26:
	s_or_saveexec_b32 s1, s1
	v_mov_b32_e32 v15, v11
	s_xor_b32 exec_lo, exec_lo, s1
	s_cbranch_execz .LBB5_28
; %bb.27:
	v_lshl_add_u32 v15, v14, 2, v6
	s_waitcnt lgkmcnt(0)
	v_mov_b32_e32 v16, v10
	ds_read_b32 v15, v15 offset:4
.LBB5_28:
	s_or_b32 exec_lo, exec_lo, s1
	v_add_nc_u32_e32 v17, 1, v13
	v_add_nc_u32_e32 v18, 1, v14
	s_waitcnt lgkmcnt(0)
	v_cmp_ge_i32_e64 s2, v15, v16
                                        ; implicit-def: $vgpr20
                                        ; implicit-def: $vgpr19
	v_cndmask_b32_e64 v22, v17, v13, s0
	v_cndmask_b32_e64 v17, v14, v18, s0
	v_cmp_gt_i32_e64 s1, 8, v22
	v_cmp_lt_i32_e64 s3, 15, v17
	s_and_b32 s1, s1, s2
	s_or_b32 s1, s3, s1
	s_and_saveexec_b32 s2, s1
	s_xor_b32 s1, exec_lo, s2
; %bb.29:
	v_lshl_add_u32 v18, v22, 2, v6
	v_add_nc_u32_e32 v19, 1, v22
	ds_read_b32 v20, v18 offset:4
; %bb.30:
	s_or_saveexec_b32 s1, s1
	v_mov_b32_e32 v18, v16
	v_mov_b32_e32 v21, v22
	s_xor_b32 exec_lo, exec_lo, s1
	s_cbranch_execz .LBB5_32
; %bb.31:
	v_lshl_add_u32 v18, v17, 2, v6
	s_waitcnt lgkmcnt(0)
	v_add_nc_u32_e32 v20, 1, v17
	v_mov_b32_e32 v21, v17
	v_mov_b32_e32 v19, v22
	ds_read_b32 v23, v18 offset:4
	v_mov_b32_e32 v18, v15
	v_mov_b32_e32 v17, v20
	;; [unrolled: 1-line block ×3, first 2 shown]
	s_waitcnt lgkmcnt(0)
	v_mov_b32_e32 v15, v23
.LBB5_32:
	s_or_b32 exec_lo, exec_lo, s1
	v_cmp_lt_i32_e64 s1, 7, v19
	s_waitcnt lgkmcnt(0)
	v_cmp_lt_i32_e64 s2, v15, v20
	v_cmp_gt_i32_e64 s3, 16, v17
	v_cndmask_b32_e32 v8, v8, v12, vcc_lo
	v_cndmask_b32_e64 v13, v13, v14, s0
	s_or_b32 s1, s1, s2
	; wave barrier
	s_and_b32 s1, s3, s1
	ds_write2_b32 v0, v1, v2 offset1:1
	ds_write2_b32 v0, v3, v4 offset0:2 offset1:3
	v_cndmask_b32_e64 v14, v19, v17, s1
	v_lshl_add_u32 v0, v8, 2, v6
	v_lshl_add_u32 v1, v13, 2, v6
	;; [unrolled: 1-line block ×4, first 2 shown]
	; wave barrier
	ds_read_b32 v0, v0
	ds_read_b32 v1, v1
	;; [unrolled: 1-line block ×4, first 2 shown]
	v_cndmask_b32_e64 v12, v20, v15, s1
	v_cndmask_b32_e32 v4, v7, v9, vcc_lo
	v_cndmask_b32_e64 v6, v10, v11, s0
	s_add_u32 s0, s10, s12
	s_addc_u32 s1, s11, s13
	s_waitcnt lgkmcnt(3)
	v_add_nc_u32_e32 v0, v0, v4
	s_waitcnt lgkmcnt(2)
	v_add_nc_u32_e32 v1, v1, v6
	;; [unrolled: 2-line block ×4, first 2 shown]
	v_lshlrev_b32_e32 v4, 2, v5
	global_store_dwordx4 v4, v[0:3], s[0:1]
	s_endpgm
	.section	.rodata,"a",@progbits
	.p2align	6, 0x0
	.amdhsa_kernel _Z10sort_pairsILj256ELj4ELj4EiN10test_utils4lessEEvPKT2_PS2_T3_
		.amdhsa_group_segment_fixed_size 4352
		.amdhsa_private_segment_fixed_size 0
		.amdhsa_kernarg_size 20
		.amdhsa_user_sgpr_count 6
		.amdhsa_user_sgpr_private_segment_buffer 1
		.amdhsa_user_sgpr_dispatch_ptr 0
		.amdhsa_user_sgpr_queue_ptr 0
		.amdhsa_user_sgpr_kernarg_segment_ptr 1
		.amdhsa_user_sgpr_dispatch_id 0
		.amdhsa_user_sgpr_flat_scratch_init 0
		.amdhsa_user_sgpr_private_segment_size 0
		.amdhsa_wavefront_size32 1
		.amdhsa_uses_dynamic_stack 0
		.amdhsa_system_sgpr_private_segment_wavefront_offset 0
		.amdhsa_system_sgpr_workgroup_id_x 1
		.amdhsa_system_sgpr_workgroup_id_y 0
		.amdhsa_system_sgpr_workgroup_id_z 0
		.amdhsa_system_sgpr_workgroup_info 0
		.amdhsa_system_vgpr_workitem_id 0
		.amdhsa_next_free_vgpr 28
		.amdhsa_next_free_sgpr 14
		.amdhsa_reserve_vcc 1
		.amdhsa_reserve_flat_scratch 0
		.amdhsa_float_round_mode_32 0
		.amdhsa_float_round_mode_16_64 0
		.amdhsa_float_denorm_mode_32 3
		.amdhsa_float_denorm_mode_16_64 3
		.amdhsa_dx10_clamp 1
		.amdhsa_ieee_mode 1
		.amdhsa_fp16_overflow 0
		.amdhsa_workgroup_processor_mode 1
		.amdhsa_memory_ordered 1
		.amdhsa_forward_progress 1
		.amdhsa_shared_vgpr_count 0
		.amdhsa_exception_fp_ieee_invalid_op 0
		.amdhsa_exception_fp_denorm_src 0
		.amdhsa_exception_fp_ieee_div_zero 0
		.amdhsa_exception_fp_ieee_overflow 0
		.amdhsa_exception_fp_ieee_underflow 0
		.amdhsa_exception_fp_ieee_inexact 0
		.amdhsa_exception_int_div_zero 0
	.end_amdhsa_kernel
	.section	.text._Z10sort_pairsILj256ELj4ELj4EiN10test_utils4lessEEvPKT2_PS2_T3_,"axG",@progbits,_Z10sort_pairsILj256ELj4ELj4EiN10test_utils4lessEEvPKT2_PS2_T3_,comdat
.Lfunc_end5:
	.size	_Z10sort_pairsILj256ELj4ELj4EiN10test_utils4lessEEvPKT2_PS2_T3_, .Lfunc_end5-_Z10sort_pairsILj256ELj4ELj4EiN10test_utils4lessEEvPKT2_PS2_T3_
                                        ; -- End function
	.set _Z10sort_pairsILj256ELj4ELj4EiN10test_utils4lessEEvPKT2_PS2_T3_.num_vgpr, 28
	.set _Z10sort_pairsILj256ELj4ELj4EiN10test_utils4lessEEvPKT2_PS2_T3_.num_agpr, 0
	.set _Z10sort_pairsILj256ELj4ELj4EiN10test_utils4lessEEvPKT2_PS2_T3_.numbered_sgpr, 14
	.set _Z10sort_pairsILj256ELj4ELj4EiN10test_utils4lessEEvPKT2_PS2_T3_.num_named_barrier, 0
	.set _Z10sort_pairsILj256ELj4ELj4EiN10test_utils4lessEEvPKT2_PS2_T3_.private_seg_size, 0
	.set _Z10sort_pairsILj256ELj4ELj4EiN10test_utils4lessEEvPKT2_PS2_T3_.uses_vcc, 1
	.set _Z10sort_pairsILj256ELj4ELj4EiN10test_utils4lessEEvPKT2_PS2_T3_.uses_flat_scratch, 0
	.set _Z10sort_pairsILj256ELj4ELj4EiN10test_utils4lessEEvPKT2_PS2_T3_.has_dyn_sized_stack, 0
	.set _Z10sort_pairsILj256ELj4ELj4EiN10test_utils4lessEEvPKT2_PS2_T3_.has_recursion, 0
	.set _Z10sort_pairsILj256ELj4ELj4EiN10test_utils4lessEEvPKT2_PS2_T3_.has_indirect_call, 0
	.section	.AMDGPU.csdata,"",@progbits
; Kernel info:
; codeLenInByte = 1936
; TotalNumSgprs: 16
; NumVgprs: 28
; ScratchSize: 0
; MemoryBound: 0
; FloatMode: 240
; IeeeMode: 1
; LDSByteSize: 4352 bytes/workgroup (compile time only)
; SGPRBlocks: 0
; VGPRBlocks: 3
; NumSGPRsForWavesPerEU: 16
; NumVGPRsForWavesPerEU: 28
; Occupancy: 16
; WaveLimiterHint : 0
; COMPUTE_PGM_RSRC2:SCRATCH_EN: 0
; COMPUTE_PGM_RSRC2:USER_SGPR: 6
; COMPUTE_PGM_RSRC2:TRAP_HANDLER: 0
; COMPUTE_PGM_RSRC2:TGID_X_EN: 1
; COMPUTE_PGM_RSRC2:TGID_Y_EN: 0
; COMPUTE_PGM_RSRC2:TGID_Z_EN: 0
; COMPUTE_PGM_RSRC2:TIDIG_COMP_CNT: 0
	.section	.text._Z19sort_keys_segmentedILj256ELj4ELj4EiN10test_utils4lessEEvPKT2_PS2_PKjT3_,"axG",@progbits,_Z19sort_keys_segmentedILj256ELj4ELj4EiN10test_utils4lessEEvPKT2_PS2_PKjT3_,comdat
	.protected	_Z19sort_keys_segmentedILj256ELj4ELj4EiN10test_utils4lessEEvPKT2_PS2_PKjT3_ ; -- Begin function _Z19sort_keys_segmentedILj256ELj4ELj4EiN10test_utils4lessEEvPKT2_PS2_PKjT3_
	.globl	_Z19sort_keys_segmentedILj256ELj4ELj4EiN10test_utils4lessEEvPKT2_PS2_PKjT3_
	.p2align	8
	.type	_Z19sort_keys_segmentedILj256ELj4ELj4EiN10test_utils4lessEEvPKT2_PS2_PKjT3_,@function
_Z19sort_keys_segmentedILj256ELj4ELj4EiN10test_utils4lessEEvPKT2_PS2_PKjT3_: ; @_Z19sort_keys_segmentedILj256ELj4ELj4EiN10test_utils4lessEEvPKT2_PS2_PKjT3_
; %bb.0:
	s_clause 0x1
	s_load_dwordx2 s[0:1], s[4:5], 0x10
	s_load_dwordx4 s[8:11], s[4:5], 0x0
	v_lshrrev_b32_e32 v9, 2, v0
	v_mov_b32_e32 v2, 0
	v_mbcnt_lo_u32_b32 v0, -1, 0
	v_lshl_or_b32 v1, s6, 6, v9
	v_mov_b32_e32 v12, v2
	v_lshlrev_b32_e32 v8, 2, v0
	v_mov_b32_e32 v14, v2
	v_mov_b32_e32 v13, v2
	v_lshlrev_b64 v[3:4], 2, v[1:2]
	v_lshlrev_b32_e32 v1, 4, v1
	v_and_b32_e32 v7, 12, v8
	v_lshlrev_b64 v[0:1], 2, v[1:2]
	v_lshlrev_b32_e32 v5, 2, v7
	s_waitcnt lgkmcnt(0)
	v_add_co_u32 v3, vcc_lo, s0, v3
	v_add_co_ci_u32_e64 v4, null, s1, v4, vcc_lo
	global_load_dword v6, v[3:4], off
	v_add_co_u32 v3, vcc_lo, s8, v0
	v_add_co_ci_u32_e64 v4, null, s9, v1, vcc_lo
	v_add_co_u32 v3, vcc_lo, v3, v5
	v_add_co_ci_u32_e64 v4, null, 0, v4, vcc_lo
	s_waitcnt vmcnt(0)
	v_cmp_lt_u32_e32 vcc_lo, v7, v6
	s_and_saveexec_b32 s0, vcc_lo
	s_cbranch_execz .LBB6_2
; %bb.1:
	global_load_dword v12, v[3:4], off
	v_mov_b32_e32 v14, v2
	v_mov_b32_e32 v13, v2
.LBB6_2:
	s_or_b32 exec_lo, exec_lo, s0
	v_or_b32_e32 v10, 1, v7
	v_cmp_lt_u32_e64 s0, v10, v6
	s_and_saveexec_b32 s1, s0
	s_cbranch_execz .LBB6_4
; %bb.3:
	global_load_dword v2, v[3:4], off offset:4
.LBB6_4:
	s_or_b32 exec_lo, exec_lo, s1
	v_or_b32_e32 v11, 2, v7
	v_cmp_lt_u32_e64 s1, v11, v6
	s_and_saveexec_b32 s2, s1
	s_cbranch_execz .LBB6_6
; %bb.5:
	global_load_dword v14, v[3:4], off offset:8
.LBB6_6:
	;; [unrolled: 8-line block ×3, first 2 shown]
	s_or_b32 exec_lo, exec_lo, s3
	v_cmp_lt_i32_e64 s3, v10, v6
	v_cmp_lt_i32_e64 s4, v11, v6
	;; [unrolled: 1-line block ×3, first 2 shown]
	s_brev_b32 s6, -2
	s_or_b32 s3, s4, s3
	s_waitcnt vmcnt(0)
	v_cndmask_b32_e64 v14, 0x7fffffff, v14, s4
	v_cndmask_b32_e64 v2, 0x7fffffff, v2, s3
	s_mov_b32 s4, exec_lo
	v_cmpx_ge_i32_e64 v15, v6
; %bb.9:
	v_cmp_lt_i32_e64 s3, v7, v6
	v_mov_b32_e32 v13, s6
	s_andn2_b32 s5, s5, exec_lo
	s_and_b32 s3, s3, exec_lo
	s_or_b32 s5, s5, s3
; %bb.10:
	s_or_b32 exec_lo, exec_lo, s4
	s_and_saveexec_b32 s6, s5
	s_cbranch_execz .LBB6_14
; %bb.11:
	v_cmp_lt_i32_e64 s3, v13, v14
	v_cmp_lt_i32_e64 s4, v2, v12
	v_max_i32_e32 v4, v2, v12
	v_min_i32_e32 v11, v13, v14
	v_cndmask_b32_e64 v10, v13, v14, s3
	v_cndmask_b32_e64 v3, v12, v2, s4
	;; [unrolled: 1-line block ×4, first 2 shown]
	v_min_i32_e32 v2, v2, v12
	v_max_i32_e32 v14, v13, v14
	v_cmp_lt_i32_e64 s3, v11, v4
	v_min_i32_e32 v13, v11, v4
	v_max_i32_e32 v17, v11, v4
	v_cmp_lt_i32_e64 s4, v11, v2
	v_cmp_gt_i32_e64 s5, v4, v14
	v_cndmask_b32_e64 v15, v15, v4, s3
	v_cndmask_b32_e64 v11, v16, v11, s3
	;; [unrolled: 1-line block ×8, first 2 shown]
	s_mov_b32 s4, exec_lo
	v_cmpx_lt_i32_e64 v4, v3
; %bb.12:
	v_mov_b32_e32 v2, v4
	v_mov_b32_e32 v14, v3
; %bb.13:
	s_or_b32 exec_lo, exec_lo, s4
.LBB6_14:
	s_or_b32 exec_lo, exec_lo, s6
	v_and_b32_e32 v3, 8, v8
	v_and_b32_e32 v8, 4, v8
	; wave barrier
	s_mov_b32 s5, 0
	v_min_i32_e32 v4, v6, v3
	v_min_i32_e32 v15, v6, v8
	v_mad_u32_u24 v8, 0x44, v9, v5
	s_mov_b32 s4, exec_lo
	v_add_nc_u32_e32 v3, 4, v4
	v_lshlrev_b32_e32 v19, 2, v4
	ds_write2_b32 v8, v12, v2 offset1:1
	ds_write2_b32 v8, v14, v13 offset0:2 offset1:3
	v_min_i32_e32 v11, v6, v3
	v_mad_u32_u24 v2, 0x44, v9, v19
	; wave barrier
	v_add_nc_u32_e32 v3, 4, v11
	v_sub_nc_u32_e32 v18, v11, v4
	v_min_i32_e32 v10, v6, v3
	v_mul_u32_u24_e32 v3, 0x44, v9
	v_sub_nc_u32_e32 v16, v10, v11
	v_sub_nc_u32_e32 v17, v15, v16
	v_cmp_ge_i32_e64 s3, v15, v16
	v_cndmask_b32_e64 v16, 0, v17, s3
	v_min_i32_e32 v17, v15, v18
	v_cmpx_lt_i32_e64 v16, v17
	s_cbranch_execz .LBB6_18
; %bb.15:
	v_lshlrev_b32_e32 v9, 2, v11
	v_lshlrev_b32_e32 v12, 2, v15
	v_add3_u32 v9, v3, v9, v12
	.p2align	6
.LBB6_16:                               ; =>This Inner Loop Header: Depth=1
	v_sub_nc_u32_e32 v12, v17, v16
	v_lshrrev_b32_e32 v12, 1, v12
	v_add_nc_u32_e32 v12, v12, v16
	v_not_b32_e32 v13, v12
	v_lshl_add_u32 v14, v12, 2, v2
	v_add_nc_u32_e32 v18, 1, v12
	v_lshl_add_u32 v13, v13, 2, v9
	ds_read_b32 v14, v14
	ds_read_b32 v13, v13
	s_waitcnt lgkmcnt(0)
	v_cmp_lt_i32_e64 s3, v13, v14
	v_cndmask_b32_e64 v17, v17, v12, s3
	v_cndmask_b32_e64 v16, v18, v16, s3
	v_cmp_ge_i32_e64 s3, v16, v17
	s_or_b32 s5, s3, s5
	s_andn2_b32 exec_lo, exec_lo, s5
	s_cbranch_execnz .LBB6_16
; %bb.17:
	s_or_b32 exec_lo, exec_lo, s5
.LBB6_18:
	s_or_b32 exec_lo, exec_lo, s4
	v_add_nc_u32_e32 v9, v11, v15
	v_lshl_add_u32 v14, v16, 2, v2
	v_add_nc_u32_e32 v2, v16, v4
                                        ; implicit-def: $vgpr13
	v_sub_nc_u32_e32 v15, v9, v16
	v_cmp_le_i32_e64 s3, v11, v2
	v_lshl_add_u32 v17, v15, 2, v3
	v_cmp_gt_i32_e64 s5, v10, v15
	ds_read_b32 v9, v14
	ds_read_b32 v12, v17
	s_waitcnt lgkmcnt(0)
	v_cmp_lt_i32_e64 s4, v12, v9
	s_or_b32 s3, s3, s4
	s_and_b32 s3, s5, s3
	s_xor_b32 s4, s3, -1
	s_and_saveexec_b32 s5, s4
	s_xor_b32 s4, exec_lo, s5
; %bb.19:
	ds_read_b32 v13, v14 offset:4
                                        ; implicit-def: $vgpr17
; %bb.20:
	s_or_saveexec_b32 s4, s4
	v_mov_b32_e32 v14, v12
	s_xor_b32 exec_lo, exec_lo, s4
	s_cbranch_execz .LBB6_22
; %bb.21:
	ds_read_b32 v14, v17 offset:4
	s_waitcnt lgkmcnt(1)
	v_mov_b32_e32 v13, v9
.LBB6_22:
	s_or_b32 exec_lo, exec_lo, s4
	v_add_nc_u32_e32 v4, 1, v2
	v_add_nc_u32_e32 v16, 1, v15
	s_waitcnt lgkmcnt(0)
	v_cmp_lt_i32_e64 s5, v14, v13
	v_cndmask_b32_e64 v17, v4, v2, s3
	v_cndmask_b32_e64 v2, v15, v16, s3
                                        ; implicit-def: $vgpr4
	v_cmp_ge_i32_e64 s4, v17, v11
	v_cmp_lt_i32_e64 s6, v2, v10
	s_or_b32 s4, s4, s5
	s_and_b32 s4, s6, s4
	s_xor_b32 s5, s4, -1
	s_and_saveexec_b32 s6, s5
	s_xor_b32 s5, exec_lo, s6
; %bb.23:
	v_lshl_add_u32 v4, v17, 2, v3
	ds_read_b32 v4, v4 offset:4
; %bb.24:
	s_or_saveexec_b32 s5, s5
	v_mov_b32_e32 v16, v14
	s_xor_b32 exec_lo, exec_lo, s5
	s_cbranch_execz .LBB6_26
; %bb.25:
	s_waitcnt lgkmcnt(0)
	v_lshl_add_u32 v4, v2, 2, v3
	ds_read_b32 v16, v4 offset:4
	v_mov_b32_e32 v4, v13
.LBB6_26:
	s_or_b32 exec_lo, exec_lo, s5
	v_add_nc_u32_e32 v15, 1, v17
	v_add_nc_u32_e32 v18, 1, v2
	s_waitcnt lgkmcnt(0)
	v_cmp_lt_i32_e64 s6, v16, v4
	v_cndmask_b32_e64 v19, v15, v17, s4
	v_cndmask_b32_e64 v17, v2, v18, s4
                                        ; implicit-def: $vgpr18
	v_cmp_ge_i32_e64 s5, v19, v11
	v_cmp_lt_i32_e64 s7, v17, v10
	s_or_b32 s5, s5, s6
	s_and_b32 s5, s7, s5
	s_xor_b32 s6, s5, -1
	s_and_saveexec_b32 s7, s6
	s_xor_b32 s6, exec_lo, s7
; %bb.27:
	v_lshl_add_u32 v2, v19, 2, v3
	ds_read_b32 v18, v2 offset:4
; %bb.28:
	s_or_saveexec_b32 s6, s6
	v_mov_b32_e32 v20, v16
	s_xor_b32 exec_lo, exec_lo, s6
	s_cbranch_execz .LBB6_30
; %bb.29:
	v_lshl_add_u32 v2, v17, 2, v3
	s_waitcnt lgkmcnt(0)
	v_mov_b32_e32 v18, v4
	ds_read_b32 v20, v2 offset:4
.LBB6_30:
	s_or_b32 exec_lo, exec_lo, s6
	v_min_i32_e32 v15, 0, v6
	v_add_nc_u32_e32 v21, 1, v19
	v_add_nc_u32_e32 v23, 1, v17
	v_cndmask_b32_e64 v16, v4, v16, s5
	s_waitcnt lgkmcnt(0)
	v_cmp_lt_i32_e64 s6, v20, v18
	v_add_nc_u32_e32 v2, 8, v15
	v_cndmask_b32_e64 v19, v21, v19, s5
	v_cndmask_b32_e64 v17, v17, v23, s5
	;; [unrolled: 1-line block ×3, first 2 shown]
	v_min_i32_e32 v2, v6, v2
	v_cmp_ge_i32_e64 s5, v19, v11
	v_cndmask_b32_e64 v11, v13, v14, s4
	v_cmp_lt_i32_e64 s4, v17, v10
	; wave barrier
	v_add_nc_u32_e32 v22, 8, v2
	s_or_b32 s3, s5, s6
	v_sub_nc_u32_e32 v10, v2, v15
	s_and_b32 s3, s4, s3
	s_mov_b32 s5, 0
	v_min_i32_e32 v4, v6, v22
	v_min_i32_e32 v6, v6, v7
	v_cndmask_b32_e64 v13, v18, v20, s3
	s_mov_b32 s4, exec_lo
	ds_write2_b32 v8, v12, v11 offset1:1
	v_sub_nc_u32_e32 v7, v4, v2
	v_min_i32_e32 v10, v6, v10
	ds_write2_b32 v8, v16, v13 offset0:2 offset1:3
	; wave barrier
	v_sub_nc_u32_e32 v9, v6, v7
	v_cmp_ge_i32_e64 s3, v6, v7
	v_lshl_add_u32 v7, v15, 2, v3
	v_cndmask_b32_e64 v9, 0, v9, s3
	v_cmpx_lt_i32_e64 v9, v10
	s_cbranch_execz .LBB6_34
; %bb.31:
	v_lshlrev_b32_e32 v8, 2, v2
	v_lshlrev_b32_e32 v11, 2, v6
	v_add3_u32 v8, v3, v8, v11
	.p2align	6
.LBB6_32:                               ; =>This Inner Loop Header: Depth=1
	v_sub_nc_u32_e32 v11, v10, v9
	v_lshrrev_b32_e32 v11, 1, v11
	v_add_nc_u32_e32 v11, v11, v9
	v_not_b32_e32 v12, v11
	v_lshl_add_u32 v13, v11, 2, v7
	v_add_nc_u32_e32 v14, 1, v11
	v_lshl_add_u32 v12, v12, 2, v8
	ds_read_b32 v13, v13
	ds_read_b32 v12, v12
	s_waitcnt lgkmcnt(0)
	v_cmp_lt_i32_e64 s3, v12, v13
	v_cndmask_b32_e64 v10, v10, v11, s3
	v_cndmask_b32_e64 v9, v14, v9, s3
	v_cmp_ge_i32_e64 s3, v9, v10
	s_or_b32 s5, s3, s5
	s_andn2_b32 exec_lo, exec_lo, s5
	s_cbranch_execnz .LBB6_32
; %bb.33:
	s_or_b32 exec_lo, exec_lo, s5
.LBB6_34:
	s_or_b32 exec_lo, exec_lo, s4
	v_add_nc_u32_e32 v6, v2, v6
	v_lshl_add_u32 v13, v9, 2, v7
	v_add_nc_u32_e32 v11, v9, v15
                                        ; implicit-def: $vgpr8
	v_sub_nc_u32_e32 v10, v6, v9
	v_cmp_le_i32_e64 s3, v2, v11
	v_lshl_add_u32 v12, v10, 2, v3
	v_cmp_gt_i32_e64 s5, v4, v10
	ds_read_b32 v6, v13
	ds_read_b32 v7, v12
	s_waitcnt lgkmcnt(0)
	v_cmp_lt_i32_e64 s4, v7, v6
	s_or_b32 s3, s3, s4
	s_and_b32 s3, s5, s3
	s_xor_b32 s4, s3, -1
	s_and_saveexec_b32 s5, s4
	s_xor_b32 s4, exec_lo, s5
; %bb.35:
	ds_read_b32 v8, v13 offset:4
                                        ; implicit-def: $vgpr12
; %bb.36:
	s_or_saveexec_b32 s4, s4
	v_mov_b32_e32 v9, v7
	s_xor_b32 exec_lo, exec_lo, s4
	s_cbranch_execz .LBB6_38
; %bb.37:
	ds_read_b32 v9, v12 offset:4
	s_waitcnt lgkmcnt(1)
	v_mov_b32_e32 v8, v6
.LBB6_38:
	s_or_b32 exec_lo, exec_lo, s4
	v_add_nc_u32_e32 v12, 1, v11
	v_add_nc_u32_e32 v14, 1, v10
	s_waitcnt lgkmcnt(0)
	v_cmp_lt_i32_e64 s5, v9, v8
	v_cndmask_b32_e64 v13, v12, v11, s3
	v_cndmask_b32_e64 v12, v10, v14, s3
                                        ; implicit-def: $vgpr10
	v_cmp_ge_i32_e64 s4, v13, v2
	v_cmp_lt_i32_e64 s6, v12, v4
	s_or_b32 s4, s4, s5
	s_and_b32 s4, s6, s4
	s_xor_b32 s5, s4, -1
	s_and_saveexec_b32 s6, s5
	s_xor_b32 s5, exec_lo, s6
; %bb.39:
	v_lshl_add_u32 v10, v13, 2, v3
	ds_read_b32 v10, v10 offset:4
; %bb.40:
	s_or_saveexec_b32 s5, s5
	v_mov_b32_e32 v11, v9
	s_xor_b32 exec_lo, exec_lo, s5
	s_cbranch_execz .LBB6_42
; %bb.41:
	s_waitcnt lgkmcnt(0)
	v_lshl_add_u32 v10, v12, 2, v3
	ds_read_b32 v11, v10 offset:4
	v_mov_b32_e32 v10, v8
.LBB6_42:
	s_or_b32 exec_lo, exec_lo, s5
	v_add_nc_u32_e32 v14, 1, v13
	v_add_nc_u32_e32 v15, 1, v12
	s_waitcnt lgkmcnt(0)
	v_cmp_lt_i32_e64 s6, v11, v10
	v_cndmask_b32_e64 v16, v14, v13, s4
	v_cndmask_b32_e64 v12, v12, v15, s4
                                        ; implicit-def: $vgpr13
                                        ; implicit-def: $vgpr14
	v_cmp_ge_i32_e64 s5, v16, v2
	v_cmp_lt_i32_e64 s7, v12, v4
	s_or_b32 s5, s5, s6
	s_and_b32 s5, s7, s5
	s_xor_b32 s6, s5, -1
	s_and_saveexec_b32 s7, s6
	s_xor_b32 s6, exec_lo, s7
; %bb.43:
	v_lshl_add_u32 v3, v16, 2, v3
	v_add_nc_u32_e32 v14, 1, v16
                                        ; implicit-def: $vgpr16
	ds_read_b32 v13, v3 offset:4
                                        ; implicit-def: $vgpr3
; %bb.44:
	s_or_saveexec_b32 s6, s6
	v_mov_b32_e32 v15, v11
	s_xor_b32 exec_lo, exec_lo, s6
	s_cbranch_execz .LBB6_46
; %bb.45:
	v_lshl_add_u32 v3, v12, 2, v3
	v_add_nc_u32_e32 v12, 1, v12
	v_mov_b32_e32 v14, v16
	s_waitcnt lgkmcnt(0)
	v_mov_b32_e32 v13, v10
	ds_read_b32 v15, v3 offset:4
.LBB6_46:
	s_or_b32 exec_lo, exec_lo, s6
	v_add_co_u32 v0, s6, s10, v0
	v_add_co_ci_u32_e64 v1, null, s11, v1, s6
	v_add_co_u32 v0, s6, v0, v5
	v_add_co_ci_u32_e64 v1, null, 0, v1, s6
	s_and_saveexec_b32 s6, vcc_lo
	s_cbranch_execnz .LBB6_51
; %bb.47:
	s_or_b32 exec_lo, exec_lo, s6
	s_and_saveexec_b32 s3, s0
	s_cbranch_execnz .LBB6_52
.LBB6_48:
	s_or_b32 exec_lo, exec_lo, s3
	s_and_saveexec_b32 s0, s1
	s_cbranch_execnz .LBB6_53
.LBB6_49:
	s_or_b32 exec_lo, exec_lo, s0
	s_and_saveexec_b32 s0, s2
	s_cbranch_execnz .LBB6_54
.LBB6_50:
	s_endpgm
.LBB6_51:
	v_cndmask_b32_e64 v3, v6, v7, s3
	global_store_dword v[0:1], v3, off
	s_or_b32 exec_lo, exec_lo, s6
	s_and_saveexec_b32 s3, s0
	s_cbranch_execz .LBB6_48
.LBB6_52:
	v_cndmask_b32_e64 v3, v8, v9, s4
	global_store_dword v[0:1], v3, off offset:4
	s_or_b32 exec_lo, exec_lo, s3
	s_and_saveexec_b32 s0, s1
	s_cbranch_execz .LBB6_49
.LBB6_53:
	v_cndmask_b32_e64 v3, v10, v11, s5
	global_store_dword v[0:1], v3, off offset:8
	s_or_b32 exec_lo, exec_lo, s0
	s_and_saveexec_b32 s0, s2
	s_cbranch_execz .LBB6_50
.LBB6_54:
	v_cmp_ge_i32_e32 vcc_lo, v14, v2
	s_waitcnt lgkmcnt(0)
	v_cmp_lt_i32_e64 s0, v15, v13
	v_cmp_lt_i32_e64 s1, v12, v4
	s_or_b32 s0, vcc_lo, s0
	s_and_b32 vcc_lo, s1, s0
	v_cndmask_b32_e32 v2, v13, v15, vcc_lo
	global_store_dword v[0:1], v2, off offset:12
	s_endpgm
	.section	.rodata,"a",@progbits
	.p2align	6, 0x0
	.amdhsa_kernel _Z19sort_keys_segmentedILj256ELj4ELj4EiN10test_utils4lessEEvPKT2_PS2_PKjT3_
		.amdhsa_group_segment_fixed_size 4352
		.amdhsa_private_segment_fixed_size 0
		.amdhsa_kernarg_size 28
		.amdhsa_user_sgpr_count 6
		.amdhsa_user_sgpr_private_segment_buffer 1
		.amdhsa_user_sgpr_dispatch_ptr 0
		.amdhsa_user_sgpr_queue_ptr 0
		.amdhsa_user_sgpr_kernarg_segment_ptr 1
		.amdhsa_user_sgpr_dispatch_id 0
		.amdhsa_user_sgpr_flat_scratch_init 0
		.amdhsa_user_sgpr_private_segment_size 0
		.amdhsa_wavefront_size32 1
		.amdhsa_uses_dynamic_stack 0
		.amdhsa_system_sgpr_private_segment_wavefront_offset 0
		.amdhsa_system_sgpr_workgroup_id_x 1
		.amdhsa_system_sgpr_workgroup_id_y 0
		.amdhsa_system_sgpr_workgroup_id_z 0
		.amdhsa_system_sgpr_workgroup_info 0
		.amdhsa_system_vgpr_workitem_id 0
		.amdhsa_next_free_vgpr 24
		.amdhsa_next_free_sgpr 12
		.amdhsa_reserve_vcc 1
		.amdhsa_reserve_flat_scratch 0
		.amdhsa_float_round_mode_32 0
		.amdhsa_float_round_mode_16_64 0
		.amdhsa_float_denorm_mode_32 3
		.amdhsa_float_denorm_mode_16_64 3
		.amdhsa_dx10_clamp 1
		.amdhsa_ieee_mode 1
		.amdhsa_fp16_overflow 0
		.amdhsa_workgroup_processor_mode 1
		.amdhsa_memory_ordered 1
		.amdhsa_forward_progress 1
		.amdhsa_shared_vgpr_count 0
		.amdhsa_exception_fp_ieee_invalid_op 0
		.amdhsa_exception_fp_denorm_src 0
		.amdhsa_exception_fp_ieee_div_zero 0
		.amdhsa_exception_fp_ieee_overflow 0
		.amdhsa_exception_fp_ieee_underflow 0
		.amdhsa_exception_fp_ieee_inexact 0
		.amdhsa_exception_int_div_zero 0
	.end_amdhsa_kernel
	.section	.text._Z19sort_keys_segmentedILj256ELj4ELj4EiN10test_utils4lessEEvPKT2_PS2_PKjT3_,"axG",@progbits,_Z19sort_keys_segmentedILj256ELj4ELj4EiN10test_utils4lessEEvPKT2_PS2_PKjT3_,comdat
.Lfunc_end6:
	.size	_Z19sort_keys_segmentedILj256ELj4ELj4EiN10test_utils4lessEEvPKT2_PS2_PKjT3_, .Lfunc_end6-_Z19sort_keys_segmentedILj256ELj4ELj4EiN10test_utils4lessEEvPKT2_PS2_PKjT3_
                                        ; -- End function
	.set _Z19sort_keys_segmentedILj256ELj4ELj4EiN10test_utils4lessEEvPKT2_PS2_PKjT3_.num_vgpr, 24
	.set _Z19sort_keys_segmentedILj256ELj4ELj4EiN10test_utils4lessEEvPKT2_PS2_PKjT3_.num_agpr, 0
	.set _Z19sort_keys_segmentedILj256ELj4ELj4EiN10test_utils4lessEEvPKT2_PS2_PKjT3_.numbered_sgpr, 12
	.set _Z19sort_keys_segmentedILj256ELj4ELj4EiN10test_utils4lessEEvPKT2_PS2_PKjT3_.num_named_barrier, 0
	.set _Z19sort_keys_segmentedILj256ELj4ELj4EiN10test_utils4lessEEvPKT2_PS2_PKjT3_.private_seg_size, 0
	.set _Z19sort_keys_segmentedILj256ELj4ELj4EiN10test_utils4lessEEvPKT2_PS2_PKjT3_.uses_vcc, 1
	.set _Z19sort_keys_segmentedILj256ELj4ELj4EiN10test_utils4lessEEvPKT2_PS2_PKjT3_.uses_flat_scratch, 0
	.set _Z19sort_keys_segmentedILj256ELj4ELj4EiN10test_utils4lessEEvPKT2_PS2_PKjT3_.has_dyn_sized_stack, 0
	.set _Z19sort_keys_segmentedILj256ELj4ELj4EiN10test_utils4lessEEvPKT2_PS2_PKjT3_.has_recursion, 0
	.set _Z19sort_keys_segmentedILj256ELj4ELj4EiN10test_utils4lessEEvPKT2_PS2_PKjT3_.has_indirect_call, 0
	.section	.AMDGPU.csdata,"",@progbits
; Kernel info:
; codeLenInByte = 2268
; TotalNumSgprs: 14
; NumVgprs: 24
; ScratchSize: 0
; MemoryBound: 0
; FloatMode: 240
; IeeeMode: 1
; LDSByteSize: 4352 bytes/workgroup (compile time only)
; SGPRBlocks: 0
; VGPRBlocks: 2
; NumSGPRsForWavesPerEU: 14
; NumVGPRsForWavesPerEU: 24
; Occupancy: 16
; WaveLimiterHint : 0
; COMPUTE_PGM_RSRC2:SCRATCH_EN: 0
; COMPUTE_PGM_RSRC2:USER_SGPR: 6
; COMPUTE_PGM_RSRC2:TRAP_HANDLER: 0
; COMPUTE_PGM_RSRC2:TGID_X_EN: 1
; COMPUTE_PGM_RSRC2:TGID_Y_EN: 0
; COMPUTE_PGM_RSRC2:TGID_Z_EN: 0
; COMPUTE_PGM_RSRC2:TIDIG_COMP_CNT: 0
	.section	.text._Z20sort_pairs_segmentedILj256ELj4ELj4EiN10test_utils4lessEEvPKT2_PS2_PKjT3_,"axG",@progbits,_Z20sort_pairs_segmentedILj256ELj4ELj4EiN10test_utils4lessEEvPKT2_PS2_PKjT3_,comdat
	.protected	_Z20sort_pairs_segmentedILj256ELj4ELj4EiN10test_utils4lessEEvPKT2_PS2_PKjT3_ ; -- Begin function _Z20sort_pairs_segmentedILj256ELj4ELj4EiN10test_utils4lessEEvPKT2_PS2_PKjT3_
	.globl	_Z20sort_pairs_segmentedILj256ELj4ELj4EiN10test_utils4lessEEvPKT2_PS2_PKjT3_
	.p2align	8
	.type	_Z20sort_pairs_segmentedILj256ELj4ELj4EiN10test_utils4lessEEvPKT2_PS2_PKjT3_,@function
_Z20sort_pairs_segmentedILj256ELj4ELj4EiN10test_utils4lessEEvPKT2_PS2_PKjT3_: ; @_Z20sort_pairs_segmentedILj256ELj4ELj4EiN10test_utils4lessEEvPKT2_PS2_PKjT3_
; %bb.0:
	s_clause 0x1
	s_load_dwordx2 s[0:1], s[4:5], 0x10
	s_load_dwordx4 s[8:11], s[4:5], 0x0
	v_lshrrev_b32_e32 v12, 2, v0
	v_mov_b32_e32 v2, 0
	v_mbcnt_lo_u32_b32 v0, -1, 0
	v_lshl_or_b32 v1, s6, 6, v12
	v_mov_b32_e32 v14, v2
	v_lshlrev_b32_e32 v13, 2, v0
	v_mov_b32_e32 v15, v2
	v_mov_b32_e32 v16, v2
	v_lshlrev_b64 v[3:4], 2, v[1:2]
	v_lshlrev_b32_e32 v1, 4, v1
	v_and_b32_e32 v7, 12, v13
	v_lshlrev_b64 v[0:1], 2, v[1:2]
	v_lshlrev_b32_e32 v5, 2, v7
	s_waitcnt lgkmcnt(0)
	v_add_co_u32 v3, vcc_lo, s0, v3
	v_add_co_ci_u32_e64 v4, null, s1, v4, vcc_lo
	global_load_dword v6, v[3:4], off
	v_add_co_u32 v3, vcc_lo, s8, v0
	v_add_co_ci_u32_e64 v4, null, s9, v1, vcc_lo
	v_add_co_u32 v3, vcc_lo, v3, v5
	v_add_co_ci_u32_e64 v4, null, 0, v4, vcc_lo
	s_waitcnt vmcnt(0)
	v_cmp_lt_u32_e32 vcc_lo, v7, v6
	s_and_saveexec_b32 s0, vcc_lo
	s_cbranch_execz .LBB7_2
; %bb.1:
	global_load_dword v14, v[3:4], off
	v_mov_b32_e32 v15, v2
	v_mov_b32_e32 v16, v2
.LBB7_2:
	s_or_b32 exec_lo, exec_lo, s0
	v_or_b32_e32 v8, 1, v7
	v_cmp_lt_u32_e64 s0, v8, v6
	s_and_saveexec_b32 s1, s0
	s_cbranch_execz .LBB7_4
; %bb.3:
	global_load_dword v2, v[3:4], off offset:4
.LBB7_4:
	s_or_b32 exec_lo, exec_lo, s1
	v_or_b32_e32 v9, 2, v7
	v_cmp_lt_u32_e64 s1, v9, v6
	s_and_saveexec_b32 s2, s1
	s_cbranch_execz .LBB7_6
; %bb.5:
	global_load_dword v15, v[3:4], off offset:8
.LBB7_6:
	;; [unrolled: 8-line block ×3, first 2 shown]
	s_or_b32 exec_lo, exec_lo, s3
	v_cmp_lt_i32_e64 s3, v8, v6
	v_cmp_lt_i32_e64 s4, v9, v6
	s_waitcnt vmcnt(0)
	v_add_nc_u32_e32 v3, 1, v14
	v_add_nc_u32_e32 v4, 1, v2
	;; [unrolled: 1-line block ×4, first 2 shown]
	s_or_b32 s3, s4, s3
	v_cndmask_b32_e32 v8, 0, v3, vcc_lo
	v_cndmask_b32_e64 v9, 0, v4, s0
	v_cndmask_b32_e64 v11, 0, v10, s1
	;; [unrolled: 1-line block ×5, first 2 shown]
	s_mov_b32 s4, 0
	s_brev_b32 s6, -2
	s_mov_b32 s5, exec_lo
	v_cmpx_ge_i32_e64 v17, v6
	s_xor_b32 s5, exec_lo, s5
	s_cbranch_execnz .LBB7_11
; %bb.9:
	s_andn2_saveexec_b32 s3, s5
	s_cbranch_execnz .LBB7_12
.LBB7_10:
	s_or_b32 exec_lo, exec_lo, s3
	v_bfrev_b32_e32 v17, -2
	s_and_saveexec_b32 s5, s4
	s_cbranch_execnz .LBB7_13
	s_branch .LBB7_16
.LBB7_11:
	v_cmp_lt_i32_e64 s3, v7, v6
	v_mov_b32_e32 v16, s6
	s_and_b32 s4, s3, exec_lo
	s_andn2_saveexec_b32 s3, s5
	s_cbranch_execz .LBB7_10
.LBB7_12:
	s_or_b32 s4, s4, exec_lo
	s_or_b32 exec_lo, exec_lo, s3
	v_bfrev_b32_e32 v17, -2
	s_and_saveexec_b32 s5, s4
	s_cbranch_execz .LBB7_16
.LBB7_13:
	v_cmp_lt_i32_e64 s3, v2, v14
	v_cmp_lt_i32_e64 s4, v16, v15
	v_min_i32_e32 v4, v16, v15
	v_cndmask_b32_e64 v17, v2, v14, s3
	v_cndmask_b32_e64 v3, v8, v9, s3
	v_cndmask_b32_e64 v8, v9, v8, s3
	v_cndmask_b32_e64 v14, v14, v2, s3
	v_cndmask_b32_e64 v9, v15, v16, s4
	v_cmp_lt_i32_e64 s3, v4, v17
	v_cndmask_b32_e64 v18, v10, v11, s4
	v_cndmask_b32_e64 v2, v11, v10, s4
	v_min_i32_e32 v10, v4, v17
	v_cndmask_b32_e64 v15, v16, v15, s4
	v_cndmask_b32_e64 v16, v9, v17, s3
	;; [unrolled: 1-line block ×5, first 2 shown]
	v_cmp_lt_i32_e64 s4, v10, v14
	v_cmp_lt_i32_e64 s3, v15, v16
	v_cndmask_b32_e64 v9, v2, v3, s4
	v_cndmask_b32_e64 v8, v3, v2, s4
	;; [unrolled: 1-line block ×4, first 2 shown]
	v_min_i32_e32 v3, v15, v16
	v_cndmask_b32_e64 v10, v18, v11, s3
	v_cndmask_b32_e64 v11, v11, v18, s3
	;; [unrolled: 1-line block ×4, first 2 shown]
	s_mov_b32 s4, exec_lo
	v_cmpx_lt_i32_e64 v3, v2
; %bb.14:
	v_mov_b32_e32 v4, v11
	v_swap_b32 v11, v9
	v_mov_b32_e32 v15, v2
	v_mov_b32_e32 v2, v3
; %bb.15:
	s_or_b32 exec_lo, exec_lo, s4
.LBB7_16:
	s_or_b32 exec_lo, exec_lo, s5
	v_and_b32_e32 v3, 8, v13
	v_and_b32_e32 v4, 4, v13
	s_mov_b32 s5, 0
	s_mov_b32 s4, exec_lo
	v_min_i32_e32 v18, v6, v3
	v_min_i32_e32 v19, v6, v4
	v_mad_u32_u24 v4, 0x44, v12, v5
	; wave barrier
	v_add_nc_u32_e32 v3, 4, v18
	v_lshlrev_b32_e32 v23, 2, v18
	ds_write2_b32 v4, v14, v2 offset1:1
	ds_write2_b32 v4, v15, v17 offset0:2 offset1:3
	v_min_i32_e32 v16, v6, v3
	; wave barrier
	v_add_nc_u32_e32 v3, 4, v16
	v_sub_nc_u32_e32 v22, v16, v18
	v_min_i32_e32 v13, v6, v3
	v_mul_u32_u24_e32 v3, 0x44, v12
	v_mad_u32_u24 v12, 0x44, v12, v23
	v_sub_nc_u32_e32 v20, v13, v16
	v_sub_nc_u32_e32 v21, v19, v20
	v_cmp_ge_i32_e64 s3, v19, v20
	v_cndmask_b32_e64 v20, 0, v21, s3
	v_min_i32_e32 v21, v19, v22
	v_cmpx_lt_i32_e64 v20, v21
	s_cbranch_execz .LBB7_20
; %bb.17:
	v_lshlrev_b32_e32 v2, 2, v16
	v_lshlrev_b32_e32 v14, 2, v19
	v_add3_u32 v2, v3, v2, v14
	.p2align	6
.LBB7_18:                               ; =>This Inner Loop Header: Depth=1
	v_sub_nc_u32_e32 v14, v21, v20
	v_lshrrev_b32_e32 v14, 1, v14
	v_add_nc_u32_e32 v14, v14, v20
	v_not_b32_e32 v15, v14
	v_lshl_add_u32 v17, v14, 2, v12
	v_add_nc_u32_e32 v22, 1, v14
	v_lshl_add_u32 v15, v15, 2, v2
	ds_read_b32 v17, v17
	ds_read_b32 v15, v15
	s_waitcnt lgkmcnt(0)
	v_cmp_lt_i32_e64 s3, v15, v17
	v_cndmask_b32_e64 v21, v21, v14, s3
	v_cndmask_b32_e64 v20, v22, v20, s3
	v_cmp_ge_i32_e64 s3, v20, v21
	s_or_b32 s5, s3, s5
	s_andn2_b32 exec_lo, exec_lo, s5
	s_cbranch_execnz .LBB7_18
; %bb.19:
	s_or_b32 exec_lo, exec_lo, s5
.LBB7_20:
	s_or_b32 exec_lo, exec_lo, s4
	v_add_nc_u32_e32 v2, v16, v19
	v_lshl_add_u32 v17, v20, 2, v12
	v_add_nc_u32_e32 v18, v20, v18
                                        ; implicit-def: $vgpr15
	v_sub_nc_u32_e32 v2, v2, v20
	v_cmp_le_i32_e64 s3, v16, v18
	v_lshl_add_u32 v19, v2, 2, v3
	v_cmp_gt_i32_e64 s5, v13, v2
	ds_read_b32 v12, v17
	ds_read_b32 v14, v19
	s_waitcnt lgkmcnt(0)
	v_cmp_lt_i32_e64 s4, v14, v12
	s_or_b32 s3, s3, s4
	s_and_b32 s3, s5, s3
	s_xor_b32 s4, s3, -1
	s_and_saveexec_b32 s5, s4
	s_xor_b32 s4, exec_lo, s5
; %bb.21:
	ds_read_b32 v15, v17 offset:4
                                        ; implicit-def: $vgpr19
; %bb.22:
	s_or_saveexec_b32 s4, s4
	v_mov_b32_e32 v17, v14
	s_xor_b32 exec_lo, exec_lo, s4
	s_cbranch_execz .LBB7_24
; %bb.23:
	ds_read_b32 v17, v19 offset:4
	s_waitcnt lgkmcnt(1)
	v_mov_b32_e32 v15, v12
.LBB7_24:
	s_or_b32 exec_lo, exec_lo, s4
	v_add_nc_u32_e32 v19, 1, v18
	v_add_nc_u32_e32 v20, 1, v2
	s_waitcnt lgkmcnt(0)
	v_cmp_lt_i32_e64 s5, v17, v15
	v_cndmask_b32_e64 v21, v19, v18, s3
	v_cndmask_b32_e64 v22, v2, v20, s3
                                        ; implicit-def: $vgpr19
	v_cmp_ge_i32_e64 s4, v21, v16
	v_cmp_lt_i32_e64 s6, v22, v13
	s_or_b32 s4, s4, s5
	s_and_b32 s4, s6, s4
	s_xor_b32 s5, s4, -1
	s_and_saveexec_b32 s6, s5
	s_xor_b32 s5, exec_lo, s6
; %bb.25:
	v_lshl_add_u32 v19, v21, 2, v3
	ds_read_b32 v19, v19 offset:4
; %bb.26:
	s_or_saveexec_b32 s5, s5
	v_mov_b32_e32 v20, v17
	s_xor_b32 exec_lo, exec_lo, s5
	s_cbranch_execz .LBB7_28
; %bb.27:
	s_waitcnt lgkmcnt(0)
	v_lshl_add_u32 v19, v22, 2, v3
	ds_read_b32 v20, v19 offset:4
	v_mov_b32_e32 v19, v15
.LBB7_28:
	s_or_b32 exec_lo, exec_lo, s5
	v_add_nc_u32_e32 v23, 1, v21
	v_add_nc_u32_e32 v25, 1, v22
	s_waitcnt lgkmcnt(0)
	v_cmp_lt_i32_e64 s6, v20, v19
	v_cndmask_b32_e64 v24, v23, v21, s4
	v_cndmask_b32_e64 v23, v22, v25, s4
                                        ; implicit-def: $vgpr25
	v_cmp_ge_i32_e64 s5, v24, v16
	v_cmp_lt_i32_e64 s7, v23, v13
	s_or_b32 s5, s5, s6
	s_and_b32 s5, s7, s5
	s_xor_b32 s6, s5, -1
	s_and_saveexec_b32 s7, s6
	s_xor_b32 s6, exec_lo, s7
; %bb.29:
	v_lshl_add_u32 v25, v24, 2, v3
	ds_read_b32 v25, v25 offset:4
; %bb.30:
	s_or_saveexec_b32 s6, s6
	v_mov_b32_e32 v26, v20
	s_xor_b32 exec_lo, exec_lo, s6
	s_cbranch_execz .LBB7_32
; %bb.31:
	s_waitcnt lgkmcnt(0)
	v_lshl_add_u32 v25, v23, 2, v3
	ds_read_b32 v26, v25 offset:4
	v_mov_b32_e32 v25, v19
.LBB7_32:
	s_or_b32 exec_lo, exec_lo, s6
	v_add_nc_u32_e32 v27, 1, v24
	v_add_nc_u32_e32 v28, 1, v23
	v_cndmask_b32_e64 v22, v21, v22, s4
	v_min_i32_e32 v21, 0, v6
	v_cndmask_b32_e64 v29, v24, v23, s5
	v_cndmask_b32_e64 v24, v27, v24, s5
	;; [unrolled: 1-line block ×4, first 2 shown]
	v_add_nc_u32_e32 v2, 8, v21
	s_waitcnt lgkmcnt(0)
	v_cmp_lt_i32_e64 s6, v26, v25
	v_cmp_ge_i32_e64 s7, v24, v16
	v_cmp_lt_i32_e64 s8, v23, v13
	v_min_i32_e32 v2, v6, v2
	; wave barrier
	s_or_b32 s6, s7, s6
	ds_write2_b32 v4, v8, v9 offset1:1
	s_and_b32 s6, s8, s6
	v_add_nc_u32_e32 v9, 8, v2
	v_cndmask_b32_e64 v8, v24, v23, s6
	v_lshl_add_u32 v13, v18, 2, v3
	ds_write2_b32 v4, v11, v10 offset0:2 offset1:3
	v_lshl_add_u32 v18, v29, 2, v3
	v_min_i32_e32 v10, v6, v9
	v_lshl_add_u32 v9, v22, 2, v3
	v_lshl_add_u32 v22, v8, 2, v3
	; wave barrier
	v_min_i32_e32 v11, v6, v7
	ds_read_b32 v6, v13
	ds_read_b32 v7, v9
	ds_read_b32 v8, v18
	ds_read_b32 v9, v22
	v_sub_nc_u32_e32 v23, v10, v2
	v_cndmask_b32_e64 v18, v19, v20, s5
	v_sub_nc_u32_e32 v19, v2, v21
	v_cndmask_b32_e64 v15, v15, v17, s4
	v_cndmask_b32_e64 v12, v12, v14, s3
	v_sub_nc_u32_e32 v13, v11, v23
	v_cmp_ge_i32_e64 s3, v11, v23
	v_cndmask_b32_e64 v16, v25, v26, s6
	v_min_i32_e32 v14, v11, v19
	; wave barrier
	v_cndmask_b32_e64 v13, 0, v13, s3
	ds_write2_b32 v4, v12, v15 offset1:1
	v_lshl_add_u32 v12, v21, 2, v3
	s_mov_b32 s5, 0
	s_mov_b32 s4, exec_lo
	ds_write2_b32 v4, v18, v16 offset0:2 offset1:3
	; wave barrier
	v_cmpx_lt_i32_e64 v13, v14
	s_cbranch_execz .LBB7_36
; %bb.33:
	v_lshlrev_b32_e32 v15, 2, v2
	v_lshlrev_b32_e32 v16, 2, v11
	v_add3_u32 v15, v3, v15, v16
	.p2align	6
.LBB7_34:                               ; =>This Inner Loop Header: Depth=1
	v_sub_nc_u32_e32 v16, v14, v13
	v_lshrrev_b32_e32 v16, 1, v16
	v_add_nc_u32_e32 v16, v16, v13
	v_not_b32_e32 v17, v16
	v_lshl_add_u32 v18, v16, 2, v12
	v_add_nc_u32_e32 v19, 1, v16
	v_lshl_add_u32 v17, v17, 2, v15
	ds_read_b32 v18, v18
	ds_read_b32 v17, v17
	s_waitcnt lgkmcnt(0)
	v_cmp_lt_i32_e64 s3, v17, v18
	v_cndmask_b32_e64 v14, v14, v16, s3
	v_cndmask_b32_e64 v13, v19, v13, s3
	v_cmp_ge_i32_e64 s3, v13, v14
	s_or_b32 s5, s3, s5
	s_andn2_b32 exec_lo, exec_lo, s5
	s_cbranch_execnz .LBB7_34
; %bb.35:
	s_or_b32 exec_lo, exec_lo, s5
.LBB7_36:
	s_or_b32 exec_lo, exec_lo, s4
	v_add_nc_u32_e32 v11, v2, v11
	v_lshl_add_u32 v15, v13, 2, v12
	v_add_nc_u32_e32 v16, v13, v21
	v_sub_nc_u32_e32 v14, v11, v13
                                        ; implicit-def: $vgpr13
	v_cmp_le_i32_e64 s3, v2, v16
	v_lshl_add_u32 v17, v14, 2, v3
	v_cmp_gt_i32_e64 s5, v10, v14
	ds_read_b32 v11, v15
	ds_read_b32 v12, v17
	s_waitcnt lgkmcnt(0)
	v_cmp_lt_i32_e64 s4, v12, v11
	s_or_b32 s3, s3, s4
	s_and_b32 s3, s5, s3
	s_xor_b32 s4, s3, -1
	s_and_saveexec_b32 s5, s4
	s_xor_b32 s4, exec_lo, s5
; %bb.37:
	ds_read_b32 v13, v15 offset:4
                                        ; implicit-def: $vgpr17
; %bb.38:
	s_or_saveexec_b32 s4, s4
	v_mov_b32_e32 v15, v12
	s_xor_b32 exec_lo, exec_lo, s4
	s_cbranch_execz .LBB7_40
; %bb.39:
	ds_read_b32 v15, v17 offset:4
	s_waitcnt lgkmcnt(1)
	v_mov_b32_e32 v13, v11
.LBB7_40:
	s_or_b32 exec_lo, exec_lo, s4
	v_add_nc_u32_e32 v17, 1, v16
	v_add_nc_u32_e32 v18, 1, v14
	s_waitcnt lgkmcnt(0)
	v_cmp_lt_i32_e64 s5, v15, v13
	v_cndmask_b32_e64 v19, v17, v16, s3
	v_cndmask_b32_e64 v20, v14, v18, s3
                                        ; implicit-def: $vgpr17
	v_cmp_ge_i32_e64 s4, v19, v2
	v_cmp_lt_i32_e64 s6, v20, v10
	s_or_b32 s4, s4, s5
	s_and_b32 s4, s6, s4
	s_xor_b32 s5, s4, -1
	s_and_saveexec_b32 s6, s5
	s_xor_b32 s5, exec_lo, s6
; %bb.41:
	v_lshl_add_u32 v17, v19, 2, v3
	ds_read_b32 v17, v17 offset:4
; %bb.42:
	s_or_saveexec_b32 s5, s5
	v_mov_b32_e32 v18, v15
	s_xor_b32 exec_lo, exec_lo, s5
	s_cbranch_execz .LBB7_44
; %bb.43:
	s_waitcnt lgkmcnt(0)
	v_lshl_add_u32 v17, v20, 2, v3
	ds_read_b32 v18, v17 offset:4
	v_mov_b32_e32 v17, v13
.LBB7_44:
	s_or_b32 exec_lo, exec_lo, s5
	v_add_nc_u32_e32 v21, 1, v19
	v_add_nc_u32_e32 v22, 1, v20
	s_waitcnt lgkmcnt(0)
	v_cmp_lt_i32_e64 s6, v18, v17
                                        ; implicit-def: $vgpr23
	v_cndmask_b32_e64 v25, v21, v19, s4
	v_cndmask_b32_e64 v21, v20, v22, s4
                                        ; implicit-def: $vgpr22
	v_cmp_ge_i32_e64 s5, v25, v2
	v_cmp_lt_i32_e64 s7, v21, v10
	s_or_b32 s5, s5, s6
	s_and_b32 s5, s7, s5
	s_xor_b32 s6, s5, -1
	s_and_saveexec_b32 s7, s6
	s_xor_b32 s6, exec_lo, s7
; %bb.45:
	v_lshl_add_u32 v22, v25, 2, v3
	ds_read_b32 v23, v22 offset:4
	v_add_nc_u32_e32 v22, 1, v25
; %bb.46:
	s_or_saveexec_b32 s6, s6
	v_mov_b32_e32 v24, v25
	v_mov_b32_e32 v26, v18
	s_xor_b32 exec_lo, exec_lo, s6
	s_cbranch_execz .LBB7_48
; %bb.47:
	v_lshl_add_u32 v22, v21, 2, v3
	s_waitcnt lgkmcnt(0)
	v_add_nc_u32_e32 v23, 1, v21
	v_mov_b32_e32 v24, v21
	ds_read_b32 v26, v22 offset:4
	v_mov_b32_e32 v22, v25
	v_mov_b32_e32 v21, v23
	;; [unrolled: 1-line block ×3, first 2 shown]
.LBB7_48:
	s_or_b32 exec_lo, exec_lo, s6
	v_cmp_ge_i32_e64 s6, v22, v2
	s_waitcnt lgkmcnt(0)
	v_cmp_lt_i32_e64 s7, v26, v23
	v_cmp_lt_i32_e64 s8, v21, v10
	v_cndmask_b32_e64 v10, v16, v14, s3
	v_cndmask_b32_e64 v2, v19, v20, s4
	s_or_b32 s6, s6, s7
	; wave barrier
	s_and_b32 s6, s8, s6
	ds_write2_b32 v4, v6, v7 offset1:1
	ds_write2_b32 v4, v8, v9 offset0:2 offset1:3
	v_cndmask_b32_e64 v16, v22, v21, s6
	v_lshl_add_u32 v4, v10, 2, v3
	v_lshl_add_u32 v2, v2, 2, v3
	;; [unrolled: 1-line block ×4, first 2 shown]
	; wave barrier
	ds_read_b32 v4, v4
	ds_read_b32 v2, v2
	;; [unrolled: 1-line block ×4, first 2 shown]
	v_cndmask_b32_e64 v14, v23, v26, s6
	v_cndmask_b32_e64 v7, v11, v12, s3
	;; [unrolled: 1-line block ×4, first 2 shown]
	v_add_co_u32 v0, s3, s10, v0
	v_add_co_ci_u32_e64 v1, null, s11, v1, s3
	v_add_co_u32 v0, s3, v0, v5
	v_add_co_ci_u32_e64 v1, null, 0, v1, s3
	s_waitcnt lgkmcnt(3)
	v_add_nc_u32_e32 v4, v4, v7
	s_waitcnt lgkmcnt(2)
	v_add_nc_u32_e32 v2, v8, v2
	;; [unrolled: 2-line block ×4, first 2 shown]
	v_cndmask_b32_e32 v6, v7, v4, vcc_lo
	v_cndmask_b32_e64 v4, v8, v2, s0
	v_cndmask_b32_e64 v3, v9, v10, s1
	;; [unrolled: 1-line block ×3, first 2 shown]
	s_and_saveexec_b32 s3, vcc_lo
	s_cbranch_execnz .LBB7_53
; %bb.49:
	s_or_b32 exec_lo, exec_lo, s3
	s_and_saveexec_b32 s3, s0
	s_cbranch_execnz .LBB7_54
.LBB7_50:
	s_or_b32 exec_lo, exec_lo, s3
	s_and_saveexec_b32 s0, s1
	s_cbranch_execnz .LBB7_55
.LBB7_51:
	s_or_b32 exec_lo, exec_lo, s0
	s_and_saveexec_b32 s0, s2
	s_cbranch_execnz .LBB7_56
.LBB7_52:
	s_endpgm
.LBB7_53:
	global_store_dword v[0:1], v6, off
	s_or_b32 exec_lo, exec_lo, s3
	s_and_saveexec_b32 s3, s0
	s_cbranch_execz .LBB7_50
.LBB7_54:
	global_store_dword v[0:1], v4, off offset:4
	s_or_b32 exec_lo, exec_lo, s3
	s_and_saveexec_b32 s0, s1
	s_cbranch_execz .LBB7_51
.LBB7_55:
	global_store_dword v[0:1], v3, off offset:8
	s_or_b32 exec_lo, exec_lo, s0
	s_and_saveexec_b32 s0, s2
	s_cbranch_execz .LBB7_52
.LBB7_56:
	global_store_dword v[0:1], v2, off offset:12
	s_endpgm
	.section	.rodata,"a",@progbits
	.p2align	6, 0x0
	.amdhsa_kernel _Z20sort_pairs_segmentedILj256ELj4ELj4EiN10test_utils4lessEEvPKT2_PS2_PKjT3_
		.amdhsa_group_segment_fixed_size 4352
		.amdhsa_private_segment_fixed_size 0
		.amdhsa_kernarg_size 28
		.amdhsa_user_sgpr_count 6
		.amdhsa_user_sgpr_private_segment_buffer 1
		.amdhsa_user_sgpr_dispatch_ptr 0
		.amdhsa_user_sgpr_queue_ptr 0
		.amdhsa_user_sgpr_kernarg_segment_ptr 1
		.amdhsa_user_sgpr_dispatch_id 0
		.amdhsa_user_sgpr_flat_scratch_init 0
		.amdhsa_user_sgpr_private_segment_size 0
		.amdhsa_wavefront_size32 1
		.amdhsa_uses_dynamic_stack 0
		.amdhsa_system_sgpr_private_segment_wavefront_offset 0
		.amdhsa_system_sgpr_workgroup_id_x 1
		.amdhsa_system_sgpr_workgroup_id_y 0
		.amdhsa_system_sgpr_workgroup_id_z 0
		.amdhsa_system_sgpr_workgroup_info 0
		.amdhsa_system_vgpr_workitem_id 0
		.amdhsa_next_free_vgpr 30
		.amdhsa_next_free_sgpr 12
		.amdhsa_reserve_vcc 1
		.amdhsa_reserve_flat_scratch 0
		.amdhsa_float_round_mode_32 0
		.amdhsa_float_round_mode_16_64 0
		.amdhsa_float_denorm_mode_32 3
		.amdhsa_float_denorm_mode_16_64 3
		.amdhsa_dx10_clamp 1
		.amdhsa_ieee_mode 1
		.amdhsa_fp16_overflow 0
		.amdhsa_workgroup_processor_mode 1
		.amdhsa_memory_ordered 1
		.amdhsa_forward_progress 1
		.amdhsa_shared_vgpr_count 0
		.amdhsa_exception_fp_ieee_invalid_op 0
		.amdhsa_exception_fp_denorm_src 0
		.amdhsa_exception_fp_ieee_div_zero 0
		.amdhsa_exception_fp_ieee_overflow 0
		.amdhsa_exception_fp_ieee_underflow 0
		.amdhsa_exception_fp_ieee_inexact 0
		.amdhsa_exception_int_div_zero 0
	.end_amdhsa_kernel
	.section	.text._Z20sort_pairs_segmentedILj256ELj4ELj4EiN10test_utils4lessEEvPKT2_PS2_PKjT3_,"axG",@progbits,_Z20sort_pairs_segmentedILj256ELj4ELj4EiN10test_utils4lessEEvPKT2_PS2_PKjT3_,comdat
.Lfunc_end7:
	.size	_Z20sort_pairs_segmentedILj256ELj4ELj4EiN10test_utils4lessEEvPKT2_PS2_PKjT3_, .Lfunc_end7-_Z20sort_pairs_segmentedILj256ELj4ELj4EiN10test_utils4lessEEvPKT2_PS2_PKjT3_
                                        ; -- End function
	.set _Z20sort_pairs_segmentedILj256ELj4ELj4EiN10test_utils4lessEEvPKT2_PS2_PKjT3_.num_vgpr, 30
	.set _Z20sort_pairs_segmentedILj256ELj4ELj4EiN10test_utils4lessEEvPKT2_PS2_PKjT3_.num_agpr, 0
	.set _Z20sort_pairs_segmentedILj256ELj4ELj4EiN10test_utils4lessEEvPKT2_PS2_PKjT3_.numbered_sgpr, 12
	.set _Z20sort_pairs_segmentedILj256ELj4ELj4EiN10test_utils4lessEEvPKT2_PS2_PKjT3_.num_named_barrier, 0
	.set _Z20sort_pairs_segmentedILj256ELj4ELj4EiN10test_utils4lessEEvPKT2_PS2_PKjT3_.private_seg_size, 0
	.set _Z20sort_pairs_segmentedILj256ELj4ELj4EiN10test_utils4lessEEvPKT2_PS2_PKjT3_.uses_vcc, 1
	.set _Z20sort_pairs_segmentedILj256ELj4ELj4EiN10test_utils4lessEEvPKT2_PS2_PKjT3_.uses_flat_scratch, 0
	.set _Z20sort_pairs_segmentedILj256ELj4ELj4EiN10test_utils4lessEEvPKT2_PS2_PKjT3_.has_dyn_sized_stack, 0
	.set _Z20sort_pairs_segmentedILj256ELj4ELj4EiN10test_utils4lessEEvPKT2_PS2_PKjT3_.has_recursion, 0
	.set _Z20sort_pairs_segmentedILj256ELj4ELj4EiN10test_utils4lessEEvPKT2_PS2_PKjT3_.has_indirect_call, 0
	.section	.AMDGPU.csdata,"",@progbits
; Kernel info:
; codeLenInByte = 2644
; TotalNumSgprs: 14
; NumVgprs: 30
; ScratchSize: 0
; MemoryBound: 0
; FloatMode: 240
; IeeeMode: 1
; LDSByteSize: 4352 bytes/workgroup (compile time only)
; SGPRBlocks: 0
; VGPRBlocks: 3
; NumSGPRsForWavesPerEU: 14
; NumVGPRsForWavesPerEU: 30
; Occupancy: 16
; WaveLimiterHint : 0
; COMPUTE_PGM_RSRC2:SCRATCH_EN: 0
; COMPUTE_PGM_RSRC2:USER_SGPR: 6
; COMPUTE_PGM_RSRC2:TRAP_HANDLER: 0
; COMPUTE_PGM_RSRC2:TGID_X_EN: 1
; COMPUTE_PGM_RSRC2:TGID_Y_EN: 0
; COMPUTE_PGM_RSRC2:TGID_Z_EN: 0
; COMPUTE_PGM_RSRC2:TIDIG_COMP_CNT: 0
	.section	.text._Z9sort_keysILj256ELj4ELj8EiN10test_utils4lessEEvPKT2_PS2_T3_,"axG",@progbits,_Z9sort_keysILj256ELj4ELj8EiN10test_utils4lessEEvPKT2_PS2_T3_,comdat
	.protected	_Z9sort_keysILj256ELj4ELj8EiN10test_utils4lessEEvPKT2_PS2_T3_ ; -- Begin function _Z9sort_keysILj256ELj4ELj8EiN10test_utils4lessEEvPKT2_PS2_T3_
	.globl	_Z9sort_keysILj256ELj4ELj8EiN10test_utils4lessEEvPKT2_PS2_T3_
	.p2align	8
	.type	_Z9sort_keysILj256ELj4ELj8EiN10test_utils4lessEEvPKT2_PS2_T3_,@function
_Z9sort_keysILj256ELj4ELj8EiN10test_utils4lessEEvPKT2_PS2_T3_: ; @_Z9sort_keysILj256ELj4ELj8EiN10test_utils4lessEEvPKT2_PS2_T3_
; %bb.0:
	s_load_dwordx4 s[8:11], s[4:5], 0x0
	s_mov_b32 s5, 0
	s_lshl_b32 s4, s6, 11
	v_lshlrev_b32_e32 v1, 5, v0
	s_lshl_b64 s[12:13], s[4:5], 2
	v_lshrrev_b32_e32 v6, 2, v0
	v_lshlrev_b32_e32 v3, 3, v0
	v_mov_b32_e32 v11, 0
	s_waitcnt lgkmcnt(0)
	s_add_u32 s0, s8, s12
	s_addc_u32 s1, s9, s13
	s_clause 0x1
	global_load_dwordx4 v[12:15], v1, s[0:1]
	global_load_dwordx4 v[16:19], v1, s[0:1] offset:16
	v_mbcnt_lo_u32_b32 v1, -1, 0
	; wave barrier
	v_lshlrev_b32_e32 v2, 3, v1
	v_and_b32_e32 v10, 16, v2
	v_and_b32_e32 v1, 24, v2
	;; [unrolled: 1-line block ×3, first 2 shown]
	v_or_b32_e32 v4, 8, v10
	v_lshlrev_b32_e32 v5, 2, v1
	v_lshlrev_b32_e32 v8, 2, v10
	v_sub_nc_u32_e32 v9, v4, v10
	v_mad_u32_u24 v2, 0x84, v6, v5
	v_mad_u32_u24 v5, 0x84, v6, v8
	v_min_i32_e32 v0, v7, v9
	s_waitcnt vmcnt(1)
	v_cmp_lt_i32_e32 vcc_lo, v13, v12
	v_min_i32_e32 v9, v13, v12
	v_max_i32_e32 v20, v13, v12
	v_cmp_lt_i32_e64 s0, v15, v14
	v_max_i32_e32 v22, v15, v14
	v_min_i32_e32 v23, v15, v14
	s_waitcnt vmcnt(0)
	v_cmp_lt_i32_e64 s1, v17, v16
	v_max_i32_e32 v25, v17, v16
	v_min_i32_e32 v26, v17, v16
	v_cmp_lt_i32_e64 s2, v19, v18
	v_min_i32_e32 v29, v19, v18
	v_max_i32_e32 v28, v19, v18
	v_cndmask_b32_e32 v8, v12, v13, vcc_lo
	v_cndmask_b32_e64 v21, v15, v14, s0
	v_cndmask_b32_e64 v24, v17, v16, s1
	;; [unrolled: 1-line block ×3, first 2 shown]
	v_cndmask_b32_e32 v12, v13, v12, vcc_lo
	v_cndmask_b32_e64 v13, v14, v15, s0
	v_cndmask_b32_e64 v14, v16, v17, s1
	;; [unrolled: 1-line block ×3, first 2 shown]
	v_cmp_lt_i32_e32 vcc_lo, v23, v20
	v_max_i32_e32 v16, v23, v20
	v_min_i32_e32 v17, v23, v20
	v_cmp_lt_i32_e64 s0, v26, v22
	v_min_i32_e32 v19, v26, v22
	v_cmp_lt_i32_e64 s1, v29, v25
	v_cmp_lt_i32_e64 s2, v23, v9
	v_max_i32_e32 v18, v26, v22
	v_max_i32_e32 v30, v29, v25
	v_min_i32_e32 v31, v29, v25
	v_cmp_gt_i32_e64 s3, v25, v28
	v_cndmask_b32_e32 v13, v13, v20, vcc_lo
	v_cndmask_b32_e32 v12, v12, v23, vcc_lo
	v_cndmask_b32_e64 v14, v14, v22, s0
	v_cndmask_b32_e64 v20, v21, v26, s0
	;; [unrolled: 1-line block ×6, first 2 shown]
	v_cmp_lt_i32_e32 vcc_lo, v19, v16
	v_min_i32_e32 v24, v19, v16
	v_cndmask_b32_e64 v15, v15, v25, s1
	v_max_i32_e32 v25, v31, v18
	v_cndmask_b32_e64 v27, v27, v30, s3
	v_cndmask_b32_e64 v29, v28, v30, s3
	;; [unrolled: 1-line block ×3, first 2 shown]
	v_max_i32_e32 v23, v19, v16
	v_cmp_lt_i32_e64 s0, v31, v18
	v_min_i32_e32 v26, v31, v18
	v_cndmask_b32_e64 v9, v12, v9, s2
	v_cndmask_b32_e32 v12, v20, v16, vcc_lo
	v_cndmask_b32_e32 v13, v13, v19, vcc_lo
	v_cmp_lt_i32_e32 vcc_lo, v24, v17
	v_min_i32_e32 v19, v24, v17
	v_cndmask_b32_e64 v15, v15, v28, s3
	v_max_i32_e32 v28, v30, v25
	v_cndmask_b32_e64 v16, v21, v18, s0
	v_cndmask_b32_e64 v14, v14, v31, s0
	v_max_i32_e32 v18, v24, v17
	v_cmp_lt_i32_e64 s0, v26, v23
	v_max_i32_e32 v20, v26, v23
	v_min_i32_e32 v21, v26, v23
	v_cmp_lt_i32_e64 s1, v30, v25
	v_min_i32_e32 v31, v30, v25
	v_cndmask_b32_e32 v13, v13, v17, vcc_lo
	v_cndmask_b32_e32 v9, v9, v24, vcc_lo
	v_cmp_lt_i32_e32 vcc_lo, v19, v22
	v_cmp_lt_i32_e64 s2, v29, v28
	v_cndmask_b32_e64 v14, v14, v23, s0
	v_cndmask_b32_e64 v12, v12, v26, s0
	;; [unrolled: 1-line block ×4, first 2 shown]
	v_cndmask_b32_e32 v8, v8, v19, vcc_lo
	v_min_i32_e32 v17, v19, v22
	v_max_i32_e32 v19, v19, v22
	v_cmp_lt_i32_e64 s0, v21, v18
	v_max_i32_e32 v23, v21, v18
	v_min_i32_e32 v24, v21, v18
	v_cmp_lt_i32_e64 s1, v31, v20
	v_min_i32_e32 v26, v31, v20
	v_max_i32_e32 v25, v31, v20
	v_cndmask_b32_e64 v27, v27, v28, s2
	v_max_i32_e32 v30, v29, v28
	v_min_i32_e32 v28, v29, v28
	v_cndmask_b32_e32 v9, v9, v22, vcc_lo
	v_cndmask_b32_e64 v12, v12, v18, s0
	v_cndmask_b32_e64 v13, v13, v21, s0
	;; [unrolled: 1-line block ×5, first 2 shown]
	v_cmp_lt_i32_e32 vcc_lo, v24, v19
	v_max_i32_e32 v18, v24, v19
	v_min_i32_e32 v20, v24, v19
	v_cmp_lt_i32_e64 s0, v26, v23
	v_min_i32_e32 v22, v26, v23
	v_cmp_lt_i32_e64 s2, v24, v17
	v_max_i32_e32 v21, v26, v23
	v_cmp_lt_i32_e64 s1, v28, v25
	v_min_i32_e32 v31, v28, v25
	v_max_i32_e32 v29, v28, v25
	v_cmp_gt_i32_e64 s3, v25, v30
	v_cndmask_b32_e32 v9, v9, v24, vcc_lo
	v_cndmask_b32_e32 v13, v13, v19, vcc_lo
	v_cndmask_b32_e64 v14, v14, v23, s0
	v_cndmask_b32_e64 v12, v12, v26, s0
	;; [unrolled: 1-line block ×3, first 2 shown]
	v_cmp_lt_i32_e32 vcc_lo, v22, v18
	v_min_i32_e32 v23, v22, v18
	v_cndmask_b32_e64 v15, v15, v25, s1
	v_cndmask_b32_e64 v16, v16, v28, s1
	;; [unrolled: 1-line block ×3, first 2 shown]
	v_max_i32_e32 v20, v22, v18
	v_cmp_lt_i32_e64 s0, v31, v21
	v_min_i32_e32 v25, v31, v21
	v_max_i32_e32 v24, v31, v21
	v_cndmask_b32_e64 v26, v27, v29, s3
	v_cndmask_b32_e64 v27, v29, v30, s3
	;; [unrolled: 1-line block ×3, first 2 shown]
	v_cndmask_b32_e32 v13, v13, v22, vcc_lo
	v_cndmask_b32_e32 v12, v12, v18, vcc_lo
	v_cmp_lt_i32_e32 vcc_lo, v23, v19
	v_cndmask_b32_e64 v16, v16, v21, s0
	v_cndmask_b32_e64 v14, v14, v31, s0
	v_cmp_lt_i32_e64 s0, v25, v20
	v_cmp_lt_i32_e64 s1, v27, v24
	v_cndmask_b32_e64 v15, v15, v30, s3
	v_cndmask_b32_e32 v9, v9, v23, vcc_lo
	v_cndmask_b32_e32 v13, v13, v19, vcc_lo
	v_cndmask_b32_e64 v12, v12, v25, s0
	v_cndmask_b32_e64 v14, v14, v20, s0
	;; [unrolled: 1-line block ×4, first 2 shown]
	s_mov_b32 s0, exec_lo
	ds_write2_b32 v2, v8, v9 offset1:1
	ds_write2_b32 v2, v13, v12 offset0:2 offset1:3
	ds_write2_b32 v2, v14, v16 offset0:4 offset1:5
	;; [unrolled: 1-line block ×3, first 2 shown]
	; wave barrier
	v_cmpx_lt_i32_e32 0, v0
	s_cbranch_execz .LBB8_4
; %bb.1:
	v_lshl_add_u32 v8, v7, 2, v5
	v_mov_b32_e32 v11, 0
	.p2align	6
.LBB8_2:                                ; =>This Inner Loop Header: Depth=1
	v_sub_nc_u32_e32 v9, v0, v11
	v_lshrrev_b32_e32 v9, 1, v9
	v_add_nc_u32_e32 v9, v9, v11
	v_not_b32_e32 v12, v9
	v_lshl_add_u32 v13, v9, 2, v5
	v_add_nc_u32_e32 v14, 1, v9
	v_lshl_add_u32 v12, v12, 2, v8
	ds_read_b32 v13, v13
	ds_read_b32 v12, v12 offset:32
	s_waitcnt lgkmcnt(0)
	v_cmp_lt_i32_e32 vcc_lo, v12, v13
	v_cndmask_b32_e32 v0, v0, v9, vcc_lo
	v_cndmask_b32_e32 v11, v14, v11, vcc_lo
	v_cmp_ge_i32_e32 vcc_lo, v11, v0
	s_or_b32 s5, vcc_lo, s5
	s_andn2_b32 exec_lo, exec_lo, s5
	s_cbranch_execnz .LBB8_2
; %bb.3:
	s_or_b32 exec_lo, exec_lo, s5
.LBB8_4:
	s_or_b32 exec_lo, exec_lo, s0
	v_mul_u32_u24_e32 v0, 0x84, v6
	v_add_nc_u32_e32 v6, v10, v7
	v_lshl_add_u32 v9, v11, 2, v5
	v_add_nc_u32_e32 v8, v4, v7
	v_add_nc_u32_e32 v7, 16, v10
	v_cmp_lt_i32_e32 vcc_lo, 7, v11
	v_sub_nc_u32_e32 v6, v6, v11
	v_sub_nc_u32_e32 v12, v8, v11
                                        ; implicit-def: $vgpr8
	v_lshl_add_u32 v13, v6, 2, v0
	ds_read_b32 v5, v9
	ds_read_b32 v6, v13 offset:32
	v_cmp_gt_i32_e64 s1, v7, v12
	s_waitcnt lgkmcnt(0)
	v_cmp_lt_i32_e64 s0, v6, v5
	s_or_b32 s0, vcc_lo, s0
	s_and_b32 vcc_lo, s1, s0
	s_xor_b32 s0, vcc_lo, -1
	s_and_saveexec_b32 s1, s0
	s_xor_b32 s0, exec_lo, s1
; %bb.5:
	ds_read_b32 v8, v9 offset:4
                                        ; implicit-def: $vgpr13
; %bb.6:
	s_or_saveexec_b32 s0, s0
	v_mov_b32_e32 v9, v6
	s_xor_b32 exec_lo, exec_lo, s0
	s_cbranch_execz .LBB8_8
; %bb.7:
	ds_read_b32 v9, v13 offset:36
	s_waitcnt lgkmcnt(1)
	v_mov_b32_e32 v8, v5
.LBB8_8:
	s_or_b32 exec_lo, exec_lo, s0
	v_add_nc_u32_e32 v10, v11, v10
	v_add_nc_u32_e32 v14, 1, v12
	s_waitcnt lgkmcnt(0)
	v_cmp_lt_i32_e64 s1, v9, v8
	v_add_nc_u32_e32 v11, 1, v10
	v_cndmask_b32_e32 v12, v12, v14, vcc_lo
	v_cndmask_b32_e32 v13, v11, v10, vcc_lo
	v_cmp_lt_i32_e64 s2, v12, v7
                                        ; implicit-def: $vgpr10
	v_cmp_ge_i32_e64 s0, v13, v4
	s_or_b32 s0, s0, s1
	s_and_b32 s0, s2, s0
	s_xor_b32 s1, s0, -1
	s_and_saveexec_b32 s2, s1
	s_xor_b32 s1, exec_lo, s2
; %bb.9:
	v_lshl_add_u32 v10, v13, 2, v0
	ds_read_b32 v10, v10 offset:4
; %bb.10:
	s_or_saveexec_b32 s1, s1
	v_mov_b32_e32 v11, v9
	s_xor_b32 exec_lo, exec_lo, s1
	s_cbranch_execz .LBB8_12
; %bb.11:
	s_waitcnt lgkmcnt(0)
	v_lshl_add_u32 v10, v12, 2, v0
	ds_read_b32 v11, v10 offset:4
	v_mov_b32_e32 v10, v8
.LBB8_12:
	s_or_b32 exec_lo, exec_lo, s1
	v_add_nc_u32_e32 v14, 1, v13
	v_add_nc_u32_e32 v16, 1, v12
	s_waitcnt lgkmcnt(0)
	v_cmp_lt_i32_e64 s2, v11, v10
	v_cndmask_b32_e64 v15, v14, v13, s0
	v_cndmask_b32_e64 v14, v12, v16, s0
                                        ; implicit-def: $vgpr12
	v_cmp_ge_i32_e64 s1, v15, v4
	v_cmp_lt_i32_e64 s3, v14, v7
	s_or_b32 s1, s1, s2
	s_and_b32 s1, s3, s1
	s_xor_b32 s2, s1, -1
	s_and_saveexec_b32 s3, s2
	s_xor_b32 s2, exec_lo, s3
; %bb.13:
	v_lshl_add_u32 v12, v15, 2, v0
	ds_read_b32 v12, v12 offset:4
; %bb.14:
	s_or_saveexec_b32 s2, s2
	v_mov_b32_e32 v13, v11
	s_xor_b32 exec_lo, exec_lo, s2
	s_cbranch_execz .LBB8_16
; %bb.15:
	s_waitcnt lgkmcnt(0)
	v_lshl_add_u32 v12, v14, 2, v0
	ds_read_b32 v13, v12 offset:4
	v_mov_b32_e32 v12, v10
.LBB8_16:
	s_or_b32 exec_lo, exec_lo, s2
	v_add_nc_u32_e32 v16, 1, v15
	v_add_nc_u32_e32 v18, 1, v14
	s_waitcnt lgkmcnt(0)
	v_cmp_lt_i32_e64 s3, v13, v12
	v_cndmask_b32_e64 v17, v16, v15, s1
	v_cndmask_b32_e64 v16, v14, v18, s1
                                        ; implicit-def: $vgpr14
	v_cmp_ge_i32_e64 s2, v17, v4
	v_cmp_lt_i32_e64 s4, v16, v7
	s_or_b32 s2, s2, s3
	s_and_b32 s2, s4, s2
	s_xor_b32 s3, s2, -1
	s_and_saveexec_b32 s4, s3
	s_xor_b32 s3, exec_lo, s4
; %bb.17:
	v_lshl_add_u32 v14, v17, 2, v0
	ds_read_b32 v14, v14 offset:4
; %bb.18:
	s_or_saveexec_b32 s3, s3
	v_mov_b32_e32 v15, v13
	s_xor_b32 exec_lo, exec_lo, s3
	s_cbranch_execz .LBB8_20
; %bb.19:
	s_waitcnt lgkmcnt(0)
	v_lshl_add_u32 v14, v16, 2, v0
	ds_read_b32 v15, v14 offset:4
	v_mov_b32_e32 v14, v12
.LBB8_20:
	s_or_b32 exec_lo, exec_lo, s3
	v_add_nc_u32_e32 v18, 1, v17
	v_add_nc_u32_e32 v20, 1, v16
	s_waitcnt lgkmcnt(0)
	v_cmp_lt_i32_e64 s4, v15, v14
	v_cndmask_b32_e64 v19, v18, v17, s2
	v_cndmask_b32_e64 v18, v16, v20, s2
                                        ; implicit-def: $vgpr16
	v_cmp_ge_i32_e64 s3, v19, v4
	v_cmp_lt_i32_e64 s5, v18, v7
	s_or_b32 s3, s3, s4
	s_and_b32 s3, s5, s3
	s_xor_b32 s4, s3, -1
	s_and_saveexec_b32 s5, s4
	s_xor_b32 s4, exec_lo, s5
; %bb.21:
	v_lshl_add_u32 v16, v19, 2, v0
	ds_read_b32 v16, v16 offset:4
; %bb.22:
	s_or_saveexec_b32 s4, s4
	v_mov_b32_e32 v17, v15
	s_xor_b32 exec_lo, exec_lo, s4
	s_cbranch_execz .LBB8_24
; %bb.23:
	s_waitcnt lgkmcnt(0)
	v_lshl_add_u32 v16, v18, 2, v0
	ds_read_b32 v17, v16 offset:4
	v_mov_b32_e32 v16, v14
.LBB8_24:
	s_or_b32 exec_lo, exec_lo, s4
	v_add_nc_u32_e32 v20, 1, v19
	v_add_nc_u32_e32 v22, 1, v18
	s_waitcnt lgkmcnt(0)
	v_cmp_lt_i32_e64 s5, v17, v16
	v_cndmask_b32_e64 v21, v20, v19, s3
	v_cndmask_b32_e64 v19, v18, v22, s3
                                        ; implicit-def: $vgpr18
	v_cmp_ge_i32_e64 s4, v21, v4
	v_cmp_lt_i32_e64 s6, v19, v7
	s_or_b32 s4, s4, s5
	s_and_b32 s4, s6, s4
	s_xor_b32 s5, s4, -1
	s_and_saveexec_b32 s6, s5
	s_xor_b32 s5, exec_lo, s6
; %bb.25:
	v_lshl_add_u32 v18, v21, 2, v0
	ds_read_b32 v18, v18 offset:4
; %bb.26:
	s_or_saveexec_b32 s5, s5
	v_mov_b32_e32 v20, v17
	s_xor_b32 exec_lo, exec_lo, s5
	s_cbranch_execz .LBB8_28
; %bb.27:
	s_waitcnt lgkmcnt(0)
	v_lshl_add_u32 v18, v19, 2, v0
	ds_read_b32 v20, v18 offset:4
	v_mov_b32_e32 v18, v16
.LBB8_28:
	s_or_b32 exec_lo, exec_lo, s5
	v_add_nc_u32_e32 v22, 1, v21
	v_add_nc_u32_e32 v24, 1, v19
	s_waitcnt lgkmcnt(0)
	v_cmp_lt_i32_e64 s6, v20, v18
	v_cndmask_b32_e64 v23, v22, v21, s4
	v_cndmask_b32_e64 v22, v19, v24, s4
                                        ; implicit-def: $vgpr19
	v_cmp_ge_i32_e64 s5, v23, v4
	v_cmp_lt_i32_e64 s7, v22, v7
	s_or_b32 s5, s5, s6
	s_and_b32 s5, s7, s5
	s_xor_b32 s6, s5, -1
	s_and_saveexec_b32 s7, s6
	s_xor_b32 s6, exec_lo, s7
; %bb.29:
	v_lshl_add_u32 v19, v23, 2, v0
	ds_read_b32 v19, v19 offset:4
; %bb.30:
	s_or_saveexec_b32 s6, s6
	v_mov_b32_e32 v21, v20
	s_xor_b32 exec_lo, exec_lo, s6
	s_cbranch_execz .LBB8_32
; %bb.31:
	s_waitcnt lgkmcnt(0)
	v_lshl_add_u32 v19, v22, 2, v0
	ds_read_b32 v21, v19 offset:4
	v_mov_b32_e32 v19, v18
.LBB8_32:
	s_or_b32 exec_lo, exec_lo, s6
	v_add_nc_u32_e32 v24, 1, v23
	v_add_nc_u32_e32 v25, 1, v22
	v_cndmask_b32_e64 v16, v16, v17, s4
	v_cndmask_b32_e64 v14, v14, v15, s3
	;; [unrolled: 1-line block ×5, first 2 shown]
	s_waitcnt lgkmcnt(0)
	v_cmp_lt_i32_e64 s2, v21, v19
	v_cndmask_b32_e64 v10, v10, v11, s1
	v_cndmask_b32_e32 v5, v5, v6, vcc_lo
	v_cmp_ge_i32_e64 s3, v17, v4
	v_cmp_lt_i32_e64 s1, v15, v7
	v_cndmask_b32_e64 v7, v8, v9, s0
	v_sub_nc_u32_e64 v8, v1, 16 clamp
	v_min_u32_e32 v4, 16, v1
	s_or_b32 s0, s3, s2
	v_cndmask_b32_e64 v18, v18, v20, s5
	s_and_b32 vcc_lo, s1, s0
	s_mov_b32 s0, exec_lo
	v_cndmask_b32_e32 v6, v19, v21, vcc_lo
	; wave barrier
	ds_write2_b32 v2, v5, v7 offset1:1
	ds_write2_b32 v2, v10, v12 offset0:2 offset1:3
	ds_write2_b32 v2, v14, v16 offset0:4 offset1:5
	;; [unrolled: 1-line block ×3, first 2 shown]
	; wave barrier
	v_cmpx_lt_u32_e64 v8, v4
	s_cbranch_execz .LBB8_36
; %bb.33:
	s_mov_b32 s1, 0
	.p2align	6
.LBB8_34:                               ; =>This Inner Loop Header: Depth=1
	v_sub_nc_u32_e32 v5, v4, v8
	v_lshrrev_b32_e32 v5, 1, v5
	v_add_nc_u32_e32 v5, v5, v8
	v_not_b32_e32 v6, v5
	v_lshl_add_u32 v7, v5, 2, v0
	v_add_nc_u32_e32 v9, 1, v5
	v_lshl_add_u32 v6, v6, 2, v2
	ds_read_b32 v7, v7
	ds_read_b32 v6, v6 offset:64
	s_waitcnt lgkmcnt(0)
	v_cmp_lt_i32_e32 vcc_lo, v6, v7
	v_cndmask_b32_e32 v4, v4, v5, vcc_lo
	v_cndmask_b32_e32 v8, v9, v8, vcc_lo
	v_cmp_ge_i32_e32 vcc_lo, v8, v4
	s_or_b32 s1, vcc_lo, s1
	s_andn2_b32 exec_lo, exec_lo, s1
	s_cbranch_execnz .LBB8_34
; %bb.35:
	s_or_b32 exec_lo, exec_lo, s1
.LBB8_36:
	s_or_b32 exec_lo, exec_lo, s0
	v_sub_nc_u32_e32 v1, v1, v8
	v_lshl_add_u32 v7, v8, 2, v0
	v_cmp_lt_i32_e32 vcc_lo, 15, v8
                                        ; implicit-def: $vgpr6
	v_lshl_add_u32 v2, v1, 2, v0
	v_add_nc_u32_e32 v1, 16, v1
	ds_read_b32 v4, v7
	ds_read_b32 v5, v2 offset:64
	v_cmp_gt_i32_e64 s1, 32, v1
	s_waitcnt lgkmcnt(0)
	v_cmp_lt_i32_e64 s0, v5, v4
	s_or_b32 s0, vcc_lo, s0
	s_and_b32 vcc_lo, s1, s0
	s_xor_b32 s0, vcc_lo, -1
	s_and_saveexec_b32 s1, s0
	s_xor_b32 s0, exec_lo, s1
; %bb.37:
	ds_read_b32 v6, v7 offset:4
                                        ; implicit-def: $vgpr2
; %bb.38:
	s_or_saveexec_b32 s0, s0
	v_mov_b32_e32 v7, v5
	s_xor_b32 exec_lo, exec_lo, s0
	s_cbranch_execz .LBB8_40
; %bb.39:
	ds_read_b32 v7, v2 offset:68
	s_waitcnt lgkmcnt(1)
	v_mov_b32_e32 v6, v4
.LBB8_40:
	s_or_b32 exec_lo, exec_lo, s0
	v_add_nc_u32_e32 v2, 1, v8
	v_add_nc_u32_e32 v9, 1, v1
	s_waitcnt lgkmcnt(0)
	v_cmp_lt_i32_e64 s1, v7, v6
	v_cndmask_b32_e32 v2, v2, v8, vcc_lo
	v_cndmask_b32_e32 v1, v1, v9, vcc_lo
                                        ; implicit-def: $vgpr8
	v_cmp_lt_i32_e64 s0, 15, v2
	v_cmp_gt_i32_e64 s2, 32, v1
	s_or_b32 s0, s0, s1
	s_and_b32 s0, s2, s0
	s_xor_b32 s1, s0, -1
	s_and_saveexec_b32 s2, s1
	s_xor_b32 s1, exec_lo, s2
; %bb.41:
	v_lshl_add_u32 v8, v2, 2, v0
	ds_read_b32 v8, v8 offset:4
; %bb.42:
	s_or_saveexec_b32 s1, s1
	v_mov_b32_e32 v9, v7
	s_xor_b32 exec_lo, exec_lo, s1
	s_cbranch_execz .LBB8_44
; %bb.43:
	s_waitcnt lgkmcnt(0)
	v_lshl_add_u32 v8, v1, 2, v0
	ds_read_b32 v9, v8 offset:4
	v_mov_b32_e32 v8, v6
.LBB8_44:
	s_or_b32 exec_lo, exec_lo, s1
	v_add_nc_u32_e32 v10, 1, v2
	v_add_nc_u32_e32 v11, 1, v1
	s_waitcnt lgkmcnt(0)
	v_cmp_lt_i32_e64 s2, v9, v8
	v_cndmask_b32_e64 v2, v10, v2, s0
	v_cndmask_b32_e64 v1, v1, v11, s0
                                        ; implicit-def: $vgpr10
	v_cmp_lt_i32_e64 s1, 15, v2
	v_cmp_gt_i32_e64 s3, 32, v1
	s_or_b32 s1, s1, s2
	s_and_b32 s1, s3, s1
	s_xor_b32 s2, s1, -1
	s_and_saveexec_b32 s3, s2
	s_xor_b32 s2, exec_lo, s3
; %bb.45:
	v_lshl_add_u32 v10, v2, 2, v0
	ds_read_b32 v10, v10 offset:4
; %bb.46:
	s_or_saveexec_b32 s2, s2
	v_mov_b32_e32 v11, v9
	s_xor_b32 exec_lo, exec_lo, s2
	s_cbranch_execz .LBB8_48
; %bb.47:
	s_waitcnt lgkmcnt(0)
	v_lshl_add_u32 v10, v1, 2, v0
	ds_read_b32 v11, v10 offset:4
	v_mov_b32_e32 v10, v8
.LBB8_48:
	s_or_b32 exec_lo, exec_lo, s2
	v_add_nc_u32_e32 v12, 1, v2
	v_add_nc_u32_e32 v13, 1, v1
	s_waitcnt lgkmcnt(0)
	v_cmp_lt_i32_e64 s3, v11, v10
	v_cndmask_b32_e64 v2, v12, v2, s1
	v_cndmask_b32_e64 v1, v1, v13, s1
                                        ; implicit-def: $vgpr12
	v_cmp_lt_i32_e64 s2, 15, v2
	v_cmp_gt_i32_e64 s4, 32, v1
	s_or_b32 s2, s2, s3
	s_and_b32 s2, s4, s2
	s_xor_b32 s3, s2, -1
	s_and_saveexec_b32 s4, s3
	s_xor_b32 s3, exec_lo, s4
; %bb.49:
	v_lshl_add_u32 v12, v2, 2, v0
	ds_read_b32 v12, v12 offset:4
; %bb.50:
	s_or_saveexec_b32 s3, s3
	v_mov_b32_e32 v13, v11
	s_xor_b32 exec_lo, exec_lo, s3
	s_cbranch_execz .LBB8_52
; %bb.51:
	s_waitcnt lgkmcnt(0)
	v_lshl_add_u32 v12, v1, 2, v0
	ds_read_b32 v13, v12 offset:4
	v_mov_b32_e32 v12, v10
.LBB8_52:
	s_or_b32 exec_lo, exec_lo, s3
	v_add_nc_u32_e32 v14, 1, v2
	v_add_nc_u32_e32 v16, 1, v1
	s_waitcnt lgkmcnt(0)
	v_cmp_lt_i32_e64 s4, v13, v12
	v_cndmask_b32_e64 v15, v14, v2, s2
	v_cndmask_b32_e64 v2, v1, v16, s2
                                        ; implicit-def: $vgpr1
	v_cmp_lt_i32_e64 s3, 15, v15
	v_cmp_gt_i32_e64 s5, 32, v2
	s_or_b32 s3, s3, s4
	s_and_b32 s3, s5, s3
	s_xor_b32 s4, s3, -1
	s_and_saveexec_b32 s5, s4
	s_xor_b32 s4, exec_lo, s5
; %bb.53:
	v_lshl_add_u32 v1, v15, 2, v0
	ds_read_b32 v1, v1 offset:4
; %bb.54:
	s_or_saveexec_b32 s4, s4
	v_mov_b32_e32 v14, v13
	s_xor_b32 exec_lo, exec_lo, s4
	s_cbranch_execz .LBB8_56
; %bb.55:
	s_waitcnt lgkmcnt(0)
	v_lshl_add_u32 v1, v2, 2, v0
	ds_read_b32 v14, v1 offset:4
	v_mov_b32_e32 v1, v12
.LBB8_56:
	s_or_b32 exec_lo, exec_lo, s4
	v_add_nc_u32_e32 v16, 1, v15
	v_add_nc_u32_e32 v18, 1, v2
	s_waitcnt lgkmcnt(0)
	v_cmp_lt_i32_e64 s5, v14, v1
	v_cndmask_b32_e64 v17, v16, v15, s3
	v_cndmask_b32_e64 v2, v2, v18, s3
                                        ; implicit-def: $vgpr16
	v_cmp_lt_i32_e64 s4, 15, v17
	v_cmp_gt_i32_e64 s6, 32, v2
	s_or_b32 s4, s4, s5
	s_and_b32 s4, s6, s4
	s_xor_b32 s5, s4, -1
	s_and_saveexec_b32 s6, s5
	s_xor_b32 s5, exec_lo, s6
; %bb.57:
	v_lshl_add_u32 v15, v17, 2, v0
	ds_read_b32 v16, v15 offset:4
; %bb.58:
	s_or_saveexec_b32 s5, s5
	v_mov_b32_e32 v15, v14
	s_xor_b32 exec_lo, exec_lo, s5
	s_cbranch_execz .LBB8_60
; %bb.59:
	v_lshl_add_u32 v15, v2, 2, v0
	s_waitcnt lgkmcnt(0)
	v_mov_b32_e32 v16, v1
	ds_read_b32 v15, v15 offset:4
.LBB8_60:
	s_or_b32 exec_lo, exec_lo, s5
	v_add_nc_u32_e32 v18, 1, v17
	v_add_nc_u32_e32 v19, 1, v2
	s_waitcnt lgkmcnt(0)
	v_cmp_ge_i32_e64 s6, v15, v16
	v_cndmask_b32_e64 v20, v18, v17, s4
	v_cndmask_b32_e64 v17, v2, v19, s4
                                        ; implicit-def: $vgpr18
                                        ; implicit-def: $vgpr19
	v_cmp_gt_i32_e64 s5, 16, v20
	v_cmp_lt_i32_e64 s7, 31, v17
	s_and_b32 s5, s5, s6
	s_or_b32 s5, s7, s5
	s_and_saveexec_b32 s6, s5
	s_xor_b32 s5, exec_lo, s6
; %bb.61:
	v_lshl_add_u32 v0, v20, 2, v0
	v_add_nc_u32_e32 v19, 1, v20
                                        ; implicit-def: $vgpr20
	ds_read_b32 v18, v0 offset:4
                                        ; implicit-def: $vgpr0
; %bb.62:
	s_or_saveexec_b32 s5, s5
	v_mov_b32_e32 v2, v16
	s_xor_b32 exec_lo, exec_lo, s5
	s_cbranch_execz .LBB8_64
; %bb.63:
	v_lshl_add_u32 v0, v17, 2, v0
	v_add_nc_u32_e32 v17, 1, v17
	v_mov_b32_e32 v2, v15
	v_mov_b32_e32 v19, v20
	s_waitcnt lgkmcnt(0)
	v_mov_b32_e32 v18, v16
	ds_read_b32 v0, v0 offset:4
	s_waitcnt lgkmcnt(0)
	v_mov_b32_e32 v15, v0
.LBB8_64:
	s_or_b32 exec_lo, exec_lo, s5
	v_cndmask_b32_e64 v0, v12, v13, s3
	v_cndmask_b32_e64 v10, v10, v11, s2
	v_cmp_lt_i32_e64 s2, 15, v19
	s_waitcnt lgkmcnt(0)
	v_cmp_lt_i32_e64 s3, v15, v18
	v_cndmask_b32_e64 v9, v8, v9, s1
	v_cmp_gt_i32_e64 s1, 32, v17
	v_cndmask_b32_e64 v8, v6, v7, s0
	v_cndmask_b32_e32 v7, v4, v5, vcc_lo
	s_or_b32 s0, s2, s3
	v_lshlrev_b32_e32 v4, 2, v3
	s_and_b32 vcc_lo, s1, s0
	v_cndmask_b32_e64 v1, v1, v14, s4
	v_cndmask_b32_e32 v3, v18, v15, vcc_lo
	s_add_u32 s0, s10, s12
	s_addc_u32 s1, s11, s13
	global_store_dwordx4 v4, v[7:10], s[0:1]
	global_store_dwordx4 v4, v[0:3], s[0:1] offset:16
	s_endpgm
	.section	.rodata,"a",@progbits
	.p2align	6, 0x0
	.amdhsa_kernel _Z9sort_keysILj256ELj4ELj8EiN10test_utils4lessEEvPKT2_PS2_T3_
		.amdhsa_group_segment_fixed_size 8448
		.amdhsa_private_segment_fixed_size 0
		.amdhsa_kernarg_size 20
		.amdhsa_user_sgpr_count 6
		.amdhsa_user_sgpr_private_segment_buffer 1
		.amdhsa_user_sgpr_dispatch_ptr 0
		.amdhsa_user_sgpr_queue_ptr 0
		.amdhsa_user_sgpr_kernarg_segment_ptr 1
		.amdhsa_user_sgpr_dispatch_id 0
		.amdhsa_user_sgpr_flat_scratch_init 0
		.amdhsa_user_sgpr_private_segment_size 0
		.amdhsa_wavefront_size32 1
		.amdhsa_uses_dynamic_stack 0
		.amdhsa_system_sgpr_private_segment_wavefront_offset 0
		.amdhsa_system_sgpr_workgroup_id_x 1
		.amdhsa_system_sgpr_workgroup_id_y 0
		.amdhsa_system_sgpr_workgroup_id_z 0
		.amdhsa_system_sgpr_workgroup_info 0
		.amdhsa_system_vgpr_workitem_id 0
		.amdhsa_next_free_vgpr 32
		.amdhsa_next_free_sgpr 14
		.amdhsa_reserve_vcc 1
		.amdhsa_reserve_flat_scratch 0
		.amdhsa_float_round_mode_32 0
		.amdhsa_float_round_mode_16_64 0
		.amdhsa_float_denorm_mode_32 3
		.amdhsa_float_denorm_mode_16_64 3
		.amdhsa_dx10_clamp 1
		.amdhsa_ieee_mode 1
		.amdhsa_fp16_overflow 0
		.amdhsa_workgroup_processor_mode 1
		.amdhsa_memory_ordered 1
		.amdhsa_forward_progress 1
		.amdhsa_shared_vgpr_count 0
		.amdhsa_exception_fp_ieee_invalid_op 0
		.amdhsa_exception_fp_denorm_src 0
		.amdhsa_exception_fp_ieee_div_zero 0
		.amdhsa_exception_fp_ieee_overflow 0
		.amdhsa_exception_fp_ieee_underflow 0
		.amdhsa_exception_fp_ieee_inexact 0
		.amdhsa_exception_int_div_zero 0
	.end_amdhsa_kernel
	.section	.text._Z9sort_keysILj256ELj4ELj8EiN10test_utils4lessEEvPKT2_PS2_T3_,"axG",@progbits,_Z9sort_keysILj256ELj4ELj8EiN10test_utils4lessEEvPKT2_PS2_T3_,comdat
.Lfunc_end8:
	.size	_Z9sort_keysILj256ELj4ELj8EiN10test_utils4lessEEvPKT2_PS2_T3_, .Lfunc_end8-_Z9sort_keysILj256ELj4ELj8EiN10test_utils4lessEEvPKT2_PS2_T3_
                                        ; -- End function
	.set _Z9sort_keysILj256ELj4ELj8EiN10test_utils4lessEEvPKT2_PS2_T3_.num_vgpr, 32
	.set _Z9sort_keysILj256ELj4ELj8EiN10test_utils4lessEEvPKT2_PS2_T3_.num_agpr, 0
	.set _Z9sort_keysILj256ELj4ELj8EiN10test_utils4lessEEvPKT2_PS2_T3_.numbered_sgpr, 14
	.set _Z9sort_keysILj256ELj4ELj8EiN10test_utils4lessEEvPKT2_PS2_T3_.num_named_barrier, 0
	.set _Z9sort_keysILj256ELj4ELj8EiN10test_utils4lessEEvPKT2_PS2_T3_.private_seg_size, 0
	.set _Z9sort_keysILj256ELj4ELj8EiN10test_utils4lessEEvPKT2_PS2_T3_.uses_vcc, 1
	.set _Z9sort_keysILj256ELj4ELj8EiN10test_utils4lessEEvPKT2_PS2_T3_.uses_flat_scratch, 0
	.set _Z9sort_keysILj256ELj4ELj8EiN10test_utils4lessEEvPKT2_PS2_T3_.has_dyn_sized_stack, 0
	.set _Z9sort_keysILj256ELj4ELj8EiN10test_utils4lessEEvPKT2_PS2_T3_.has_recursion, 0
	.set _Z9sort_keysILj256ELj4ELj8EiN10test_utils4lessEEvPKT2_PS2_T3_.has_indirect_call, 0
	.section	.AMDGPU.csdata,"",@progbits
; Kernel info:
; codeLenInByte = 3380
; TotalNumSgprs: 16
; NumVgprs: 32
; ScratchSize: 0
; MemoryBound: 0
; FloatMode: 240
; IeeeMode: 1
; LDSByteSize: 8448 bytes/workgroup (compile time only)
; SGPRBlocks: 0
; VGPRBlocks: 3
; NumSGPRsForWavesPerEU: 16
; NumVGPRsForWavesPerEU: 32
; Occupancy: 16
; WaveLimiterHint : 0
; COMPUTE_PGM_RSRC2:SCRATCH_EN: 0
; COMPUTE_PGM_RSRC2:USER_SGPR: 6
; COMPUTE_PGM_RSRC2:TRAP_HANDLER: 0
; COMPUTE_PGM_RSRC2:TGID_X_EN: 1
; COMPUTE_PGM_RSRC2:TGID_Y_EN: 0
; COMPUTE_PGM_RSRC2:TGID_Z_EN: 0
; COMPUTE_PGM_RSRC2:TIDIG_COMP_CNT: 0
	.section	.text._Z10sort_pairsILj256ELj4ELj8EiN10test_utils4lessEEvPKT2_PS2_T3_,"axG",@progbits,_Z10sort_pairsILj256ELj4ELj8EiN10test_utils4lessEEvPKT2_PS2_T3_,comdat
	.protected	_Z10sort_pairsILj256ELj4ELj8EiN10test_utils4lessEEvPKT2_PS2_T3_ ; -- Begin function _Z10sort_pairsILj256ELj4ELj8EiN10test_utils4lessEEvPKT2_PS2_T3_
	.globl	_Z10sort_pairsILj256ELj4ELj8EiN10test_utils4lessEEvPKT2_PS2_T3_
	.p2align	8
	.type	_Z10sort_pairsILj256ELj4ELj8EiN10test_utils4lessEEvPKT2_PS2_T3_,@function
_Z10sort_pairsILj256ELj4ELj8EiN10test_utils4lessEEvPKT2_PS2_T3_: ; @_Z10sort_pairsILj256ELj4ELj8EiN10test_utils4lessEEvPKT2_PS2_T3_
; %bb.0:
	s_load_dwordx4 s[20:23], s[4:5], 0x0
	s_mov_b32 s1, 0
	s_lshl_b32 s0, s6, 11
	v_lshlrev_b32_e32 v1, 5, v0
	s_lshl_b64 s[24:25], s[0:1], 2
	v_mov_b32_e32 v22, 0
	s_mov_b32 s12, exec_lo
	s_waitcnt lgkmcnt(0)
	s_add_u32 s0, s20, s24
	s_addc_u32 s1, s21, s25
	s_clause 0x1
	global_load_dwordx4 v[4:7], v1, s[0:1]
	global_load_dwordx4 v[8:11], v1, s[0:1] offset:16
	s_waitcnt vmcnt(1)
	v_add_nc_u32_e32 v1, 1, v4
	v_add_nc_u32_e32 v2, 1, v5
	;; [unrolled: 1-line block ×4, first 2 shown]
	s_waitcnt vmcnt(0)
	v_add_nc_u32_e32 v14, 1, v8
	v_add_nc_u32_e32 v15, 1, v9
	;; [unrolled: 1-line block ×4, first 2 shown]
	v_cmp_lt_i32_e32 vcc_lo, v5, v4
	v_cmp_lt_i32_e64 s0, v7, v6
	v_cmp_lt_i32_e64 s1, v9, v8
	v_cmp_lt_i32_e64 s2, v11, v10
	v_cndmask_b32_e32 v18, v2, v1, vcc_lo
	v_cndmask_b32_e32 v3, v1, v2, vcc_lo
	;; [unrolled: 1-line block ×4, first 2 shown]
	v_cndmask_b32_e64 v5, v13, v12, s0
	v_cndmask_b32_e64 v4, v12, v13, s0
	;; [unrolled: 1-line block ×12, first 2 shown]
	v_cmp_lt_i32_e32 vcc_lo, v6, v2
	v_cmp_lt_i32_e64 s0, v8, v12
	v_cmp_lt_i32_e64 s1, v10, v14
	v_cndmask_b32_e32 v11, v4, v18, vcc_lo
	v_cndmask_b32_e64 v17, v13, v5, s0
	v_cndmask_b32_e32 v4, v18, v4, vcc_lo
	v_cndmask_b32_e32 v18, v6, v2, vcc_lo
	;; [unrolled: 1-line block ×3, first 2 shown]
	v_cndmask_b32_e64 v6, v5, v13, s0
	v_cndmask_b32_e64 v13, v8, v12, s0
	;; [unrolled: 1-line block ×7, first 2 shown]
	v_cmp_lt_i32_e32 vcc_lo, v2, v1
	v_cmp_lt_i32_e64 s0, v8, v18
	v_cmp_lt_i32_e64 s1, v10, v13
	;; [unrolled: 1-line block ×3, first 2 shown]
	v_cndmask_b32_e32 v21, v1, v2, vcc_lo
	v_cndmask_b32_e64 v14, v6, v11, s0
	v_cndmask_b32_e64 v15, v7, v17, s1
	v_cndmask_b32_e32 v1, v2, v1, vcc_lo
	v_cndmask_b32_e64 v6, v11, v6, s0
	v_cndmask_b32_e64 v2, v8, v18, s0
	v_cndmask_b32_e64 v8, v18, v8, s0
	v_cndmask_b32_e64 v11, v17, v7, s1
	v_cndmask_b32_e64 v17, v10, v13, s1
	v_cndmask_b32_e64 v10, v13, v10, s1
	v_cndmask_b32_e64 v18, v16, v12, s2
	v_cndmask_b32_e64 v12, v12, v16, s2
	v_cndmask_b32_e64 v20, v9, v19, s2
	v_cndmask_b32_e64 v13, v19, v9, s2
	v_cmp_lt_i32_e64 s0, v8, v1
	v_cmp_lt_i32_e64 s1, v10, v2
	;; [unrolled: 1-line block ×3, first 2 shown]
	v_cndmask_b32_e32 v5, v4, v3, vcc_lo
	v_cndmask_b32_e64 v23, v8, v1, s0
	v_cndmask_b32_e64 v16, v11, v14, s1
	;; [unrolled: 1-line block ×10, first 2 shown]
	v_cmp_lt_i32_e64 s1, v1, v21
	v_cmp_lt_i32_e64 s2, v2, v23
	;; [unrolled: 1-line block ×4, first 2 shown]
	v_cndmask_b32_e64 v7, v6, v5, s0
	v_cndmask_b32_e64 v17, v21, v1, s1
	;; [unrolled: 1-line block ×13, first 2 shown]
	v_cmp_lt_i32_e64 s3, v2, v1
	v_cmp_lt_i32_e64 s4, v8, v21
	;; [unrolled: 1-line block ×3, first 2 shown]
	v_cndmask_b32_e64 v10, v9, v7, s2
	v_cndmask_b32_e64 v19, v2, v1, s3
	v_cndmask_b32_e64 v20, v1, v2, s3
	v_cndmask_b32_e64 v26, v8, v21, s4
	v_cndmask_b32_e64 v8, v21, v8, s4
	v_cndmask_b32_e64 v21, v18, v23, s5
	v_cndmask_b32_e64 v18, v23, v18, s5
	v_cndmask_b32_e64 v15, v12, v24, s5
	v_cndmask_b32_e64 v16, v24, v12, s5
	v_cmp_lt_i32_e64 s5, v20, v17
	v_cmp_lt_i32_e64 s6, v8, v19
	;; [unrolled: 1-line block ×4, first 2 shown]
	v_cndmask_b32_e64 v14, v13, v10, s4
	v_cndmask_b32_e64 v2, v17, v20, s5
	;; [unrolled: 1-line block ×9, first 2 shown]
	v_cmp_lt_i32_e64 s8, v27, v17
	v_cndmask_b32_e64 v12, v16, v14, s7
	v_cmp_lt_i32_e64 s9, v18, v24
	v_cndmask_b32_e64 v20, v25, v21, s10
	v_mov_b32_e32 v28, v8
	v_cndmask_b32_e64 v21, v27, v17, s8
	v_cndmask_b32_e64 v25, v17, v27, s8
	;; [unrolled: 1-line block ×4, first 2 shown]
	v_mov_b32_e32 v17, v1
	v_cmpx_lt_i32_e64 v8, v19
; %bb.1:
	v_mov_b32_e32 v28, v19
	v_mov_b32_e32 v19, v8
	;; [unrolled: 1-line block ×4, first 2 shown]
; %bb.2:
	s_or_b32 exec_lo, exec_lo, s12
	v_mbcnt_lo_u32_b32 v1, -1, 0
	v_lshrrev_b32_e32 v29, 2, v0
	v_lshlrev_b32_e32 v0, 3, v0
	; wave barrier
	v_lshlrev_b32_e32 v1, 3, v1
	s_mov_b32 s12, exec_lo
	v_and_b32_e32 v26, 16, v1
	v_and_b32_e32 v8, 24, v1
	;; [unrolled: 1-line block ×3, first 2 shown]
	v_or_b32_e32 v18, 8, v26
	v_lshlrev_b32_e32 v30, 2, v8
	v_lshlrev_b32_e32 v32, 2, v26
	v_sub_nc_u32_e32 v31, v18, v26
	v_mad_u32_u24 v1, 0x84, v29, v30
	ds_write2_b32 v1, v2, v25 offset1:1
	ds_write2_b32 v1, v21, v27 offset0:2 offset1:3
	v_min_i32_e32 v30, v24, v31
	v_mad_u32_u24 v21, 0x84, v29, v32
	ds_write2_b32 v1, v23, v19 offset0:4 offset1:5
	ds_write2_b32 v1, v28, v20 offset0:6 offset1:7
	; wave barrier
	v_cmpx_lt_i32_e32 0, v30
	s_cbranch_execz .LBB9_6
; %bb.3:
	v_lshl_add_u32 v2, v24, 2, v21
	v_mov_b32_e32 v22, 0
	s_mov_b32 s13, 0
	.p2align	6
.LBB9_4:                                ; =>This Inner Loop Header: Depth=1
	v_sub_nc_u32_e32 v19, v30, v22
	v_lshrrev_b32_e32 v19, 1, v19
	v_add_nc_u32_e32 v19, v19, v22
	v_not_b32_e32 v20, v19
	v_lshl_add_u32 v23, v19, 2, v21
	v_add_nc_u32_e32 v25, 1, v19
	v_lshl_add_u32 v20, v20, 2, v2
	ds_read_b32 v23, v23
	ds_read_b32 v20, v20 offset:32
	s_waitcnt lgkmcnt(0)
	v_cmp_lt_i32_e64 s11, v20, v23
	v_cndmask_b32_e64 v30, v30, v19, s11
	v_cndmask_b32_e64 v22, v25, v22, s11
	v_cmp_ge_i32_e64 s11, v22, v30
	s_or_b32 s13, s11, s13
	s_andn2_b32 exec_lo, exec_lo, s13
	s_cbranch_execnz .LBB9_4
; %bb.5:
	s_or_b32 exec_lo, exec_lo, s13
.LBB9_6:
	s_or_b32 exec_lo, exec_lo, s12
	v_add_nc_u32_e32 v19, v26, v24
	v_mul_u32_u24_e32 v2, 0x84, v29
	v_lshl_add_u32 v23, v22, 2, v21
	v_add_nc_u32_e32 v21, v18, v24
	v_add_nc_u32_e32 v24, 16, v26
	v_sub_nc_u32_e32 v19, v19, v22
	v_cmp_lt_i32_e64 s11, 7, v22
	v_sub_nc_u32_e32 v25, v21, v22
                                        ; implicit-def: $vgpr21
	v_lshl_add_u32 v27, v19, 2, v2
	ds_read_b32 v19, v23
	ds_read_b32 v20, v27 offset:32
	v_cmp_gt_i32_e64 s13, v24, v25
	s_waitcnt lgkmcnt(0)
	v_cmp_lt_i32_e64 s12, v20, v19
	s_or_b32 s11, s11, s12
	s_and_b32 s11, s13, s11
	s_xor_b32 s12, s11, -1
	s_and_saveexec_b32 s13, s12
	s_xor_b32 s12, exec_lo, s13
; %bb.7:
	ds_read_b32 v21, v23 offset:4
                                        ; implicit-def: $vgpr27
; %bb.8:
	s_or_saveexec_b32 s12, s12
	v_mov_b32_e32 v23, v20
	s_xor_b32 exec_lo, exec_lo, s12
	s_cbranch_execz .LBB9_10
; %bb.9:
	ds_read_b32 v23, v27 offset:36
	s_waitcnt lgkmcnt(1)
	v_mov_b32_e32 v21, v19
.LBB9_10:
	s_or_b32 exec_lo, exec_lo, s12
	v_add_nc_u32_e32 v27, v22, v26
	v_add_nc_u32_e32 v26, 1, v25
	s_waitcnt lgkmcnt(0)
	v_cmp_lt_i32_e64 s13, v23, v21
	v_add_nc_u32_e32 v22, 1, v27
	v_cndmask_b32_e64 v30, v25, v26, s11
	v_cndmask_b32_e64 v29, v22, v27, s11
	v_cmp_lt_i32_e64 s14, v30, v24
                                        ; implicit-def: $vgpr22
	v_cmp_ge_i32_e64 s12, v29, v18
	s_or_b32 s12, s12, s13
	s_and_b32 s12, s14, s12
	s_xor_b32 s13, s12, -1
	s_and_saveexec_b32 s14, s13
	s_xor_b32 s13, exec_lo, s14
; %bb.11:
	v_lshl_add_u32 v22, v29, 2, v2
	ds_read_b32 v22, v22 offset:4
; %bb.12:
	s_or_saveexec_b32 s13, s13
	v_mov_b32_e32 v26, v23
	s_xor_b32 exec_lo, exec_lo, s13
	s_cbranch_execz .LBB9_14
; %bb.13:
	s_waitcnt lgkmcnt(0)
	v_lshl_add_u32 v22, v30, 2, v2
	ds_read_b32 v26, v22 offset:4
	v_mov_b32_e32 v22, v21
.LBB9_14:
	s_or_b32 exec_lo, exec_lo, s13
	v_add_nc_u32_e32 v28, 1, v29
	v_add_nc_u32_e32 v31, 1, v30
	s_waitcnt lgkmcnt(0)
	v_cmp_lt_i32_e64 s14, v26, v22
	v_cndmask_b32_e64 v33, v28, v29, s12
	v_cndmask_b32_e64 v34, v30, v31, s12
                                        ; implicit-def: $vgpr28
	v_cmp_ge_i32_e64 s13, v33, v18
	v_cmp_lt_i32_e64 s15, v34, v24
	s_or_b32 s13, s13, s14
	s_and_b32 s13, s15, s13
	s_xor_b32 s14, s13, -1
	s_and_saveexec_b32 s15, s14
	s_xor_b32 s14, exec_lo, s15
; %bb.15:
	v_lshl_add_u32 v28, v33, 2, v2
	ds_read_b32 v28, v28 offset:4
; %bb.16:
	s_or_saveexec_b32 s14, s14
	v_mov_b32_e32 v31, v26
	s_xor_b32 exec_lo, exec_lo, s14
	s_cbranch_execz .LBB9_18
; %bb.17:
	s_waitcnt lgkmcnt(0)
	v_lshl_add_u32 v28, v34, 2, v2
	ds_read_b32 v31, v28 offset:4
	v_mov_b32_e32 v28, v22
.LBB9_18:
	s_or_b32 exec_lo, exec_lo, s14
	v_add_nc_u32_e32 v32, 1, v33
	v_add_nc_u32_e32 v35, 1, v34
	s_waitcnt lgkmcnt(0)
	v_cmp_lt_i32_e64 s15, v31, v28
	v_cndmask_b32_e64 v37, v32, v33, s13
	v_cndmask_b32_e64 v38, v34, v35, s13
                                        ; implicit-def: $vgpr32
	v_cmp_ge_i32_e64 s14, v37, v18
	v_cmp_lt_i32_e64 s16, v38, v24
	s_or_b32 s14, s14, s15
	s_and_b32 s14, s16, s14
	s_xor_b32 s15, s14, -1
	s_and_saveexec_b32 s16, s15
	s_xor_b32 s15, exec_lo, s16
; %bb.19:
	v_lshl_add_u32 v32, v37, 2, v2
	ds_read_b32 v32, v32 offset:4
; %bb.20:
	s_or_saveexec_b32 s15, s15
	v_mov_b32_e32 v35, v31
	s_xor_b32 exec_lo, exec_lo, s15
	s_cbranch_execz .LBB9_22
; %bb.21:
	s_waitcnt lgkmcnt(0)
	v_lshl_add_u32 v32, v38, 2, v2
	ds_read_b32 v35, v32 offset:4
	v_mov_b32_e32 v32, v28
.LBB9_22:
	s_or_b32 exec_lo, exec_lo, s15
	v_add_nc_u32_e32 v36, 1, v37
	v_add_nc_u32_e32 v39, 1, v38
	s_waitcnt lgkmcnt(0)
	v_cmp_lt_i32_e64 s16, v35, v32
	v_cndmask_b32_e64 v41, v36, v37, s14
	v_cndmask_b32_e64 v42, v38, v39, s14
                                        ; implicit-def: $vgpr36
	v_cmp_ge_i32_e64 s15, v41, v18
	v_cmp_lt_i32_e64 s17, v42, v24
	s_or_b32 s15, s15, s16
	s_and_b32 s15, s17, s15
	s_xor_b32 s16, s15, -1
	s_and_saveexec_b32 s17, s16
	s_xor_b32 s16, exec_lo, s17
; %bb.23:
	v_lshl_add_u32 v36, v41, 2, v2
	ds_read_b32 v36, v36 offset:4
; %bb.24:
	s_or_saveexec_b32 s16, s16
	v_mov_b32_e32 v39, v35
	s_xor_b32 exec_lo, exec_lo, s16
	s_cbranch_execz .LBB9_26
; %bb.25:
	s_waitcnt lgkmcnt(0)
	v_lshl_add_u32 v36, v42, 2, v2
	ds_read_b32 v39, v36 offset:4
	v_mov_b32_e32 v36, v32
.LBB9_26:
	s_or_b32 exec_lo, exec_lo, s16
	v_add_nc_u32_e32 v40, 1, v41
	v_add_nc_u32_e32 v43, 1, v42
	s_waitcnt lgkmcnt(0)
	v_cmp_lt_i32_e64 s17, v39, v36
	v_cndmask_b32_e64 v44, v40, v41, s15
	v_cndmask_b32_e64 v45, v42, v43, s15
                                        ; implicit-def: $vgpr40
	v_cmp_ge_i32_e64 s16, v44, v18
	v_cmp_lt_i32_e64 s18, v45, v24
	s_or_b32 s16, s16, s17
	s_and_b32 s16, s18, s16
	s_xor_b32 s17, s16, -1
	s_and_saveexec_b32 s18, s17
	s_xor_b32 s17, exec_lo, s18
; %bb.27:
	v_lshl_add_u32 v40, v44, 2, v2
	ds_read_b32 v40, v40 offset:4
; %bb.28:
	s_or_saveexec_b32 s17, s17
	v_mov_b32_e32 v43, v39
	s_xor_b32 exec_lo, exec_lo, s17
	s_cbranch_execz .LBB9_30
; %bb.29:
	s_waitcnt lgkmcnt(0)
	v_lshl_add_u32 v40, v45, 2, v2
	ds_read_b32 v43, v40 offset:4
	v_mov_b32_e32 v40, v36
.LBB9_30:
	s_or_b32 exec_lo, exec_lo, s17
	v_add_nc_u32_e32 v46, 1, v44
	v_add_nc_u32_e32 v47, 1, v45
	s_waitcnt lgkmcnt(0)
	v_cmp_lt_i32_e64 s18, v43, v40
	v_cndmask_b32_e64 v48, v46, v44, s16
	v_cndmask_b32_e64 v49, v45, v47, s16
                                        ; implicit-def: $vgpr46
	v_cmp_ge_i32_e64 s17, v48, v18
	v_cmp_lt_i32_e64 s19, v49, v24
	s_or_b32 s17, s17, s18
	s_and_b32 s17, s19, s17
	s_xor_b32 s18, s17, -1
	s_and_saveexec_b32 s19, s18
	s_xor_b32 s18, exec_lo, s19
; %bb.31:
	v_lshl_add_u32 v46, v48, 2, v2
	ds_read_b32 v46, v46 offset:4
; %bb.32:
	s_or_saveexec_b32 s18, s18
	v_mov_b32_e32 v47, v43
	s_xor_b32 exec_lo, exec_lo, s18
	s_cbranch_execz .LBB9_34
; %bb.33:
	s_waitcnt lgkmcnt(0)
	v_lshl_add_u32 v46, v49, 2, v2
	ds_read_b32 v47, v46 offset:4
	v_mov_b32_e32 v46, v40
.LBB9_34:
	s_or_b32 exec_lo, exec_lo, s18
	v_cndmask_b32_e32 v3, v3, v4, vcc_lo
	v_cndmask_b32_e64 v4, v5, v6, s0
	v_cndmask_b32_e64 v44, v44, v45, s16
	;; [unrolled: 1-line block ×3, first 2 shown]
	v_add_nc_u32_e32 v51, 1, v48
	v_add_nc_u32_e32 v50, 1, v49
	v_cndmask_b32_e64 v45, v4, v3, s1
	v_cndmask_b32_e64 v3, v3, v4, s1
	;; [unrolled: 1-line block ×8, first 2 shown]
	v_cmp_ge_i32_e32 vcc_lo, v6, v18
	s_waitcnt lgkmcnt(0)
	v_cmp_lt_i32_e64 s0, v47, v46
	v_cndmask_b32_e64 v27, v4, v3, s5
	v_cndmask_b32_e64 v3, v3, v4, s5
	;; [unrolled: 1-line block ×5, first 2 shown]
	v_cmp_lt_i32_e64 s1, v5, v24
	v_cndmask_b32_e64 v13, v29, v30, s12
	v_cndmask_b32_e64 v11, v11, v15, s10
	;; [unrolled: 1-line block ×5, first 2 shown]
	s_or_b32 s0, vcc_lo, s0
	v_cndmask_b32_e64 v4, v4, v10, s9
	v_cndmask_b32_e64 v33, v33, v34, s13
	;; [unrolled: 1-line block ×3, first 2 shown]
	s_and_b32 vcc_lo, s1, s0
	v_cndmask_b32_e64 v48, v48, v49, s17
	v_cndmask_b32_e64 v9, v41, v42, s15
	v_cndmask_b32_e32 v5, v6, v5, vcc_lo
	; wave barrier
	ds_write2_b32 v1, v3, v7 offset1:1
	ds_write2_b32 v1, v14, v4 offset0:2 offset1:3
	ds_write2_b32 v1, v15, v12 offset0:4 offset1:5
	ds_write2_b32 v1, v17, v11 offset0:6 offset1:7
	v_lshl_add_u32 v3, v25, 2, v2
	v_lshl_add_u32 v4, v13, 2, v2
	;; [unrolled: 1-line block ×7, first 2 shown]
	; wave barrier
	v_lshl_add_u32 v12, v5, 2, v2
	ds_read_b32 v3, v3
	ds_read_b32 v4, v4
	;; [unrolled: 1-line block ×8, first 2 shown]
	v_cndmask_b32_e64 v21, v21, v23, s12
	v_cndmask_b32_e64 v19, v19, v20, s11
	v_sub_nc_u32_e64 v12, v8, 16 clamp
	v_min_u32_e32 v13, 16, v8
	v_cndmask_b32_e64 v18, v28, v31, s14
	v_cndmask_b32_e64 v22, v22, v26, s13
	;; [unrolled: 1-line block ×4, first 2 shown]
	v_cndmask_b32_e32 v16, v46, v47, vcc_lo
	v_cndmask_b32_e64 v14, v40, v43, s17
	s_mov_b32 s0, exec_lo
	; wave barrier
	ds_write2_b32 v1, v19, v21 offset1:1
	ds_write2_b32 v1, v22, v18 offset0:2 offset1:3
	ds_write2_b32 v1, v17, v15 offset0:4 offset1:5
	ds_write2_b32 v1, v14, v16 offset0:6 offset1:7
	; wave barrier
	v_cmpx_lt_u32_e64 v12, v13
	s_cbranch_execz .LBB9_38
; %bb.35:
	s_mov_b32 s1, 0
	.p2align	6
.LBB9_36:                               ; =>This Inner Loop Header: Depth=1
	v_sub_nc_u32_e32 v14, v13, v12
	v_lshrrev_b32_e32 v14, 1, v14
	v_add_nc_u32_e32 v14, v14, v12
	v_not_b32_e32 v15, v14
	v_lshl_add_u32 v16, v14, 2, v2
	v_add_nc_u32_e32 v17, 1, v14
	v_lshl_add_u32 v15, v15, 2, v1
	ds_read_b32 v16, v16
	ds_read_b32 v15, v15 offset:64
	s_waitcnt lgkmcnt(0)
	v_cmp_lt_i32_e32 vcc_lo, v15, v16
	v_cndmask_b32_e32 v13, v13, v14, vcc_lo
	v_cndmask_b32_e32 v12, v17, v12, vcc_lo
	v_cmp_ge_i32_e32 vcc_lo, v12, v13
	s_or_b32 s1, vcc_lo, s1
	s_andn2_b32 exec_lo, exec_lo, s1
	s_cbranch_execnz .LBB9_36
; %bb.37:
	s_or_b32 exec_lo, exec_lo, s1
.LBB9_38:
	s_or_b32 exec_lo, exec_lo, s0
	v_sub_nc_u32_e32 v14, v8, v12
	v_lshl_add_u32 v15, v12, 2, v2
	v_cmp_lt_i32_e32 vcc_lo, 15, v12
	v_lshl_add_u32 v17, v14, 2, v2
	v_add_nc_u32_e32 v16, 16, v14
                                        ; implicit-def: $vgpr14
	ds_read_b32 v8, v15
	ds_read_b32 v13, v17 offset:64
	v_cmp_gt_i32_e64 s1, 32, v16
	s_waitcnt lgkmcnt(0)
	v_cmp_lt_i32_e64 s0, v13, v8
	s_or_b32 s0, vcc_lo, s0
	s_and_b32 vcc_lo, s1, s0
	s_xor_b32 s0, vcc_lo, -1
	s_and_saveexec_b32 s1, s0
	s_xor_b32 s0, exec_lo, s1
; %bb.39:
	ds_read_b32 v14, v15 offset:4
                                        ; implicit-def: $vgpr17
; %bb.40:
	s_or_saveexec_b32 s0, s0
	v_mov_b32_e32 v15, v13
	s_xor_b32 exec_lo, exec_lo, s0
	s_cbranch_execz .LBB9_42
; %bb.41:
	ds_read_b32 v15, v17 offset:68
	s_waitcnt lgkmcnt(1)
	v_mov_b32_e32 v14, v8
.LBB9_42:
	s_or_b32 exec_lo, exec_lo, s0
	v_add_nc_u32_e32 v17, 1, v12
	v_add_nc_u32_e32 v18, 1, v16
	s_waitcnt lgkmcnt(0)
	v_cmp_lt_i32_e64 s1, v15, v14
	v_cndmask_b32_e32 v19, v17, v12, vcc_lo
	v_cndmask_b32_e32 v20, v16, v18, vcc_lo
                                        ; implicit-def: $vgpr17
	v_cmp_lt_i32_e64 s0, 15, v19
	v_cmp_gt_i32_e64 s2, 32, v20
	s_or_b32 s0, s0, s1
	s_and_b32 s0, s2, s0
	s_xor_b32 s1, s0, -1
	s_and_saveexec_b32 s2, s1
	s_xor_b32 s1, exec_lo, s2
; %bb.43:
	v_lshl_add_u32 v17, v19, 2, v2
	ds_read_b32 v17, v17 offset:4
; %bb.44:
	s_or_saveexec_b32 s1, s1
	v_mov_b32_e32 v18, v15
	s_xor_b32 exec_lo, exec_lo, s1
	s_cbranch_execz .LBB9_46
; %bb.45:
	s_waitcnt lgkmcnt(0)
	v_lshl_add_u32 v17, v20, 2, v2
	ds_read_b32 v18, v17 offset:4
	v_mov_b32_e32 v17, v14
.LBB9_46:
	s_or_b32 exec_lo, exec_lo, s1
	v_add_nc_u32_e32 v21, 1, v19
	v_add_nc_u32_e32 v22, 1, v20
	s_waitcnt lgkmcnt(0)
	v_cmp_lt_i32_e64 s2, v18, v17
	v_cndmask_b32_e64 v23, v21, v19, s0
	v_cndmask_b32_e64 v24, v20, v22, s0
                                        ; implicit-def: $vgpr21
	v_cmp_lt_i32_e64 s1, 15, v23
	v_cmp_gt_i32_e64 s3, 32, v24
	s_or_b32 s1, s1, s2
	s_and_b32 s1, s3, s1
	s_xor_b32 s2, s1, -1
	s_and_saveexec_b32 s3, s2
	s_xor_b32 s2, exec_lo, s3
; %bb.47:
	v_lshl_add_u32 v21, v23, 2, v2
	ds_read_b32 v21, v21 offset:4
; %bb.48:
	s_or_saveexec_b32 s2, s2
	v_mov_b32_e32 v22, v18
	s_xor_b32 exec_lo, exec_lo, s2
	s_cbranch_execz .LBB9_50
; %bb.49:
	s_waitcnt lgkmcnt(0)
	v_lshl_add_u32 v21, v24, 2, v2
	ds_read_b32 v22, v21 offset:4
	v_mov_b32_e32 v21, v17
.LBB9_50:
	s_or_b32 exec_lo, exec_lo, s2
	v_add_nc_u32_e32 v25, 1, v23
	v_add_nc_u32_e32 v26, 1, v24
	s_waitcnt lgkmcnt(0)
	v_cmp_lt_i32_e64 s3, v22, v21
	v_cndmask_b32_e64 v27, v25, v23, s1
	v_cndmask_b32_e64 v28, v24, v26, s1
                                        ; implicit-def: $vgpr25
	v_cmp_lt_i32_e64 s2, 15, v27
	v_cmp_gt_i32_e64 s4, 32, v28
	s_or_b32 s2, s2, s3
	s_and_b32 s2, s4, s2
	s_xor_b32 s3, s2, -1
	s_and_saveexec_b32 s4, s3
	s_xor_b32 s3, exec_lo, s4
; %bb.51:
	v_lshl_add_u32 v25, v27, 2, v2
	ds_read_b32 v25, v25 offset:4
; %bb.52:
	s_or_saveexec_b32 s3, s3
	v_mov_b32_e32 v26, v22
	s_xor_b32 exec_lo, exec_lo, s3
	s_cbranch_execz .LBB9_54
; %bb.53:
	s_waitcnt lgkmcnt(0)
	v_lshl_add_u32 v25, v28, 2, v2
	ds_read_b32 v26, v25 offset:4
	v_mov_b32_e32 v25, v21
.LBB9_54:
	s_or_b32 exec_lo, exec_lo, s3
	v_add_nc_u32_e32 v29, 1, v27
	v_add_nc_u32_e32 v30, 1, v28
	s_waitcnt lgkmcnt(0)
	v_cmp_lt_i32_e64 s4, v26, v25
	v_cndmask_b32_e64 v31, v29, v27, s2
	v_cndmask_b32_e64 v32, v28, v30, s2
                                        ; implicit-def: $vgpr29
	v_cmp_lt_i32_e64 s3, 15, v31
	v_cmp_gt_i32_e64 s5, 32, v32
	s_or_b32 s3, s3, s4
	s_and_b32 s3, s5, s3
	s_xor_b32 s4, s3, -1
	s_and_saveexec_b32 s5, s4
	s_xor_b32 s4, exec_lo, s5
; %bb.55:
	v_lshl_add_u32 v29, v31, 2, v2
	ds_read_b32 v29, v29 offset:4
; %bb.56:
	s_or_saveexec_b32 s4, s4
	v_mov_b32_e32 v30, v26
	s_xor_b32 exec_lo, exec_lo, s4
	s_cbranch_execz .LBB9_58
; %bb.57:
	s_waitcnt lgkmcnt(0)
	v_lshl_add_u32 v29, v32, 2, v2
	ds_read_b32 v30, v29 offset:4
	v_mov_b32_e32 v29, v25
.LBB9_58:
	s_or_b32 exec_lo, exec_lo, s4
	v_add_nc_u32_e32 v33, 1, v31
	v_add_nc_u32_e32 v34, 1, v32
	s_waitcnt lgkmcnt(0)
	v_cmp_lt_i32_e64 s5, v30, v29
                                        ; implicit-def: $vgpr38
	v_cndmask_b32_e64 v33, v33, v31, s3
	v_cndmask_b32_e64 v34, v32, v34, s3
	v_cmp_lt_i32_e64 s4, 15, v33
	v_cmp_gt_i32_e64 s6, 32, v34
	s_or_b32 s4, s4, s5
	s_and_b32 s4, s6, s4
	s_xor_b32 s5, s4, -1
	s_and_saveexec_b32 s6, s5
	s_xor_b32 s5, exec_lo, s6
; %bb.59:
	v_lshl_add_u32 v35, v33, 2, v2
	ds_read_b32 v38, v35 offset:4
; %bb.60:
	s_or_saveexec_b32 s5, s5
	v_mov_b32_e32 v36, v30
	s_xor_b32 exec_lo, exec_lo, s5
	s_cbranch_execz .LBB9_62
; %bb.61:
	v_lshl_add_u32 v35, v34, 2, v2
	s_waitcnt lgkmcnt(0)
	v_mov_b32_e32 v38, v29
	ds_read_b32 v36, v35 offset:4
.LBB9_62:
	s_or_b32 exec_lo, exec_lo, s5
	v_add_nc_u32_e32 v35, 1, v33
	v_add_nc_u32_e32 v37, 1, v34
	s_waitcnt lgkmcnt(0)
	v_cmp_ge_i32_e64 s6, v36, v38
                                        ; implicit-def: $vgpr41
                                        ; implicit-def: $vgpr40
	v_cndmask_b32_e64 v42, v35, v33, s4
	v_cndmask_b32_e64 v37, v34, v37, s4
	v_cmp_gt_i32_e64 s5, 16, v42
	v_cmp_lt_i32_e64 s7, 31, v37
	s_and_b32 s5, s5, s6
	s_or_b32 s5, s7, s5
	s_and_saveexec_b32 s6, s5
	s_xor_b32 s5, exec_lo, s6
; %bb.63:
	v_lshl_add_u32 v35, v42, 2, v2
	v_add_nc_u32_e32 v40, 1, v42
	ds_read_b32 v41, v35 offset:4
; %bb.64:
	s_or_saveexec_b32 s5, s5
	v_mov_b32_e32 v35, v38
	v_mov_b32_e32 v39, v42
	s_xor_b32 exec_lo, exec_lo, s5
	s_cbranch_execz .LBB9_66
; %bb.65:
	v_lshl_add_u32 v35, v37, 2, v2
	s_waitcnt lgkmcnt(0)
	v_add_nc_u32_e32 v41, 1, v37
	v_mov_b32_e32 v39, v37
	v_mov_b32_e32 v40, v42
	ds_read_b32 v43, v35 offset:4
	v_mov_b32_e32 v35, v36
	v_mov_b32_e32 v37, v41
	;; [unrolled: 1-line block ×3, first 2 shown]
	s_waitcnt lgkmcnt(0)
	v_mov_b32_e32 v36, v43
.LBB9_66:
	s_or_b32 exec_lo, exec_lo, s5
	v_cmp_lt_i32_e64 s5, 15, v40
	s_waitcnt lgkmcnt(0)
	v_cmp_lt_i32_e64 s6, v36, v41
	v_cmp_gt_i32_e64 s7, 32, v37
	v_cndmask_b32_e32 v12, v12, v16, vcc_lo
	v_cndmask_b32_e64 v19, v19, v20, s0
	v_cndmask_b32_e64 v23, v23, v24, s1
	s_or_b32 s5, s5, s6
	v_cndmask_b32_e64 v27, v27, v28, s2
	s_and_b32 s5, s7, s5
	v_cndmask_b32_e64 v33, v33, v34, s4
	v_cndmask_b32_e64 v31, v31, v32, s3
	v_cndmask_b32_e64 v20, v40, v37, s5
	; wave barrier
	ds_write2_b32 v1, v3, v4 offset1:1
	ds_write2_b32 v1, v5, v6 offset0:2 offset1:3
	ds_write2_b32 v1, v7, v9 offset0:4 offset1:5
	;; [unrolled: 1-line block ×3, first 2 shown]
	v_lshl_add_u32 v1, v12, 2, v2
	v_lshl_add_u32 v3, v19, 2, v2
	;; [unrolled: 1-line block ×7, first 2 shown]
	; wave barrier
	v_lshl_add_u32 v2, v20, 2, v2
	ds_read_b32 v1, v1
	ds_read_b32 v3, v3
	;; [unrolled: 1-line block ×8, first 2 shown]
	v_cndmask_b32_e32 v2, v8, v13, vcc_lo
	v_cndmask_b32_e64 v8, v14, v15, s0
	v_cndmask_b32_e64 v12, v17, v18, s1
	;; [unrolled: 1-line block ×6, first 2 shown]
	v_lshlrev_b32_e32 v0, 2, v0
	s_add_u32 s0, s22, s24
	s_addc_u32 s1, s23, s25
	s_waitcnt lgkmcnt(7)
	v_add_nc_u32_e32 v1, v1, v2
	s_waitcnt lgkmcnt(6)
	v_add_nc_u32_e32 v2, v3, v8
	;; [unrolled: 2-line block ×8, first 2 shown]
	global_store_dwordx4 v0, v[1:4], s[0:1]
	global_store_dwordx4 v0, v[5:8], s[0:1] offset:16
	s_endpgm
	.section	.rodata,"a",@progbits
	.p2align	6, 0x0
	.amdhsa_kernel _Z10sort_pairsILj256ELj4ELj8EiN10test_utils4lessEEvPKT2_PS2_T3_
		.amdhsa_group_segment_fixed_size 8448
		.amdhsa_private_segment_fixed_size 0
		.amdhsa_kernarg_size 20
		.amdhsa_user_sgpr_count 6
		.amdhsa_user_sgpr_private_segment_buffer 1
		.amdhsa_user_sgpr_dispatch_ptr 0
		.amdhsa_user_sgpr_queue_ptr 0
		.amdhsa_user_sgpr_kernarg_segment_ptr 1
		.amdhsa_user_sgpr_dispatch_id 0
		.amdhsa_user_sgpr_flat_scratch_init 0
		.amdhsa_user_sgpr_private_segment_size 0
		.amdhsa_wavefront_size32 1
		.amdhsa_uses_dynamic_stack 0
		.amdhsa_system_sgpr_private_segment_wavefront_offset 0
		.amdhsa_system_sgpr_workgroup_id_x 1
		.amdhsa_system_sgpr_workgroup_id_y 0
		.amdhsa_system_sgpr_workgroup_id_z 0
		.amdhsa_system_sgpr_workgroup_info 0
		.amdhsa_system_vgpr_workitem_id 0
		.amdhsa_next_free_vgpr 52
		.amdhsa_next_free_sgpr 26
		.amdhsa_reserve_vcc 1
		.amdhsa_reserve_flat_scratch 0
		.amdhsa_float_round_mode_32 0
		.amdhsa_float_round_mode_16_64 0
		.amdhsa_float_denorm_mode_32 3
		.amdhsa_float_denorm_mode_16_64 3
		.amdhsa_dx10_clamp 1
		.amdhsa_ieee_mode 1
		.amdhsa_fp16_overflow 0
		.amdhsa_workgroup_processor_mode 1
		.amdhsa_memory_ordered 1
		.amdhsa_forward_progress 1
		.amdhsa_shared_vgpr_count 0
		.amdhsa_exception_fp_ieee_invalid_op 0
		.amdhsa_exception_fp_denorm_src 0
		.amdhsa_exception_fp_ieee_div_zero 0
		.amdhsa_exception_fp_ieee_overflow 0
		.amdhsa_exception_fp_ieee_underflow 0
		.amdhsa_exception_fp_ieee_inexact 0
		.amdhsa_exception_int_div_zero 0
	.end_amdhsa_kernel
	.section	.text._Z10sort_pairsILj256ELj4ELj8EiN10test_utils4lessEEvPKT2_PS2_T3_,"axG",@progbits,_Z10sort_pairsILj256ELj4ELj8EiN10test_utils4lessEEvPKT2_PS2_T3_,comdat
.Lfunc_end9:
	.size	_Z10sort_pairsILj256ELj4ELj8EiN10test_utils4lessEEvPKT2_PS2_T3_, .Lfunc_end9-_Z10sort_pairsILj256ELj4ELj8EiN10test_utils4lessEEvPKT2_PS2_T3_
                                        ; -- End function
	.set _Z10sort_pairsILj256ELj4ELj8EiN10test_utils4lessEEvPKT2_PS2_T3_.num_vgpr, 52
	.set _Z10sort_pairsILj256ELj4ELj8EiN10test_utils4lessEEvPKT2_PS2_T3_.num_agpr, 0
	.set _Z10sort_pairsILj256ELj4ELj8EiN10test_utils4lessEEvPKT2_PS2_T3_.numbered_sgpr, 26
	.set _Z10sort_pairsILj256ELj4ELj8EiN10test_utils4lessEEvPKT2_PS2_T3_.num_named_barrier, 0
	.set _Z10sort_pairsILj256ELj4ELj8EiN10test_utils4lessEEvPKT2_PS2_T3_.private_seg_size, 0
	.set _Z10sort_pairsILj256ELj4ELj8EiN10test_utils4lessEEvPKT2_PS2_T3_.uses_vcc, 1
	.set _Z10sort_pairsILj256ELj4ELj8EiN10test_utils4lessEEvPKT2_PS2_T3_.uses_flat_scratch, 0
	.set _Z10sort_pairsILj256ELj4ELj8EiN10test_utils4lessEEvPKT2_PS2_T3_.has_dyn_sized_stack, 0
	.set _Z10sort_pairsILj256ELj4ELj8EiN10test_utils4lessEEvPKT2_PS2_T3_.has_recursion, 0
	.set _Z10sort_pairsILj256ELj4ELj8EiN10test_utils4lessEEvPKT2_PS2_T3_.has_indirect_call, 0
	.section	.AMDGPU.csdata,"",@progbits
; Kernel info:
; codeLenInByte = 4248
; TotalNumSgprs: 28
; NumVgprs: 52
; ScratchSize: 0
; MemoryBound: 0
; FloatMode: 240
; IeeeMode: 1
; LDSByteSize: 8448 bytes/workgroup (compile time only)
; SGPRBlocks: 0
; VGPRBlocks: 6
; NumSGPRsForWavesPerEU: 28
; NumVGPRsForWavesPerEU: 52
; Occupancy: 16
; WaveLimiterHint : 0
; COMPUTE_PGM_RSRC2:SCRATCH_EN: 0
; COMPUTE_PGM_RSRC2:USER_SGPR: 6
; COMPUTE_PGM_RSRC2:TRAP_HANDLER: 0
; COMPUTE_PGM_RSRC2:TGID_X_EN: 1
; COMPUTE_PGM_RSRC2:TGID_Y_EN: 0
; COMPUTE_PGM_RSRC2:TGID_Z_EN: 0
; COMPUTE_PGM_RSRC2:TIDIG_COMP_CNT: 0
	.section	.text._Z19sort_keys_segmentedILj256ELj4ELj8EiN10test_utils4lessEEvPKT2_PS2_PKjT3_,"axG",@progbits,_Z19sort_keys_segmentedILj256ELj4ELj8EiN10test_utils4lessEEvPKT2_PS2_PKjT3_,comdat
	.protected	_Z19sort_keys_segmentedILj256ELj4ELj8EiN10test_utils4lessEEvPKT2_PS2_PKjT3_ ; -- Begin function _Z19sort_keys_segmentedILj256ELj4ELj8EiN10test_utils4lessEEvPKT2_PS2_PKjT3_
	.globl	_Z19sort_keys_segmentedILj256ELj4ELj8EiN10test_utils4lessEEvPKT2_PS2_PKjT3_
	.p2align	8
	.type	_Z19sort_keys_segmentedILj256ELj4ELj8EiN10test_utils4lessEEvPKT2_PS2_PKjT3_,@function
_Z19sort_keys_segmentedILj256ELj4ELj8EiN10test_utils4lessEEvPKT2_PS2_PKjT3_: ; @_Z19sort_keys_segmentedILj256ELj4ELj8EiN10test_utils4lessEEvPKT2_PS2_PKjT3_
; %bb.0:
	s_clause 0x1
	s_load_dwordx2 s[0:1], s[4:5], 0x10
	s_load_dwordx4 s[16:19], s[4:5], 0x0
	v_lshrrev_b32_e32 v8, 2, v0
	v_mov_b32_e32 v2, 0
	v_mbcnt_lo_u32_b32 v0, -1, 0
	v_lshl_or_b32 v1, s6, 6, v8
	v_mov_b32_e32 v12, v2
	v_lshlrev_b32_e32 v9, 3, v0
	v_mov_b32_e32 v16, v2
	v_mov_b32_e32 v18, v2
	v_lshlrev_b64 v[3:4], 2, v[1:2]
	v_lshlrev_b32_e32 v1, 5, v1
	v_and_b32_e32 v7, 24, v9
	v_mov_b32_e32 v17, v2
	v_mov_b32_e32 v13, v2
	;; [unrolled: 1-line block ×3, first 2 shown]
	v_lshlrev_b64 v[0:1], 2, v[1:2]
	v_lshlrev_b32_e32 v5, 2, v7
	s_waitcnt lgkmcnt(0)
	v_add_co_u32 v3, vcc_lo, s0, v3
	v_add_co_ci_u32_e64 v4, null, s1, v4, vcc_lo
	v_mov_b32_e32 v15, v2
	global_load_dword v6, v[3:4], off
	v_add_co_u32 v3, vcc_lo, s16, v0
	v_add_co_ci_u32_e64 v4, null, s17, v1, vcc_lo
	v_add_co_u32 v3, vcc_lo, v3, v5
	v_add_co_ci_u32_e64 v4, null, 0, v4, vcc_lo
	s_waitcnt vmcnt(0)
	v_cmp_lt_u32_e32 vcc_lo, v7, v6
	s_and_saveexec_b32 s0, vcc_lo
	s_cbranch_execz .LBB10_2
; %bb.1:
	global_load_dword v12, v[3:4], off
	v_mov_b32_e32 v16, v2
	v_mov_b32_e32 v18, v2
	v_mov_b32_e32 v17, v2
	v_mov_b32_e32 v13, v2
	v_mov_b32_e32 v14, v2
	v_mov_b32_e32 v15, v2
.LBB10_2:
	s_or_b32 exec_lo, exec_lo, s0
	v_or_b32_e32 v10, 1, v7
	v_cmp_lt_u32_e64 s0, v10, v6
	s_and_saveexec_b32 s1, s0
	s_cbranch_execz .LBB10_4
; %bb.3:
	global_load_dword v2, v[3:4], off offset:4
.LBB10_4:
	s_or_b32 exec_lo, exec_lo, s1
	v_or_b32_e32 v11, 2, v7
	v_cmp_lt_u32_e64 s1, v11, v6
	s_and_saveexec_b32 s2, s1
	s_cbranch_execz .LBB10_6
; %bb.5:
	global_load_dword v16, v[3:4], off offset:8
.LBB10_6:
	;; [unrolled: 8-line block ×7, first 2 shown]
	s_or_b32 exec_lo, exec_lo, s7
	v_cmp_lt_i32_e64 s8, v22, v6
	v_cmp_lt_i32_e64 s9, v23, v6
	;; [unrolled: 1-line block ×6, first 2 shown]
	s_or_b32 s8, s9, s8
	s_waitcnt vmcnt(0)
	v_cndmask_b32_e64 v14, 0x7fffffff, v14, s9
	v_cndmask_b32_e64 v13, 0x7fffffff, v13, s8
	s_or_b32 s8, s8, s11
	s_mov_b32 s9, exec_lo
	v_cndmask_b32_e64 v17, 0x7fffffff, v17, s8
	s_or_b32 s8, s8, s12
	v_cndmask_b32_e64 v18, 0x7fffffff, v18, s8
	s_or_b32 s8, s8, s10
	s_brev_b32 s10, -2
	s_or_b32 s7, s8, s7
	v_cndmask_b32_e64 v16, 0x7fffffff, v16, s8
	v_cndmask_b32_e64 v2, 0x7fffffff, v2, s7
	v_cmp_lt_i32_e64 s8, v21, v6
	v_cmpx_ge_i32_e64 v21, v6
; %bb.17:
	v_cmp_lt_i32_e64 s7, v7, v6
	v_mov_b32_e32 v15, s10
	s_andn2_b32 s8, s8, exec_lo
	s_and_b32 s7, s7, exec_lo
	s_or_b32 s8, s8, s7
; %bb.18:
	s_or_b32 exec_lo, exec_lo, s9
	s_and_saveexec_b32 s10, s8
	s_cbranch_execz .LBB10_22
; %bb.19:
	v_cmp_lt_i32_e64 s7, v2, v12
	v_min_i32_e32 v4, v2, v12
	v_cmp_lt_i32_e64 s8, v18, v16
	v_max_i32_e32 v10, v2, v12
	v_max_i32_e32 v19, v18, v16
	v_cndmask_b32_e64 v3, v12, v2, s7
	v_cndmask_b32_e64 v2, v2, v12, s7
	v_cmp_lt_i32_e64 s7, v13, v17
	v_cndmask_b32_e64 v11, v18, v16, s8
	v_cndmask_b32_e64 v12, v16, v18, s8
	v_min_i32_e32 v16, v18, v16
	v_max_i32_e32 v21, v13, v17
	v_cndmask_b32_e64 v18, v13, v17, s7
	v_cndmask_b32_e64 v20, v17, v13, s7
	v_cmp_lt_i32_e64 s7, v15, v14
	v_min_i32_e32 v13, v13, v17
	v_cmp_lt_i32_e64 s8, v16, v10
	v_max_i32_e32 v23, v15, v14
	v_cndmask_b32_e64 v17, v15, v14, s7
	v_cndmask_b32_e64 v22, v14, v15, s7
	v_min_i32_e32 v14, v15, v14
	v_cndmask_b32_e64 v12, v12, v10, s8
	v_cndmask_b32_e64 v2, v2, v16, s8
	v_cmp_lt_i32_e64 s7, v13, v19
	v_max_i32_e32 v15, v16, v10
	v_cmp_lt_i32_e64 s8, v14, v21
	v_min_i32_e32 v10, v16, v10
	v_max_i32_e32 v24, v13, v19
	v_cndmask_b32_e64 v20, v20, v19, s7
	v_cndmask_b32_e64 v11, v11, v13, s7
	v_min_i32_e32 v13, v13, v19
	v_cndmask_b32_e64 v18, v18, v14, s8
	v_cmp_lt_i32_e64 s7, v16, v4
	v_max_i32_e32 v16, v14, v21
	v_min_i32_e32 v14, v14, v21
	v_cndmask_b32_e64 v19, v22, v21, s8
	v_cmp_lt_i32_e64 s8, v13, v15
	v_cndmask_b32_e64 v3, v3, v10, s7
	v_cndmask_b32_e64 v2, v2, v4, s7
	;; [unrolled: 1-line block ×4, first 2 shown]
	v_cmp_lt_i32_e64 s7, v14, v24
	v_cndmask_b32_e64 v10, v11, v15, s8
	v_cndmask_b32_e64 v11, v12, v13, s8
	v_max_i32_e32 v12, v13, v15
	v_min_i32_e32 v13, v13, v15
	v_cndmask_b32_e64 v15, v18, v24, s7
	v_cmp_gt_i32_e64 s8, v21, v23
	v_cndmask_b32_e64 v18, v20, v14, s7
	v_max_i32_e32 v20, v14, v24
	v_min_i32_e32 v14, v14, v24
	v_cmp_lt_i32_e64 s7, v13, v4
	v_cndmask_b32_e64 v17, v17, v16, s8
	v_cndmask_b32_e64 v19, v19, v23, s8
	;; [unrolled: 1-line block ×4, first 2 shown]
	v_cmp_lt_i32_e64 s8, v14, v12
	v_cndmask_b32_e64 v11, v11, v4, s7
	v_cndmask_b32_e64 v2, v2, v13, s7
	v_max_i32_e32 v23, v13, v4
	v_min_i32_e32 v4, v13, v4
	v_cndmask_b32_e64 v13, v18, v12, s8
	v_cmp_lt_i32_e64 s7, v16, v20
	v_max_i32_e32 v18, v14, v12
	v_min_i32_e32 v12, v14, v12
	v_cndmask_b32_e64 v10, v10, v14, s8
	v_cmp_lt_i32_e64 s8, v4, v22
	v_cndmask_b32_e64 v14, v19, v20, s7
	v_cndmask_b32_e64 v15, v15, v16, s7
	v_max_i32_e32 v19, v16, v20
	v_min_i32_e32 v16, v16, v20
	v_cmp_lt_i32_e64 s7, v12, v23
	v_cndmask_b32_e64 v3, v3, v4, s8
	v_cndmask_b32_e64 v2, v2, v22, s8
	v_min_i32_e32 v20, v4, v22
	v_max_i32_e32 v4, v4, v22
	v_cndmask_b32_e64 v10, v10, v23, s7
	v_cmp_lt_i32_e64 s8, v16, v18
	v_cndmask_b32_e64 v11, v11, v12, s7
	v_max_i32_e32 v22, v12, v23
	v_min_i32_e32 v12, v12, v23
	v_cmp_lt_i32_e64 s7, v21, v19
	v_cndmask_b32_e64 v15, v15, v18, s8
	v_cndmask_b32_e64 v13, v13, v16, s8
	v_max_i32_e32 v23, v16, v18
	v_min_i32_e32 v16, v16, v18
	v_cndmask_b32_e64 v17, v17, v19, s7
	v_cmp_lt_i32_e64 s8, v12, v4
	v_max_i32_e32 v18, v21, v19
	v_min_i32_e32 v19, v21, v19
	v_cndmask_b32_e64 v14, v14, v21, s7
	v_cmp_lt_i32_e64 s7, v16, v22
	v_cndmask_b32_e64 v2, v2, v12, s8
	v_cndmask_b32_e64 v11, v11, v4, s8
	v_cmp_lt_i32_e64 s8, v19, v23
	v_max_i32_e32 v21, v12, v4
	v_min_i32_e32 v4, v12, v4
	v_cndmask_b32_e64 v24, v13, v22, s7
	v_cndmask_b32_e64 v10, v10, v16, s7
	v_max_i32_e32 v25, v16, v22
	v_min_i32_e32 v13, v16, v22
	v_cndmask_b32_e64 v15, v15, v19, s8
	v_cmp_lt_i32_e64 s7, v12, v20
	v_max_i32_e32 v16, v19, v23
	v_min_i32_e32 v19, v19, v23
	v_cndmask_b32_e64 v14, v14, v23, s8
	v_cmp_lt_i32_e64 s8, v13, v21
	v_cndmask_b32_e64 v12, v3, v4, s7
	v_cndmask_b32_e64 v2, v2, v20, s7
	;; [unrolled: 1-line block ×3, first 2 shown]
	v_cmp_lt_i32_e64 s7, v19, v25
	v_cndmask_b32_e64 v11, v11, v13, s8
	v_cndmask_b32_e64 v10, v10, v21, s8
	v_max_i32_e32 v22, v13, v21
	v_min_i32_e32 v21, v13, v21
	v_cndmask_b32_e64 v13, v15, v25, s7
	v_cndmask_b32_e64 v24, v24, v19, s7
	v_cmp_gt_i32_e64 s7, v23, v18
	v_min_i32_e32 v23, v19, v25
	v_cmp_lt_i32_e64 s8, v21, v20
	v_max_i32_e32 v3, v19, v25
	v_cndmask_b32_e64 v15, v17, v16, s7
	v_cmp_lt_i32_e64 s9, v23, v22
	v_cndmask_b32_e64 v14, v14, v18, s7
	v_cndmask_b32_e64 v4, v16, v18, s7
	;; [unrolled: 1-line block ×6, first 2 shown]
	s_mov_b32 s8, exec_lo
	v_cmpx_lt_i32_e64 v4, v3
; %bb.20:
	v_mov_b32_e32 v13, v4
	v_mov_b32_e32 v14, v3
; %bb.21:
	s_or_b32 exec_lo, exec_lo, s8
.LBB10_22:
	s_or_b32 exec_lo, exec_lo, s10
	v_and_b32_e32 v3, 16, v9
	v_and_b32_e32 v4, 8, v9
	v_mad_u32_u24 v9, 0x84, v8, v5
	; wave barrier
	v_min_i32_e32 v19, v6, v3
	v_min_i32_e32 v4, v6, v4
	ds_write2_b32 v9, v12, v2 offset1:1
	ds_write2_b32 v9, v16, v18 offset0:2 offset1:3
	ds_write2_b32 v9, v17, v13 offset0:4 offset1:5
	s_mov_b32 s9, 0
	s_mov_b32 s8, exec_lo
	v_add_nc_u32_e32 v3, 8, v19
	v_lshlrev_b32_e32 v23, 2, v19
	ds_write2_b32 v9, v14, v15 offset0:6 offset1:7
	; wave barrier
	v_min_i32_e32 v11, v6, v3
	v_mad_u32_u24 v2, 0x84, v8, v23
	v_add_nc_u32_e32 v3, 8, v11
	v_sub_nc_u32_e32 v22, v11, v19
	v_min_i32_e32 v10, v6, v3
	v_mul_u32_u24_e32 v3, 0x84, v8
	v_sub_nc_u32_e32 v20, v10, v11
	v_sub_nc_u32_e32 v21, v4, v20
	v_cmp_ge_i32_e64 s7, v4, v20
	v_cndmask_b32_e64 v20, 0, v21, s7
	v_min_i32_e32 v21, v4, v22
	v_cmpx_lt_i32_e64 v20, v21
	s_cbranch_execz .LBB10_26
; %bb.23:
	v_lshlrev_b32_e32 v8, 2, v11
	v_lshlrev_b32_e32 v12, 2, v4
	v_add3_u32 v8, v3, v8, v12
	.p2align	6
.LBB10_24:                              ; =>This Inner Loop Header: Depth=1
	v_sub_nc_u32_e32 v12, v21, v20
	v_lshrrev_b32_e32 v12, 1, v12
	v_add_nc_u32_e32 v12, v12, v20
	v_not_b32_e32 v13, v12
	v_lshl_add_u32 v14, v12, 2, v2
	v_add_nc_u32_e32 v15, 1, v12
	v_lshl_add_u32 v13, v13, 2, v8
	ds_read_b32 v14, v14
	ds_read_b32 v13, v13
	s_waitcnt lgkmcnt(0)
	v_cmp_lt_i32_e64 s7, v13, v14
	v_cndmask_b32_e64 v21, v21, v12, s7
	v_cndmask_b32_e64 v20, v15, v20, s7
	v_cmp_ge_i32_e64 s7, v20, v21
	s_or_b32 s9, s7, s9
	s_andn2_b32 exec_lo, exec_lo, s9
	s_cbranch_execnz .LBB10_24
; %bb.25:
	s_or_b32 exec_lo, exec_lo, s9
.LBB10_26:
	s_or_b32 exec_lo, exec_lo, s8
	v_add_nc_u32_e32 v4, v11, v4
	v_lshl_add_u32 v13, v20, 2, v2
	v_add_nc_u32_e32 v2, v20, v19
                                        ; implicit-def: $vgpr12
	v_sub_nc_u32_e32 v14, v4, v20
	v_cmp_le_i32_e64 s7, v11, v2
	v_lshl_add_u32 v15, v14, 2, v3
	v_cmp_gt_i32_e64 s9, v10, v14
	ds_read_b32 v4, v13
	ds_read_b32 v8, v15
	s_waitcnt lgkmcnt(0)
	v_cmp_lt_i32_e64 s8, v8, v4
	s_or_b32 s7, s7, s8
	s_and_b32 s7, s9, s7
	s_xor_b32 s8, s7, -1
	s_and_saveexec_b32 s9, s8
	s_xor_b32 s8, exec_lo, s9
; %bb.27:
	ds_read_b32 v12, v13 offset:4
                                        ; implicit-def: $vgpr15
; %bb.28:
	s_or_saveexec_b32 s8, s8
	v_mov_b32_e32 v13, v8
	s_xor_b32 exec_lo, exec_lo, s8
	s_cbranch_execz .LBB10_30
; %bb.29:
	ds_read_b32 v13, v15 offset:4
	s_waitcnt lgkmcnt(1)
	v_mov_b32_e32 v12, v4
.LBB10_30:
	s_or_b32 exec_lo, exec_lo, s8
	v_add_nc_u32_e32 v15, 1, v2
	v_add_nc_u32_e32 v17, 1, v14
	s_waitcnt lgkmcnt(0)
	v_cmp_lt_i32_e64 s9, v13, v12
	v_cndmask_b32_e64 v16, v15, v2, s7
	v_cndmask_b32_e64 v2, v14, v17, s7
                                        ; implicit-def: $vgpr14
	v_cmp_ge_i32_e64 s8, v16, v11
	v_cmp_lt_i32_e64 s10, v2, v10
	s_or_b32 s8, s8, s9
	s_and_b32 s8, s10, s8
	s_xor_b32 s9, s8, -1
	s_and_saveexec_b32 s10, s9
	s_xor_b32 s9, exec_lo, s10
; %bb.31:
	v_lshl_add_u32 v14, v16, 2, v3
	ds_read_b32 v14, v14 offset:4
; %bb.32:
	s_or_saveexec_b32 s9, s9
	v_mov_b32_e32 v15, v13
	s_xor_b32 exec_lo, exec_lo, s9
	s_cbranch_execz .LBB10_34
; %bb.33:
	s_waitcnt lgkmcnt(0)
	v_lshl_add_u32 v14, v2, 2, v3
	ds_read_b32 v15, v14 offset:4
	v_mov_b32_e32 v14, v12
.LBB10_34:
	s_or_b32 exec_lo, exec_lo, s9
	v_add_nc_u32_e32 v17, 1, v16
	v_add_nc_u32_e32 v19, 1, v2
	s_waitcnt lgkmcnt(0)
	v_cmp_lt_i32_e64 s10, v15, v14
	v_cndmask_b32_e64 v18, v17, v16, s8
	v_cndmask_b32_e64 v2, v2, v19, s8
                                        ; implicit-def: $vgpr16
	v_cmp_ge_i32_e64 s9, v18, v11
	v_cmp_lt_i32_e64 s11, v2, v10
	s_or_b32 s9, s9, s10
	s_and_b32 s9, s11, s9
	s_xor_b32 s10, s9, -1
	s_and_saveexec_b32 s11, s10
	s_xor_b32 s10, exec_lo, s11
; %bb.35:
	v_lshl_add_u32 v16, v18, 2, v3
	ds_read_b32 v16, v16 offset:4
; %bb.36:
	s_or_saveexec_b32 s10, s10
	v_mov_b32_e32 v17, v15
	s_xor_b32 exec_lo, exec_lo, s10
	s_cbranch_execz .LBB10_38
; %bb.37:
	s_waitcnt lgkmcnt(0)
	v_lshl_add_u32 v16, v2, 2, v3
	ds_read_b32 v17, v16 offset:4
	v_mov_b32_e32 v16, v14
.LBB10_38:
	s_or_b32 exec_lo, exec_lo, s10
	v_add_nc_u32_e32 v19, 1, v18
	v_add_nc_u32_e32 v21, 1, v2
	s_waitcnt lgkmcnt(0)
	v_cmp_lt_i32_e64 s11, v17, v16
	v_cndmask_b32_e64 v20, v19, v18, s9
	v_cndmask_b32_e64 v2, v2, v21, s9
                                        ; implicit-def: $vgpr18
	v_cmp_ge_i32_e64 s10, v20, v11
	v_cmp_lt_i32_e64 s12, v2, v10
	s_or_b32 s10, s10, s11
	s_and_b32 s10, s12, s10
	s_xor_b32 s11, s10, -1
	s_and_saveexec_b32 s12, s11
	s_xor_b32 s11, exec_lo, s12
; %bb.39:
	v_lshl_add_u32 v18, v20, 2, v3
	ds_read_b32 v18, v18 offset:4
; %bb.40:
	s_or_saveexec_b32 s11, s11
	v_mov_b32_e32 v19, v17
	s_xor_b32 exec_lo, exec_lo, s11
	s_cbranch_execz .LBB10_42
; %bb.41:
	s_waitcnt lgkmcnt(0)
	v_lshl_add_u32 v18, v2, 2, v3
	ds_read_b32 v19, v18 offset:4
	v_mov_b32_e32 v18, v16
.LBB10_42:
	s_or_b32 exec_lo, exec_lo, s11
	v_add_nc_u32_e32 v21, 1, v20
	v_add_nc_u32_e32 v23, 1, v2
	s_waitcnt lgkmcnt(0)
	v_cmp_lt_i32_e64 s12, v19, v18
	v_cndmask_b32_e64 v22, v21, v20, s10
	v_cndmask_b32_e64 v2, v2, v23, s10
                                        ; implicit-def: $vgpr20
	v_cmp_ge_i32_e64 s11, v22, v11
	v_cmp_lt_i32_e64 s13, v2, v10
	s_or_b32 s11, s11, s12
	s_and_b32 s11, s13, s11
	s_xor_b32 s12, s11, -1
	s_and_saveexec_b32 s13, s12
	s_xor_b32 s12, exec_lo, s13
; %bb.43:
	v_lshl_add_u32 v20, v22, 2, v3
	ds_read_b32 v20, v20 offset:4
; %bb.44:
	s_or_saveexec_b32 s12, s12
	v_mov_b32_e32 v21, v19
	s_xor_b32 exec_lo, exec_lo, s12
	s_cbranch_execz .LBB10_46
; %bb.45:
	s_waitcnt lgkmcnt(0)
	v_lshl_add_u32 v20, v2, 2, v3
	ds_read_b32 v21, v20 offset:4
	v_mov_b32_e32 v20, v18
.LBB10_46:
	s_or_b32 exec_lo, exec_lo, s12
	v_add_nc_u32_e32 v23, 1, v22
	v_add_nc_u32_e32 v25, 1, v2
	s_waitcnt lgkmcnt(0)
	v_cmp_lt_i32_e64 s13, v21, v20
	v_cndmask_b32_e64 v24, v23, v22, s11
	v_cndmask_b32_e64 v22, v2, v25, s11
                                        ; implicit-def: $vgpr2
	v_cmp_ge_i32_e64 s12, v24, v11
	v_cmp_lt_i32_e64 s14, v22, v10
	s_or_b32 s12, s12, s13
	s_and_b32 s12, s14, s12
	s_xor_b32 s13, s12, -1
	s_and_saveexec_b32 s14, s13
	s_xor_b32 s13, exec_lo, s14
; %bb.47:
	v_lshl_add_u32 v2, v24, 2, v3
	ds_read_b32 v2, v2 offset:4
; %bb.48:
	s_or_saveexec_b32 s13, s13
	v_mov_b32_e32 v23, v21
	s_xor_b32 exec_lo, exec_lo, s13
	s_cbranch_execz .LBB10_50
; %bb.49:
	s_waitcnt lgkmcnt(0)
	v_lshl_add_u32 v2, v22, 2, v3
	ds_read_b32 v23, v2 offset:4
	v_mov_b32_e32 v2, v20
.LBB10_50:
	s_or_b32 exec_lo, exec_lo, s13
	v_add_nc_u32_e32 v25, 1, v24
	v_add_nc_u32_e32 v27, 1, v22
	s_waitcnt lgkmcnt(0)
	v_cmp_lt_i32_e64 s14, v23, v2
	v_cndmask_b32_e64 v26, v25, v24, s12
	v_cndmask_b32_e64 v25, v22, v27, s12
                                        ; implicit-def: $vgpr24
	v_cmp_ge_i32_e64 s13, v26, v11
	v_cmp_lt_i32_e64 s15, v25, v10
	s_or_b32 s13, s13, s14
	s_and_b32 s13, s15, s13
	s_xor_b32 s14, s13, -1
	s_and_saveexec_b32 s15, s14
	s_xor_b32 s14, exec_lo, s15
; %bb.51:
	v_lshl_add_u32 v22, v26, 2, v3
	ds_read_b32 v24, v22 offset:4
; %bb.52:
	s_or_saveexec_b32 s14, s14
	v_mov_b32_e32 v27, v23
	s_xor_b32 exec_lo, exec_lo, s14
	s_cbranch_execz .LBB10_54
; %bb.53:
	v_lshl_add_u32 v22, v25, 2, v3
	s_waitcnt lgkmcnt(0)
	v_mov_b32_e32 v24, v2
	ds_read_b32 v27, v22 offset:4
.LBB10_54:
	s_or_b32 exec_lo, exec_lo, s14
	v_min_i32_e32 v22, 0, v6
	v_cndmask_b32_e64 v23, v2, v23, s13
	v_add_nc_u32_e32 v29, 1, v25
	v_cndmask_b32_e64 v16, v16, v17, s10
	v_cndmask_b32_e64 v12, v12, v13, s8
	v_add_nc_u32_e32 v28, 16, v22
	v_cndmask_b32_e64 v13, v4, v8, s7
	v_cndmask_b32_e64 v14, v14, v15, s9
	;; [unrolled: 1-line block ×3, first 2 shown]
	s_waitcnt lgkmcnt(0)
	v_cmp_lt_i32_e64 s7, v27, v24
	v_min_i32_e32 v2, v6, v28
	v_add_nc_u32_e32 v28, 1, v26
	v_cndmask_b32_e64 v20, v20, v21, s12
	v_cmp_lt_i32_e64 s9, v15, v10
	v_cndmask_b32_e64 v18, v18, v19, s11
	v_add_nc_u32_e32 v17, 16, v2
	v_cndmask_b32_e64 v8, v28, v26, s13
	v_sub_nc_u32_e32 v10, v2, v22
	; wave barrier
	v_min_i32_e32 v4, v6, v17
	v_cmp_ge_i32_e64 s8, v8, v11
	v_min_i32_e32 v6, v6, v7
	ds_write2_b32 v9, v13, v12 offset1:1
	ds_write2_b32 v9, v14, v16 offset0:2 offset1:3
	ds_write2_b32 v9, v18, v20 offset0:4 offset1:5
	v_sub_nc_u32_e32 v7, v4, v2
	s_or_b32 s7, s8, s7
	v_min_i32_e32 v10, v6, v10
	s_and_b32 s7, s9, s7
	s_mov_b32 s9, 0
	v_sub_nc_u32_e32 v8, v6, v7
	v_cndmask_b32_e64 v11, v24, v27, s7
	v_cmp_ge_i32_e64 s7, v6, v7
	v_lshl_add_u32 v7, v22, 2, v3
	s_mov_b32 s8, exec_lo
	ds_write2_b32 v9, v23, v11 offset0:6 offset1:7
	v_cndmask_b32_e64 v8, 0, v8, s7
	; wave barrier
	v_cmpx_lt_i32_e64 v8, v10
	s_cbranch_execz .LBB10_58
; %bb.55:
	v_lshlrev_b32_e32 v9, 2, v2
	v_lshlrev_b32_e32 v11, 2, v6
	v_add3_u32 v9, v3, v9, v11
	.p2align	6
.LBB10_56:                              ; =>This Inner Loop Header: Depth=1
	v_sub_nc_u32_e32 v11, v10, v8
	v_lshrrev_b32_e32 v11, 1, v11
	v_add_nc_u32_e32 v11, v11, v8
	v_not_b32_e32 v12, v11
	v_lshl_add_u32 v13, v11, 2, v7
	v_add_nc_u32_e32 v14, 1, v11
	v_lshl_add_u32 v12, v12, 2, v9
	ds_read_b32 v13, v13
	ds_read_b32 v12, v12
	s_waitcnt lgkmcnt(0)
	v_cmp_lt_i32_e64 s7, v12, v13
	v_cndmask_b32_e64 v10, v10, v11, s7
	v_cndmask_b32_e64 v8, v14, v8, s7
	v_cmp_ge_i32_e64 s7, v8, v10
	s_or_b32 s9, s7, s9
	s_andn2_b32 exec_lo, exec_lo, s9
	s_cbranch_execnz .LBB10_56
; %bb.57:
	s_or_b32 exec_lo, exec_lo, s9
.LBB10_58:
	s_or_b32 exec_lo, exec_lo, s8
	v_add_nc_u32_e32 v6, v2, v6
	v_lshl_add_u32 v9, v8, 2, v7
	v_add_nc_u32_e32 v11, v8, v22
	v_sub_nc_u32_e32 v10, v6, v8
                                        ; implicit-def: $vgpr8
	v_cmp_le_i32_e64 s7, v2, v11
	v_lshl_add_u32 v12, v10, 2, v3
	v_cmp_gt_i32_e64 s9, v4, v10
	ds_read_b32 v6, v9
	ds_read_b32 v7, v12
	s_waitcnt lgkmcnt(0)
	v_cmp_lt_i32_e64 s8, v7, v6
	s_or_b32 s7, s7, s8
	s_and_b32 s7, s9, s7
	s_xor_b32 s8, s7, -1
	s_and_saveexec_b32 s9, s8
	s_xor_b32 s8, exec_lo, s9
; %bb.59:
	ds_read_b32 v8, v9 offset:4
                                        ; implicit-def: $vgpr12
; %bb.60:
	s_or_saveexec_b32 s8, s8
	v_mov_b32_e32 v9, v7
	s_xor_b32 exec_lo, exec_lo, s8
	s_cbranch_execz .LBB10_62
; %bb.61:
	ds_read_b32 v9, v12 offset:4
	s_waitcnt lgkmcnt(1)
	v_mov_b32_e32 v8, v6
.LBB10_62:
	s_or_b32 exec_lo, exec_lo, s8
	v_add_nc_u32_e32 v12, 1, v11
	v_add_nc_u32_e32 v14, 1, v10
	s_waitcnt lgkmcnt(0)
	v_cmp_lt_i32_e64 s9, v9, v8
	v_cndmask_b32_e64 v13, v12, v11, s7
	v_cndmask_b32_e64 v12, v10, v14, s7
                                        ; implicit-def: $vgpr10
	v_cmp_ge_i32_e64 s8, v13, v2
	v_cmp_lt_i32_e64 s10, v12, v4
	s_or_b32 s8, s8, s9
	s_and_b32 s8, s10, s8
	s_xor_b32 s9, s8, -1
	s_and_saveexec_b32 s10, s9
	s_xor_b32 s9, exec_lo, s10
; %bb.63:
	v_lshl_add_u32 v10, v13, 2, v3
	ds_read_b32 v10, v10 offset:4
; %bb.64:
	s_or_saveexec_b32 s9, s9
	v_mov_b32_e32 v11, v9
	s_xor_b32 exec_lo, exec_lo, s9
	s_cbranch_execz .LBB10_66
; %bb.65:
	s_waitcnt lgkmcnt(0)
	v_lshl_add_u32 v10, v12, 2, v3
	ds_read_b32 v11, v10 offset:4
	v_mov_b32_e32 v10, v8
.LBB10_66:
	s_or_b32 exec_lo, exec_lo, s9
	v_add_nc_u32_e32 v14, 1, v13
	v_add_nc_u32_e32 v16, 1, v12
	s_waitcnt lgkmcnt(0)
	v_cmp_lt_i32_e64 s10, v11, v10
	v_cndmask_b32_e64 v15, v14, v13, s8
	v_cndmask_b32_e64 v14, v12, v16, s8
                                        ; implicit-def: $vgpr12
	v_cmp_ge_i32_e64 s9, v15, v2
	v_cmp_lt_i32_e64 s11, v14, v4
	s_or_b32 s9, s9, s10
	s_and_b32 s9, s11, s9
	s_xor_b32 s10, s9, -1
	s_and_saveexec_b32 s11, s10
	s_xor_b32 s10, exec_lo, s11
; %bb.67:
	v_lshl_add_u32 v12, v15, 2, v3
	ds_read_b32 v12, v12 offset:4
; %bb.68:
	s_or_saveexec_b32 s10, s10
	v_mov_b32_e32 v13, v11
	s_xor_b32 exec_lo, exec_lo, s10
	s_cbranch_execz .LBB10_70
; %bb.69:
	s_waitcnt lgkmcnt(0)
	v_lshl_add_u32 v12, v14, 2, v3
	ds_read_b32 v13, v12 offset:4
	v_mov_b32_e32 v12, v10
.LBB10_70:
	s_or_b32 exec_lo, exec_lo, s10
	v_add_nc_u32_e32 v16, 1, v15
	v_add_nc_u32_e32 v18, 1, v14
	s_waitcnt lgkmcnt(0)
	v_cmp_lt_i32_e64 s11, v13, v12
	v_cndmask_b32_e64 v17, v16, v15, s9
	v_cndmask_b32_e64 v16, v14, v18, s9
                                        ; implicit-def: $vgpr14
	v_cmp_ge_i32_e64 s10, v17, v2
	v_cmp_lt_i32_e64 s12, v16, v4
	s_or_b32 s10, s10, s11
	s_and_b32 s10, s12, s10
	s_xor_b32 s11, s10, -1
	s_and_saveexec_b32 s12, s11
	s_xor_b32 s11, exec_lo, s12
; %bb.71:
	v_lshl_add_u32 v14, v17, 2, v3
	ds_read_b32 v14, v14 offset:4
; %bb.72:
	s_or_saveexec_b32 s11, s11
	v_mov_b32_e32 v15, v13
	s_xor_b32 exec_lo, exec_lo, s11
	s_cbranch_execz .LBB10_74
; %bb.73:
	s_waitcnt lgkmcnt(0)
	v_lshl_add_u32 v14, v16, 2, v3
	ds_read_b32 v15, v14 offset:4
	v_mov_b32_e32 v14, v12
.LBB10_74:
	s_or_b32 exec_lo, exec_lo, s11
	v_add_nc_u32_e32 v18, 1, v17
	v_add_nc_u32_e32 v20, 1, v16
	s_waitcnt lgkmcnt(0)
	v_cmp_lt_i32_e64 s12, v15, v14
	v_cndmask_b32_e64 v19, v18, v17, s10
	v_cndmask_b32_e64 v18, v16, v20, s10
                                        ; implicit-def: $vgpr16
	v_cmp_ge_i32_e64 s11, v19, v2
	v_cmp_lt_i32_e64 s13, v18, v4
	s_or_b32 s11, s11, s12
	s_and_b32 s11, s13, s11
	s_xor_b32 s12, s11, -1
	s_and_saveexec_b32 s13, s12
	s_xor_b32 s12, exec_lo, s13
; %bb.75:
	v_lshl_add_u32 v16, v19, 2, v3
	ds_read_b32 v16, v16 offset:4
; %bb.76:
	s_or_saveexec_b32 s12, s12
	v_mov_b32_e32 v17, v15
	s_xor_b32 exec_lo, exec_lo, s12
	s_cbranch_execz .LBB10_78
; %bb.77:
	s_waitcnt lgkmcnt(0)
	v_lshl_add_u32 v16, v18, 2, v3
	ds_read_b32 v17, v16 offset:4
	v_mov_b32_e32 v16, v14
.LBB10_78:
	s_or_b32 exec_lo, exec_lo, s12
	v_add_nc_u32_e32 v20, 1, v19
	v_add_nc_u32_e32 v22, 1, v18
	s_waitcnt lgkmcnt(0)
	v_cmp_lt_i32_e64 s13, v17, v16
	v_cndmask_b32_e64 v21, v20, v19, s11
	v_cndmask_b32_e64 v20, v18, v22, s11
                                        ; implicit-def: $vgpr18
	v_cmp_ge_i32_e64 s12, v21, v2
	v_cmp_lt_i32_e64 s14, v20, v4
	s_or_b32 s12, s12, s13
	s_and_b32 s12, s14, s12
	s_xor_b32 s13, s12, -1
	s_and_saveexec_b32 s14, s13
	s_xor_b32 s13, exec_lo, s14
; %bb.79:
	v_lshl_add_u32 v18, v21, 2, v3
	ds_read_b32 v18, v18 offset:4
; %bb.80:
	s_or_saveexec_b32 s13, s13
	v_mov_b32_e32 v19, v17
	s_xor_b32 exec_lo, exec_lo, s13
	s_cbranch_execz .LBB10_82
; %bb.81:
	s_waitcnt lgkmcnt(0)
	v_lshl_add_u32 v18, v20, 2, v3
	ds_read_b32 v19, v18 offset:4
	v_mov_b32_e32 v18, v16
.LBB10_82:
	s_or_b32 exec_lo, exec_lo, s13
	v_add_nc_u32_e32 v22, 1, v21
	v_add_nc_u32_e32 v23, 1, v20
	s_waitcnt lgkmcnt(0)
	v_cmp_lt_i32_e64 s14, v19, v18
	v_cndmask_b32_e64 v24, v22, v21, s12
	v_cndmask_b32_e64 v20, v20, v23, s12
                                        ; implicit-def: $vgpr21
                                        ; implicit-def: $vgpr22
	v_cmp_ge_i32_e64 s13, v24, v2
	v_cmp_lt_i32_e64 s15, v20, v4
	s_or_b32 s13, s13, s14
	s_and_b32 s13, s15, s13
	s_xor_b32 s14, s13, -1
	s_and_saveexec_b32 s15, s14
	s_xor_b32 s14, exec_lo, s15
; %bb.83:
	v_lshl_add_u32 v3, v24, 2, v3
	v_add_nc_u32_e32 v22, 1, v24
                                        ; implicit-def: $vgpr24
	ds_read_b32 v21, v3 offset:4
                                        ; implicit-def: $vgpr3
; %bb.84:
	s_or_saveexec_b32 s14, s14
	v_mov_b32_e32 v23, v19
	s_xor_b32 exec_lo, exec_lo, s14
	s_cbranch_execz .LBB10_86
; %bb.85:
	v_lshl_add_u32 v3, v20, 2, v3
	v_add_nc_u32_e32 v20, 1, v20
	v_mov_b32_e32 v22, v24
	s_waitcnt lgkmcnt(0)
	v_mov_b32_e32 v21, v18
	ds_read_b32 v23, v3 offset:4
.LBB10_86:
	s_or_b32 exec_lo, exec_lo, s14
	v_add_co_u32 v0, s14, s18, v0
	v_add_co_ci_u32_e64 v1, null, s19, v1, s14
	v_add_co_u32 v0, s14, v0, v5
	v_add_co_ci_u32_e64 v1, null, 0, v1, s14
	s_and_saveexec_b32 s14, vcc_lo
	s_cbranch_execnz .LBB10_95
; %bb.87:
	s_or_b32 exec_lo, exec_lo, s14
	s_and_saveexec_b32 s7, s0
	s_cbranch_execnz .LBB10_96
.LBB10_88:
	s_or_b32 exec_lo, exec_lo, s7
	s_and_saveexec_b32 s0, s1
	s_cbranch_execnz .LBB10_97
.LBB10_89:
	s_or_b32 exec_lo, exec_lo, s0
	s_and_saveexec_b32 s0, s2
	s_cbranch_execnz .LBB10_98
.LBB10_90:
	s_or_b32 exec_lo, exec_lo, s0
	s_and_saveexec_b32 s0, s3
	s_cbranch_execnz .LBB10_99
.LBB10_91:
	s_or_b32 exec_lo, exec_lo, s0
	s_and_saveexec_b32 s0, s4
	s_cbranch_execnz .LBB10_100
.LBB10_92:
	s_or_b32 exec_lo, exec_lo, s0
	s_and_saveexec_b32 s0, s5
	s_cbranch_execnz .LBB10_101
.LBB10_93:
	s_or_b32 exec_lo, exec_lo, s0
	s_and_saveexec_b32 s0, s6
	s_cbranch_execnz .LBB10_102
.LBB10_94:
	s_endpgm
.LBB10_95:
	v_cndmask_b32_e64 v3, v6, v7, s7
	global_store_dword v[0:1], v3, off
	s_or_b32 exec_lo, exec_lo, s14
	s_and_saveexec_b32 s7, s0
	s_cbranch_execz .LBB10_88
.LBB10_96:
	v_cndmask_b32_e64 v3, v8, v9, s8
	global_store_dword v[0:1], v3, off offset:4
	s_or_b32 exec_lo, exec_lo, s7
	s_and_saveexec_b32 s0, s1
	s_cbranch_execz .LBB10_89
.LBB10_97:
	v_cndmask_b32_e64 v3, v10, v11, s9
	global_store_dword v[0:1], v3, off offset:8
	s_or_b32 exec_lo, exec_lo, s0
	s_and_saveexec_b32 s0, s2
	s_cbranch_execz .LBB10_90
.LBB10_98:
	v_cndmask_b32_e64 v3, v12, v13, s10
	global_store_dword v[0:1], v3, off offset:12
	s_or_b32 exec_lo, exec_lo, s0
	s_and_saveexec_b32 s0, s3
	s_cbranch_execz .LBB10_91
.LBB10_99:
	v_cndmask_b32_e64 v3, v14, v15, s11
	global_store_dword v[0:1], v3, off offset:16
	s_or_b32 exec_lo, exec_lo, s0
	s_and_saveexec_b32 s0, s4
	s_cbranch_execz .LBB10_92
.LBB10_100:
	v_cndmask_b32_e64 v3, v16, v17, s12
	global_store_dword v[0:1], v3, off offset:20
	s_or_b32 exec_lo, exec_lo, s0
	s_and_saveexec_b32 s0, s5
	s_cbranch_execz .LBB10_93
.LBB10_101:
	v_cndmask_b32_e64 v3, v18, v19, s13
	global_store_dword v[0:1], v3, off offset:24
	s_or_b32 exec_lo, exec_lo, s0
	s_and_saveexec_b32 s0, s6
	s_cbranch_execz .LBB10_94
.LBB10_102:
	v_cmp_ge_i32_e32 vcc_lo, v22, v2
	s_waitcnt lgkmcnt(0)
	v_cmp_lt_i32_e64 s0, v23, v21
	v_cmp_lt_i32_e64 s1, v20, v4
	s_or_b32 s0, vcc_lo, s0
	s_and_b32 vcc_lo, s1, s0
	v_cndmask_b32_e32 v2, v21, v23, vcc_lo
	global_store_dword v[0:1], v2, off offset:28
	s_endpgm
	.section	.rodata,"a",@progbits
	.p2align	6, 0x0
	.amdhsa_kernel _Z19sort_keys_segmentedILj256ELj4ELj8EiN10test_utils4lessEEvPKT2_PS2_PKjT3_
		.amdhsa_group_segment_fixed_size 8448
		.amdhsa_private_segment_fixed_size 0
		.amdhsa_kernarg_size 28
		.amdhsa_user_sgpr_count 6
		.amdhsa_user_sgpr_private_segment_buffer 1
		.amdhsa_user_sgpr_dispatch_ptr 0
		.amdhsa_user_sgpr_queue_ptr 0
		.amdhsa_user_sgpr_kernarg_segment_ptr 1
		.amdhsa_user_sgpr_dispatch_id 0
		.amdhsa_user_sgpr_flat_scratch_init 0
		.amdhsa_user_sgpr_private_segment_size 0
		.amdhsa_wavefront_size32 1
		.amdhsa_uses_dynamic_stack 0
		.amdhsa_system_sgpr_private_segment_wavefront_offset 0
		.amdhsa_system_sgpr_workgroup_id_x 1
		.amdhsa_system_sgpr_workgroup_id_y 0
		.amdhsa_system_sgpr_workgroup_id_z 0
		.amdhsa_system_sgpr_workgroup_info 0
		.amdhsa_system_vgpr_workitem_id 0
		.amdhsa_next_free_vgpr 30
		.amdhsa_next_free_sgpr 20
		.amdhsa_reserve_vcc 1
		.amdhsa_reserve_flat_scratch 0
		.amdhsa_float_round_mode_32 0
		.amdhsa_float_round_mode_16_64 0
		.amdhsa_float_denorm_mode_32 3
		.amdhsa_float_denorm_mode_16_64 3
		.amdhsa_dx10_clamp 1
		.amdhsa_ieee_mode 1
		.amdhsa_fp16_overflow 0
		.amdhsa_workgroup_processor_mode 1
		.amdhsa_memory_ordered 1
		.amdhsa_forward_progress 1
		.amdhsa_shared_vgpr_count 0
		.amdhsa_exception_fp_ieee_invalid_op 0
		.amdhsa_exception_fp_denorm_src 0
		.amdhsa_exception_fp_ieee_div_zero 0
		.amdhsa_exception_fp_ieee_overflow 0
		.amdhsa_exception_fp_ieee_underflow 0
		.amdhsa_exception_fp_ieee_inexact 0
		.amdhsa_exception_int_div_zero 0
	.end_amdhsa_kernel
	.section	.text._Z19sort_keys_segmentedILj256ELj4ELj8EiN10test_utils4lessEEvPKT2_PS2_PKjT3_,"axG",@progbits,_Z19sort_keys_segmentedILj256ELj4ELj8EiN10test_utils4lessEEvPKT2_PS2_PKjT3_,comdat
.Lfunc_end10:
	.size	_Z19sort_keys_segmentedILj256ELj4ELj8EiN10test_utils4lessEEvPKT2_PS2_PKjT3_, .Lfunc_end10-_Z19sort_keys_segmentedILj256ELj4ELj8EiN10test_utils4lessEEvPKT2_PS2_PKjT3_
                                        ; -- End function
	.set _Z19sort_keys_segmentedILj256ELj4ELj8EiN10test_utils4lessEEvPKT2_PS2_PKjT3_.num_vgpr, 30
	.set _Z19sort_keys_segmentedILj256ELj4ELj8EiN10test_utils4lessEEvPKT2_PS2_PKjT3_.num_agpr, 0
	.set _Z19sort_keys_segmentedILj256ELj4ELj8EiN10test_utils4lessEEvPKT2_PS2_PKjT3_.numbered_sgpr, 20
	.set _Z19sort_keys_segmentedILj256ELj4ELj8EiN10test_utils4lessEEvPKT2_PS2_PKjT3_.num_named_barrier, 0
	.set _Z19sort_keys_segmentedILj256ELj4ELj8EiN10test_utils4lessEEvPKT2_PS2_PKjT3_.private_seg_size, 0
	.set _Z19sort_keys_segmentedILj256ELj4ELj8EiN10test_utils4lessEEvPKT2_PS2_PKjT3_.uses_vcc, 1
	.set _Z19sort_keys_segmentedILj256ELj4ELj8EiN10test_utils4lessEEvPKT2_PS2_PKjT3_.uses_flat_scratch, 0
	.set _Z19sort_keys_segmentedILj256ELj4ELj8EiN10test_utils4lessEEvPKT2_PS2_PKjT3_.has_dyn_sized_stack, 0
	.set _Z19sort_keys_segmentedILj256ELj4ELj8EiN10test_utils4lessEEvPKT2_PS2_PKjT3_.has_recursion, 0
	.set _Z19sort_keys_segmentedILj256ELj4ELj8EiN10test_utils4lessEEvPKT2_PS2_PKjT3_.has_indirect_call, 0
	.section	.AMDGPU.csdata,"",@progbits
; Kernel info:
; codeLenInByte = 4492
; TotalNumSgprs: 22
; NumVgprs: 30
; ScratchSize: 0
; MemoryBound: 0
; FloatMode: 240
; IeeeMode: 1
; LDSByteSize: 8448 bytes/workgroup (compile time only)
; SGPRBlocks: 0
; VGPRBlocks: 3
; NumSGPRsForWavesPerEU: 22
; NumVGPRsForWavesPerEU: 30
; Occupancy: 16
; WaveLimiterHint : 0
; COMPUTE_PGM_RSRC2:SCRATCH_EN: 0
; COMPUTE_PGM_RSRC2:USER_SGPR: 6
; COMPUTE_PGM_RSRC2:TRAP_HANDLER: 0
; COMPUTE_PGM_RSRC2:TGID_X_EN: 1
; COMPUTE_PGM_RSRC2:TGID_Y_EN: 0
; COMPUTE_PGM_RSRC2:TGID_Z_EN: 0
; COMPUTE_PGM_RSRC2:TIDIG_COMP_CNT: 0
	.section	.text._Z20sort_pairs_segmentedILj256ELj4ELj8EiN10test_utils4lessEEvPKT2_PS2_PKjT3_,"axG",@progbits,_Z20sort_pairs_segmentedILj256ELj4ELj8EiN10test_utils4lessEEvPKT2_PS2_PKjT3_,comdat
	.protected	_Z20sort_pairs_segmentedILj256ELj4ELj8EiN10test_utils4lessEEvPKT2_PS2_PKjT3_ ; -- Begin function _Z20sort_pairs_segmentedILj256ELj4ELj8EiN10test_utils4lessEEvPKT2_PS2_PKjT3_
	.globl	_Z20sort_pairs_segmentedILj256ELj4ELj8EiN10test_utils4lessEEvPKT2_PS2_PKjT3_
	.p2align	8
	.type	_Z20sort_pairs_segmentedILj256ELj4ELj8EiN10test_utils4lessEEvPKT2_PS2_PKjT3_,@function
_Z20sort_pairs_segmentedILj256ELj4ELj8EiN10test_utils4lessEEvPKT2_PS2_PKjT3_: ; @_Z20sort_pairs_segmentedILj256ELj4ELj8EiN10test_utils4lessEEvPKT2_PS2_PKjT3_
; %bb.0:
	s_clause 0x1
	s_load_dwordx2 s[0:1], s[4:5], 0x10
	s_load_dwordx4 s[16:19], s[4:5], 0x0
	v_lshrrev_b32_e32 v8, 2, v0
	v_mov_b32_e32 v2, 0
	v_mbcnt_lo_u32_b32 v0, -1, 0
	v_lshl_or_b32 v1, s6, 6, v8
	v_mov_b32_e32 v10, v2
	v_lshlrev_b32_e32 v9, 3, v0
	v_mov_b32_e32 v11, v2
	v_mov_b32_e32 v12, v2
	v_lshlrev_b64 v[3:4], 2, v[1:2]
	v_lshlrev_b32_e32 v1, 5, v1
	v_and_b32_e32 v7, 24, v9
	v_mov_b32_e32 v17, v2
	v_mov_b32_e32 v23, v2
	;; [unrolled: 1-line block ×3, first 2 shown]
	v_lshlrev_b64 v[0:1], 2, v[1:2]
	v_lshlrev_b32_e32 v5, 2, v7
	s_waitcnt lgkmcnt(0)
	v_add_co_u32 v3, vcc_lo, s0, v3
	v_add_co_ci_u32_e64 v4, null, s1, v4, vcc_lo
	v_mov_b32_e32 v26, v2
	global_load_dword v6, v[3:4], off
	v_add_co_u32 v3, vcc_lo, s16, v0
	v_add_co_ci_u32_e64 v4, null, s17, v1, vcc_lo
	v_add_co_u32 v3, vcc_lo, v3, v5
	v_add_co_ci_u32_e64 v4, null, 0, v4, vcc_lo
	s_waitcnt vmcnt(0)
	v_cmp_lt_u32_e32 vcc_lo, v7, v6
	s_and_saveexec_b32 s0, vcc_lo
	s_cbranch_execz .LBB11_2
; %bb.1:
	global_load_dword v10, v[3:4], off
	v_mov_b32_e32 v11, v2
	v_mov_b32_e32 v12, v2
	;; [unrolled: 1-line block ×6, first 2 shown]
.LBB11_2:
	s_or_b32 exec_lo, exec_lo, s0
	v_or_b32_e32 v13, 1, v7
	v_cmp_lt_u32_e64 s0, v13, v6
	s_and_saveexec_b32 s1, s0
	s_cbranch_execz .LBB11_4
; %bb.3:
	global_load_dword v2, v[3:4], off offset:4
.LBB11_4:
	s_or_b32 exec_lo, exec_lo, s1
	v_or_b32_e32 v14, 2, v7
	v_cmp_lt_u32_e64 s1, v14, v6
	s_and_saveexec_b32 s2, s1
	s_cbranch_execz .LBB11_6
; %bb.5:
	global_load_dword v11, v[3:4], off offset:8
.LBB11_6:
	;; [unrolled: 8-line block ×7, first 2 shown]
	s_or_b32 exec_lo, exec_lo, s7
	v_cmp_lt_i32_e64 s8, v18, v6
	v_cmp_lt_i32_e64 s9, v19, v6
	;; [unrolled: 1-line block ×6, first 2 shown]
	s_or_b32 s8, s9, s8
	s_waitcnt vmcnt(0)
	v_cndmask_b32_e64 v18, 0x7fffffff, v25, s9
	v_cndmask_b32_e64 v19, 0x7fffffff, v23, s8
	s_or_b32 s8, s8, s11
	v_mov_b32_e32 v28, v10
	v_cndmask_b32_e64 v20, 0x7fffffff, v17, s8
	s_or_b32 s8, s8, s12
	v_mov_b32_e32 v3, v26
	v_cndmask_b32_e64 v22, 0x7fffffff, v12, s8
	s_or_b32 s8, s8, s10
	s_brev_b32 s10, -2
	s_or_b32 s7, s8, s7
	v_cndmask_b32_e64 v21, 0x7fffffff, v11, s8
	v_cndmask_b32_e64 v24, 0x7fffffff, v2, s7
	v_cmp_ge_i32_e64 s7, v27, v6
	v_mov_b32_e32 v27, v10
	s_mov_b32 s8, 0
	s_and_saveexec_b32 s9, s7
	s_xor_b32 s9, exec_lo, s9
; %bb.17:
	v_cmp_lt_i32_e64 s7, v7, v6
	v_mov_b32_e32 v3, s10
	v_mov_b32_e32 v27, v28
	s_and_b32 s8, s7, exec_lo
; %bb.18:
	s_andn2_saveexec_b32 s7, s9
; %bb.19:
	s_or_b32 s8, s8, exec_lo
; %bb.20:
	s_or_b32 exec_lo, exec_lo, s7
	v_add_nc_u32_e32 v15, 1, v10
	v_add_nc_u32_e32 v16, 1, v2
	;; [unrolled: 1-line block ×8, first 2 shown]
	v_bfrev_b32_e32 v23, -2
	s_and_saveexec_b32 s12, s8
	s_cbranch_execz .LBB11_24
; %bb.21:
	v_cmp_lt_i32_e64 s7, v24, v27
	v_cmp_lt_i32_e64 s8, v22, v21
	s_mov_b32 s13, exec_lo
	v_cndmask_b32_e64 v2, v16, v15, s7
	v_cndmask_b32_e64 v15, v15, v16, s7
	;; [unrolled: 1-line block ×5, first 2 shown]
	v_cmp_lt_i32_e64 s7, v19, v20
	v_cndmask_b32_e64 v13, v13, v14, s8
	v_cndmask_b32_e64 v14, v22, v21, s8
	;; [unrolled: 1-line block ×3, first 2 shown]
	v_cmp_lt_i32_e64 s8, v3, v18
	v_cndmask_b32_e64 v22, v10, v12, s7
	v_cndmask_b32_e64 v10, v12, v10, s7
	v_cndmask_b32_e64 v12, v19, v20, s7
	v_cndmask_b32_e64 v19, v20, v19, s7
	v_cndmask_b32_e64 v20, v11, v4, s8
	v_cmp_lt_i32_e64 s7, v21, v17
	v_cndmask_b32_e64 v4, v4, v11, s8
	v_cndmask_b32_e64 v11, v3, v18, s8
	;; [unrolled: 1-line block ×3, first 2 shown]
	v_cmp_lt_i32_e64 s8, v19, v14
	v_cndmask_b32_e64 v18, v13, v2, s7
	v_cndmask_b32_e64 v2, v2, v13, s7
	;; [unrolled: 1-line block ×4, first 2 shown]
	v_cmp_lt_i32_e64 s7, v3, v12
	v_cndmask_b32_e64 v21, v10, v23, s8
	v_cndmask_b32_e64 v10, v23, v10, s8
	;; [unrolled: 1-line block ×6, first 2 shown]
	v_cmp_lt_i32_e64 s8, v17, v16
	v_cndmask_b32_e64 v22, v3, v12, s7
	v_cndmask_b32_e64 v3, v12, v3, s7
	v_cmp_lt_i32_e64 s7, v14, v13
	v_cndmask_b32_e64 v12, v2, v15, s8
	v_cndmask_b32_e64 v2, v15, v2, s8
	;; [unrolled: 1-line block ×4, first 2 shown]
	v_cmp_lt_i32_e64 s8, v3, v23
	v_cndmask_b32_e64 v17, v10, v18, s7
	v_cndmask_b32_e64 v10, v18, v10, s7
	;; [unrolled: 1-line block ×5, first 2 shown]
	v_cmp_lt_i32_e64 s7, v11, v22
	v_cndmask_b32_e64 v4, v21, v4, s8
	v_cndmask_b32_e64 v21, v3, v23, s8
	v_cndmask_b32_e64 v3, v23, v3, s8
	v_cmp_lt_i32_e64 s8, v13, v16
	v_cndmask_b32_e64 v23, v20, v19, s7
	v_cndmask_b32_e64 v19, v19, v20, s7
	;; [unrolled: 1-line block ×4, first 2 shown]
	v_cmp_lt_i32_e64 s7, v3, v18
	v_cndmask_b32_e64 v22, v10, v12, s8
	v_cndmask_b32_e64 v10, v12, v10, s8
	;; [unrolled: 1-line block ×6, first 2 shown]
	v_cmp_lt_i32_e64 s8, v11, v21
	v_cndmask_b32_e64 v17, v3, v18, s7
	v_cndmask_b32_e64 v3, v18, v3, s7
	v_cmp_lt_i32_e64 s7, v13, v15
	v_cndmask_b32_e64 v18, v19, v14, s8
	v_cndmask_b32_e64 v14, v14, v19, s8
	;; [unrolled: 1-line block ×4, first 2 shown]
	v_cmp_lt_i32_e64 s8, v3, v12
	v_cndmask_b32_e64 v21, v10, v2, s7
	v_cndmask_b32_e64 v2, v2, v10, s7
	;; [unrolled: 1-line block ×5, first 2 shown]
	v_cmp_lt_i32_e64 s7, v11, v17
	v_cndmask_b32_e64 v4, v22, v4, s8
	v_cndmask_b32_e64 v22, v3, v12, s8
	;; [unrolled: 1-line block ×3, first 2 shown]
	v_cmp_lt_i32_e64 s8, v20, v19
	v_cndmask_b32_e64 v24, v14, v16, s7
	v_cndmask_b32_e64 v14, v16, v14, s7
	;; [unrolled: 1-line block ×7, first 2 shown]
	v_cmp_lt_i32_e64 s7, v12, v13
	v_cndmask_b32_e64 v18, v18, v23, s8
	v_cmp_lt_i32_e64 s8, v17, v22
	v_cmp_lt_i32_e64 s9, v19, v16
	v_cndmask_b32_e64 v20, v4, v21, s7
	v_cndmask_b32_e64 v11, v21, v4, s7
	;; [unrolled: 1-line block ×12, first 2 shown]
	v_cmp_lt_i32_e64 s7, v13, v10
	v_cmp_lt_i32_e64 s8, v22, v4
	;; [unrolled: 1-line block ×3, first 2 shown]
	v_cndmask_b32_e64 v27, v10, v13, s7
	v_cndmask_b32_e64 v10, v13, v10, s7
	;; [unrolled: 1-line block ×9, first 2 shown]
	v_cmp_lt_i32_e64 s8, v26, v24
	v_cndmask_b32_e64 v19, v19, v23, s9
	v_cmp_lt_i32_e64 s9, v20, v10
	v_cmp_lt_i32_e64 s10, v22, v15
	v_cndmask_b32_e64 v14, v11, v2, s7
	v_cndmask_b32_e64 v4, v12, v3, s8
	;; [unrolled: 1-line block ×8, first 2 shown]
	v_mov_b32_e32 v10, v13
	v_cmpx_lt_i32_e64 v18, v19
; %bb.22:
	v_mov_b32_e32 v15, v18
	v_swap_b32 v18, v19
	v_mov_b32_e32 v10, v4
	v_mov_b32_e32 v4, v13
; %bb.23:
	s_or_b32 exec_lo, exec_lo, s13
	v_cndmask_b32_e64 v15, v2, v11, s7
	v_cndmask_b32_e64 v11, v3, v12, s8
	;; [unrolled: 1-line block ×6, first 2 shown]
.LBB11_24:
	s_or_b32 exec_lo, exec_lo, s12
	v_and_b32_e32 v2, 16, v9
	v_and_b32_e32 v3, 8, v9
	; wave barrier
	s_mov_b32 s9, 0
	v_min_i32_e32 v25, v6, v2
	v_min_i32_e32 v26, v6, v3
	v_mad_u32_u24 v3, 0x84, v8, v5
	s_mov_b32 s8, exec_lo
	ds_write2_b32 v3, v27, v24 offset1:1
	ds_write2_b32 v3, v21, v22 offset0:2 offset1:3
	ds_write2_b32 v3, v20, v19 offset0:4 offset1:5
	v_add_nc_u32_e32 v2, 8, v25
	v_lshlrev_b32_e32 v31, 2, v25
	ds_write2_b32 v3, v18, v23 offset0:6 offset1:7
	; wave barrier
	v_min_i32_e32 v17, v6, v2
	v_mad_u32_u24 v19, 0x84, v8, v31
	v_add_nc_u32_e32 v2, 8, v17
	v_sub_nc_u32_e32 v30, v17, v25
	v_min_i32_e32 v9, v6, v2
	v_mul_u32_u24_e32 v2, 0x84, v8
	v_sub_nc_u32_e32 v28, v9, v17
	v_sub_nc_u32_e32 v29, v26, v28
	v_cmp_ge_i32_e64 s7, v26, v28
	v_cndmask_b32_e64 v28, 0, v29, s7
	v_min_i32_e32 v29, v26, v30
	v_cmpx_lt_i32_e64 v28, v29
	s_cbranch_execz .LBB11_28
; %bb.25:
	v_lshlrev_b32_e32 v8, 2, v17
	v_lshlrev_b32_e32 v18, 2, v26
	v_add3_u32 v8, v2, v8, v18
	.p2align	6
.LBB11_26:                              ; =>This Inner Loop Header: Depth=1
	v_sub_nc_u32_e32 v18, v29, v28
	v_lshrrev_b32_e32 v18, 1, v18
	v_add_nc_u32_e32 v18, v18, v28
	v_not_b32_e32 v20, v18
	v_lshl_add_u32 v21, v18, 2, v19
	v_add_nc_u32_e32 v22, 1, v18
	v_lshl_add_u32 v20, v20, 2, v8
	ds_read_b32 v21, v21
	ds_read_b32 v20, v20
	s_waitcnt lgkmcnt(0)
	v_cmp_lt_i32_e64 s7, v20, v21
	v_cndmask_b32_e64 v29, v29, v18, s7
	v_cndmask_b32_e64 v28, v22, v28, s7
	v_cmp_ge_i32_e64 s7, v28, v29
	s_or_b32 s9, s7, s9
	s_andn2_b32 exec_lo, exec_lo, s9
	s_cbranch_execnz .LBB11_26
; %bb.27:
	s_or_b32 exec_lo, exec_lo, s9
.LBB11_28:
	s_or_b32 exec_lo, exec_lo, s8
	v_add_nc_u32_e32 v8, v17, v26
	v_lshl_add_u32 v21, v28, 2, v19
	v_add_nc_u32_e32 v24, v28, v25
                                        ; implicit-def: $vgpr20
	v_sub_nc_u32_e32 v8, v8, v28
	v_cmp_le_i32_e64 s7, v17, v24
	v_lshl_add_u32 v22, v8, 2, v2
	v_cmp_gt_i32_e64 s9, v9, v8
	ds_read_b32 v18, v21
	ds_read_b32 v19, v22
	s_waitcnt lgkmcnt(0)
	v_cmp_lt_i32_e64 s8, v19, v18
	s_or_b32 s7, s7, s8
	s_and_b32 s7, s9, s7
	s_xor_b32 s8, s7, -1
	s_and_saveexec_b32 s9, s8
	s_xor_b32 s8, exec_lo, s9
; %bb.29:
	ds_read_b32 v20, v21 offset:4
                                        ; implicit-def: $vgpr22
; %bb.30:
	s_or_saveexec_b32 s8, s8
	v_mov_b32_e32 v21, v19
	s_xor_b32 exec_lo, exec_lo, s8
	s_cbranch_execz .LBB11_32
; %bb.31:
	ds_read_b32 v21, v22 offset:4
	s_waitcnt lgkmcnt(1)
	v_mov_b32_e32 v20, v18
.LBB11_32:
	s_or_b32 exec_lo, exec_lo, s8
	v_add_nc_u32_e32 v22, 1, v24
	v_add_nc_u32_e32 v23, 1, v8
	s_waitcnt lgkmcnt(0)
	v_cmp_lt_i32_e64 s9, v21, v20
	v_cndmask_b32_e64 v25, v22, v24, s7
	v_cndmask_b32_e64 v26, v8, v23, s7
                                        ; implicit-def: $vgpr22
	v_cmp_ge_i32_e64 s8, v25, v17
	v_cmp_lt_i32_e64 s10, v26, v9
	s_or_b32 s8, s8, s9
	s_and_b32 s8, s10, s8
	s_xor_b32 s9, s8, -1
	s_and_saveexec_b32 s10, s9
	s_xor_b32 s9, exec_lo, s10
; %bb.33:
	v_lshl_add_u32 v22, v25, 2, v2
	ds_read_b32 v22, v22 offset:4
; %bb.34:
	s_or_saveexec_b32 s9, s9
	v_mov_b32_e32 v23, v21
	s_xor_b32 exec_lo, exec_lo, s9
	s_cbranch_execz .LBB11_36
; %bb.35:
	s_waitcnt lgkmcnt(0)
	v_lshl_add_u32 v22, v26, 2, v2
	ds_read_b32 v23, v22 offset:4
	v_mov_b32_e32 v22, v20
.LBB11_36:
	s_or_b32 exec_lo, exec_lo, s9
	v_add_nc_u32_e32 v27, 1, v25
	v_add_nc_u32_e32 v28, 1, v26
	s_waitcnt lgkmcnt(0)
	v_cmp_lt_i32_e64 s10, v23, v22
                                        ; implicit-def: $vgpr29
	v_cndmask_b32_e64 v27, v27, v25, s8
	v_cndmask_b32_e64 v28, v26, v28, s8
	v_cmp_ge_i32_e64 s9, v27, v17
	v_cmp_lt_i32_e64 s11, v28, v9
	s_or_b32 s9, s9, s10
	s_and_b32 s9, s11, s9
	s_xor_b32 s10, s9, -1
	s_and_saveexec_b32 s11, s10
	s_xor_b32 s10, exec_lo, s11
; %bb.37:
	v_lshl_add_u32 v29, v27, 2, v2
	ds_read_b32 v29, v29 offset:4
; %bb.38:
	s_or_saveexec_b32 s10, s10
	v_mov_b32_e32 v30, v23
	s_xor_b32 exec_lo, exec_lo, s10
	s_cbranch_execz .LBB11_40
; %bb.39:
	s_waitcnt lgkmcnt(0)
	v_lshl_add_u32 v29, v28, 2, v2
	ds_read_b32 v30, v29 offset:4
	v_mov_b32_e32 v29, v22
.LBB11_40:
	s_or_b32 exec_lo, exec_lo, s10
	v_add_nc_u32_e32 v31, 1, v27
	v_add_nc_u32_e32 v32, 1, v28
	s_waitcnt lgkmcnt(0)
	v_cmp_lt_i32_e64 s11, v30, v29
                                        ; implicit-def: $vgpr33
	v_cndmask_b32_e64 v31, v31, v27, s9
	v_cndmask_b32_e64 v32, v28, v32, s9
	v_cmp_ge_i32_e64 s10, v31, v17
	v_cmp_lt_i32_e64 s12, v32, v9
	s_or_b32 s10, s10, s11
	s_and_b32 s10, s12, s10
	s_xor_b32 s11, s10, -1
	s_and_saveexec_b32 s12, s11
	s_xor_b32 s11, exec_lo, s12
; %bb.41:
	v_lshl_add_u32 v33, v31, 2, v2
	ds_read_b32 v33, v33 offset:4
; %bb.42:
	s_or_saveexec_b32 s11, s11
	v_mov_b32_e32 v34, v30
	s_xor_b32 exec_lo, exec_lo, s11
	s_cbranch_execz .LBB11_44
; %bb.43:
	s_waitcnt lgkmcnt(0)
	v_lshl_add_u32 v33, v32, 2, v2
	ds_read_b32 v34, v33 offset:4
	v_mov_b32_e32 v33, v29
.LBB11_44:
	s_or_b32 exec_lo, exec_lo, s11
	v_add_nc_u32_e32 v35, 1, v31
	v_add_nc_u32_e32 v36, 1, v32
	s_waitcnt lgkmcnt(0)
	v_cmp_lt_i32_e64 s12, v34, v33
                                        ; implicit-def: $vgpr37
	v_cndmask_b32_e64 v35, v35, v31, s10
	v_cndmask_b32_e64 v36, v32, v36, s10
	v_cmp_ge_i32_e64 s11, v35, v17
	v_cmp_lt_i32_e64 s13, v36, v9
	s_or_b32 s11, s11, s12
	s_and_b32 s11, s13, s11
	s_xor_b32 s12, s11, -1
	s_and_saveexec_b32 s13, s12
	s_xor_b32 s12, exec_lo, s13
; %bb.45:
	v_lshl_add_u32 v37, v35, 2, v2
	ds_read_b32 v37, v37 offset:4
; %bb.46:
	s_or_saveexec_b32 s12, s12
	v_mov_b32_e32 v38, v34
	s_xor_b32 exec_lo, exec_lo, s12
	s_cbranch_execz .LBB11_48
; %bb.47:
	s_waitcnt lgkmcnt(0)
	v_lshl_add_u32 v37, v36, 2, v2
	ds_read_b32 v38, v37 offset:4
	v_mov_b32_e32 v37, v33
.LBB11_48:
	s_or_b32 exec_lo, exec_lo, s12
	v_add_nc_u32_e32 v39, 1, v35
	v_add_nc_u32_e32 v41, 1, v36
	s_waitcnt lgkmcnt(0)
	v_cmp_lt_i32_e64 s13, v38, v37
                                        ; implicit-def: $vgpr43
	v_cndmask_b32_e64 v40, v39, v35, s11
	v_cndmask_b32_e64 v41, v36, v41, s11
	v_cmp_ge_i32_e64 s12, v40, v17
	v_cmp_lt_i32_e64 s14, v41, v9
	s_or_b32 s12, s12, s13
	s_and_b32 s12, s14, s12
	s_xor_b32 s13, s12, -1
	s_and_saveexec_b32 s14, s13
	s_xor_b32 s13, exec_lo, s14
; %bb.49:
	v_lshl_add_u32 v39, v40, 2, v2
	ds_read_b32 v43, v39 offset:4
; %bb.50:
	s_or_saveexec_b32 s13, s13
	v_mov_b32_e32 v44, v38
	s_xor_b32 exec_lo, exec_lo, s13
	s_cbranch_execz .LBB11_52
; %bb.51:
	v_lshl_add_u32 v39, v41, 2, v2
	s_waitcnt lgkmcnt(0)
	v_mov_b32_e32 v43, v37
	ds_read_b32 v44, v39 offset:4
.LBB11_52:
	s_or_b32 exec_lo, exec_lo, s13
	v_add_nc_u32_e32 v39, 1, v40
	v_add_nc_u32_e32 v42, 1, v41
	s_waitcnt lgkmcnt(0)
	v_cmp_lt_i32_e64 s14, v44, v43
	v_cndmask_b32_e64 v45, v39, v40, s12
	v_cndmask_b32_e64 v46, v41, v42, s12
                                        ; implicit-def: $vgpr39
	v_cmp_ge_i32_e64 s13, v45, v17
	v_cmp_lt_i32_e64 s15, v46, v9
	s_or_b32 s13, s13, s14
	s_and_b32 s13, s15, s13
	s_xor_b32 s14, s13, -1
	s_and_saveexec_b32 s15, s14
	s_xor_b32 s14, exec_lo, s15
; %bb.53:
	v_lshl_add_u32 v39, v45, 2, v2
	ds_read_b32 v39, v39 offset:4
; %bb.54:
	s_or_saveexec_b32 s14, s14
	v_mov_b32_e32 v42, v44
	s_xor_b32 exec_lo, exec_lo, s14
	s_cbranch_execz .LBB11_56
; %bb.55:
	s_waitcnt lgkmcnt(0)
	v_lshl_add_u32 v39, v46, 2, v2
	ds_read_b32 v42, v39 offset:4
	v_mov_b32_e32 v39, v43
.LBB11_56:
	s_or_b32 exec_lo, exec_lo, s14
	v_add_nc_u32_e32 v48, 1, v45
	v_add_nc_u32_e32 v47, 1, v46
	v_cndmask_b32_e64 v43, v43, v44, s13
	v_cndmask_b32_e64 v44, v45, v46, s13
	;; [unrolled: 1-line block ×4, first 2 shown]
	v_min_i32_e32 v24, 0, v6
	v_cndmask_b32_e64 v46, v46, v47, s13
	v_cndmask_b32_e64 v29, v29, v30, s10
	;; [unrolled: 1-line block ×3, first 2 shown]
	v_cmp_ge_i32_e64 s10, v45, v17
	v_cndmask_b32_e64 v17, v27, v28, s9
	v_add_nc_u32_e32 v27, 16, v24
	v_cndmask_b32_e64 v33, v33, v34, s11
	v_cndmask_b32_e64 v34, v35, v36, s11
	s_waitcnt lgkmcnt(0)
	v_cmp_lt_i32_e64 s11, v42, v39
	v_cndmask_b32_e64 v37, v37, v38, s12
	v_cndmask_b32_e64 v38, v40, v41, s12
	v_cmp_lt_i32_e64 s12, v46, v9
	; wave barrier
	ds_write2_b32 v3, v15, v16 offset1:1
	ds_write2_b32 v3, v13, v14 offset0:2 offset1:3
	ds_write2_b32 v3, v12, v10 offset0:4 offset1:5
	v_min_i32_e32 v13, v6, v27
	v_cndmask_b32_e64 v9, v25, v26, s8
	s_or_b32 s10, s10, s11
	ds_write2_b32 v3, v4, v11 offset0:6 offset1:7
	s_and_b32 s10, s12, s10
	v_lshl_add_u32 v4, v8, 2, v2
	v_cndmask_b32_e64 v26, v45, v46, s10
	v_add_nc_u32_e32 v8, 16, v13
	v_lshl_add_u32 v9, v9, 2, v2
	v_lshl_add_u32 v10, v17, 2, v2
	;; [unrolled: 1-line block ×4, first 2 shown]
	; wave barrier
	v_min_i32_e32 v14, v6, v8
	v_lshl_add_u32 v16, v38, 2, v2
	v_lshl_add_u32 v17, v44, 2, v2
	;; [unrolled: 1-line block ×3, first 2 shown]
	v_min_i32_e32 v15, v6, v7
	ds_read_b32 v4, v4
	ds_read_b32 v6, v9
	;; [unrolled: 1-line block ×8, first 2 shown]
	v_sub_nc_u32_e32 v27, v14, v13
	v_cndmask_b32_e64 v20, v20, v21, s8
	v_cndmask_b32_e64 v19, v18, v19, s7
	v_sub_nc_u32_e32 v18, v13, v24
	v_cndmask_b32_e64 v17, v22, v23, s9
	v_sub_nc_u32_e32 v16, v15, v27
	v_cmp_ge_i32_e64 s7, v15, v27
	v_cndmask_b32_e64 v25, v39, v42, s10
	; wave barrier
	v_min_i32_e32 v18, v15, v18
	v_cndmask_b32_e64 v16, 0, v16, s7
	ds_write2_b32 v3, v19, v20 offset1:1
	ds_write2_b32 v3, v17, v29 offset0:2 offset1:3
	ds_write2_b32 v3, v33, v37 offset0:4 offset1:5
	v_lshl_add_u32 v17, v24, 2, v2
	s_mov_b32 s9, 0
	s_mov_b32 s8, exec_lo
	ds_write2_b32 v3, v43, v25 offset0:6 offset1:7
	; wave barrier
	v_cmpx_lt_i32_e64 v16, v18
	s_cbranch_execz .LBB11_60
; %bb.57:
	v_lshlrev_b32_e32 v19, 2, v13
	v_lshlrev_b32_e32 v20, 2, v15
	v_add3_u32 v19, v2, v19, v20
	.p2align	6
.LBB11_58:                              ; =>This Inner Loop Header: Depth=1
	v_sub_nc_u32_e32 v20, v18, v16
	v_lshrrev_b32_e32 v20, 1, v20
	v_add_nc_u32_e32 v20, v20, v16
	v_not_b32_e32 v21, v20
	v_lshl_add_u32 v22, v20, 2, v17
	v_add_nc_u32_e32 v23, 1, v20
	v_lshl_add_u32 v21, v21, 2, v19
	ds_read_b32 v22, v22
	ds_read_b32 v21, v21
	s_waitcnt lgkmcnt(0)
	v_cmp_lt_i32_e64 s7, v21, v22
	v_cndmask_b32_e64 v18, v18, v20, s7
	v_cndmask_b32_e64 v16, v23, v16, s7
	v_cmp_ge_i32_e64 s7, v16, v18
	s_or_b32 s9, s7, s9
	s_andn2_b32 exec_lo, exec_lo, s9
	s_cbranch_execnz .LBB11_58
; %bb.59:
	s_or_b32 exec_lo, exec_lo, s9
.LBB11_60:
	s_or_b32 exec_lo, exec_lo, s8
	v_add_nc_u32_e32 v15, v13, v15
	v_lshl_add_u32 v20, v16, 2, v17
                                        ; implicit-def: $vgpr19
	v_sub_nc_u32_e32 v15, v15, v16
	v_add_nc_u32_e32 v16, v16, v24
	v_lshl_add_u32 v21, v15, 2, v2
	v_cmp_le_i32_e64 s7, v13, v16
	v_cmp_gt_i32_e64 s9, v14, v15
	ds_read_b32 v17, v20
	ds_read_b32 v18, v21
	s_waitcnt lgkmcnt(0)
	v_cmp_lt_i32_e64 s8, v18, v17
	s_or_b32 s7, s7, s8
	s_and_b32 s7, s9, s7
	s_xor_b32 s8, s7, -1
	s_and_saveexec_b32 s9, s8
	s_xor_b32 s8, exec_lo, s9
; %bb.61:
	ds_read_b32 v19, v20 offset:4
                                        ; implicit-def: $vgpr21
; %bb.62:
	s_or_saveexec_b32 s8, s8
	v_mov_b32_e32 v20, v18
	s_xor_b32 exec_lo, exec_lo, s8
	s_cbranch_execz .LBB11_64
; %bb.63:
	ds_read_b32 v20, v21 offset:4
	s_waitcnt lgkmcnt(1)
	v_mov_b32_e32 v19, v17
.LBB11_64:
	s_or_b32 exec_lo, exec_lo, s8
	v_add_nc_u32_e32 v21, 1, v16
	v_add_nc_u32_e32 v22, 1, v15
	s_waitcnt lgkmcnt(0)
	v_cmp_lt_i32_e64 s9, v20, v19
	v_cndmask_b32_e64 v23, v21, v16, s7
	v_cndmask_b32_e64 v24, v15, v22, s7
                                        ; implicit-def: $vgpr21
	v_cmp_ge_i32_e64 s8, v23, v13
	v_cmp_lt_i32_e64 s10, v24, v14
	s_or_b32 s8, s8, s9
	s_and_b32 s8, s10, s8
	s_xor_b32 s9, s8, -1
	s_and_saveexec_b32 s10, s9
	s_xor_b32 s9, exec_lo, s10
; %bb.65:
	v_lshl_add_u32 v21, v23, 2, v2
	ds_read_b32 v21, v21 offset:4
; %bb.66:
	s_or_saveexec_b32 s9, s9
	v_mov_b32_e32 v22, v20
	s_xor_b32 exec_lo, exec_lo, s9
	s_cbranch_execz .LBB11_68
; %bb.67:
	s_waitcnt lgkmcnt(0)
	v_lshl_add_u32 v21, v24, 2, v2
	ds_read_b32 v22, v21 offset:4
	v_mov_b32_e32 v21, v19
.LBB11_68:
	s_or_b32 exec_lo, exec_lo, s9
	v_add_nc_u32_e32 v25, 1, v23
	v_add_nc_u32_e32 v26, 1, v24
	s_waitcnt lgkmcnt(0)
	v_cmp_lt_i32_e64 s10, v22, v21
	v_cndmask_b32_e64 v27, v25, v23, s8
	v_cndmask_b32_e64 v28, v24, v26, s8
                                        ; implicit-def: $vgpr25
	v_cmp_ge_i32_e64 s9, v27, v13
	v_cmp_lt_i32_e64 s11, v28, v14
	s_or_b32 s9, s9, s10
	s_and_b32 s9, s11, s9
	s_xor_b32 s10, s9, -1
	s_and_saveexec_b32 s11, s10
	s_xor_b32 s10, exec_lo, s11
; %bb.69:
	v_lshl_add_u32 v25, v27, 2, v2
	ds_read_b32 v25, v25 offset:4
; %bb.70:
	s_or_saveexec_b32 s10, s10
	v_mov_b32_e32 v26, v22
	s_xor_b32 exec_lo, exec_lo, s10
	s_cbranch_execz .LBB11_72
; %bb.71:
	s_waitcnt lgkmcnt(0)
	v_lshl_add_u32 v25, v28, 2, v2
	ds_read_b32 v26, v25 offset:4
	v_mov_b32_e32 v25, v21
.LBB11_72:
	s_or_b32 exec_lo, exec_lo, s10
	v_add_nc_u32_e32 v29, 1, v27
	v_add_nc_u32_e32 v30, 1, v28
	s_waitcnt lgkmcnt(0)
	v_cmp_lt_i32_e64 s11, v26, v25
	v_cndmask_b32_e64 v31, v29, v27, s9
	v_cndmask_b32_e64 v32, v28, v30, s9
                                        ; implicit-def: $vgpr29
	v_cmp_ge_i32_e64 s10, v31, v13
	v_cmp_lt_i32_e64 s12, v32, v14
	s_or_b32 s10, s10, s11
	s_and_b32 s10, s12, s10
	s_xor_b32 s11, s10, -1
	s_and_saveexec_b32 s12, s11
	s_xor_b32 s11, exec_lo, s12
; %bb.73:
	v_lshl_add_u32 v29, v31, 2, v2
	ds_read_b32 v29, v29 offset:4
; %bb.74:
	s_or_saveexec_b32 s11, s11
	v_mov_b32_e32 v30, v26
	s_xor_b32 exec_lo, exec_lo, s11
	s_cbranch_execz .LBB11_76
; %bb.75:
	s_waitcnt lgkmcnt(0)
	v_lshl_add_u32 v29, v32, 2, v2
	ds_read_b32 v30, v29 offset:4
	v_mov_b32_e32 v29, v25
.LBB11_76:
	s_or_b32 exec_lo, exec_lo, s11
	v_add_nc_u32_e32 v33, 1, v31
	v_add_nc_u32_e32 v34, 1, v32
	s_waitcnt lgkmcnt(0)
	v_cmp_lt_i32_e64 s12, v30, v29
	v_cndmask_b32_e64 v35, v33, v31, s10
	v_cndmask_b32_e64 v36, v32, v34, s10
                                        ; implicit-def: $vgpr33
	v_cmp_ge_i32_e64 s11, v35, v13
	v_cmp_lt_i32_e64 s13, v36, v14
	s_or_b32 s11, s11, s12
	s_and_b32 s11, s13, s11
	s_xor_b32 s12, s11, -1
	s_and_saveexec_b32 s13, s12
	s_xor_b32 s12, exec_lo, s13
; %bb.77:
	v_lshl_add_u32 v33, v35, 2, v2
	ds_read_b32 v33, v33 offset:4
; %bb.78:
	s_or_saveexec_b32 s12, s12
	v_mov_b32_e32 v34, v30
	s_xor_b32 exec_lo, exec_lo, s12
	s_cbranch_execz .LBB11_80
; %bb.79:
	s_waitcnt lgkmcnt(0)
	v_lshl_add_u32 v33, v36, 2, v2
	ds_read_b32 v34, v33 offset:4
	v_mov_b32_e32 v33, v29
.LBB11_80:
	s_or_b32 exec_lo, exec_lo, s12
	v_add_nc_u32_e32 v37, 1, v35
	v_add_nc_u32_e32 v38, 1, v36
	s_waitcnt lgkmcnt(0)
	v_cmp_lt_i32_e64 s13, v34, v33
	v_cndmask_b32_e64 v39, v37, v35, s11
	v_cndmask_b32_e64 v40, v36, v38, s11
                                        ; implicit-def: $vgpr37
	v_cmp_ge_i32_e64 s12, v39, v13
	v_cmp_lt_i32_e64 s14, v40, v14
	s_or_b32 s12, s12, s13
	s_and_b32 s12, s14, s12
	s_xor_b32 s13, s12, -1
	s_and_saveexec_b32 s14, s13
	s_xor_b32 s13, exec_lo, s14
; %bb.81:
	v_lshl_add_u32 v37, v39, 2, v2
	ds_read_b32 v37, v37 offset:4
; %bb.82:
	s_or_saveexec_b32 s13, s13
	v_mov_b32_e32 v38, v34
	s_xor_b32 exec_lo, exec_lo, s13
	s_cbranch_execz .LBB11_84
; %bb.83:
	s_waitcnt lgkmcnt(0)
	v_lshl_add_u32 v37, v40, 2, v2
	ds_read_b32 v38, v37 offset:4
	v_mov_b32_e32 v37, v33
.LBB11_84:
	s_or_b32 exec_lo, exec_lo, s13
	v_add_nc_u32_e32 v41, 1, v39
	v_add_nc_u32_e32 v42, 1, v40
	s_waitcnt lgkmcnt(0)
	v_cmp_lt_i32_e64 s14, v38, v37
                                        ; implicit-def: $vgpr44
                                        ; implicit-def: $vgpr43
	v_cndmask_b32_e64 v45, v41, v39, s12
	v_cndmask_b32_e64 v41, v40, v42, s12
	v_cmp_ge_i32_e64 s13, v45, v13
	v_cmp_lt_i32_e64 s15, v41, v14
	s_or_b32 s13, s13, s14
	s_and_b32 s13, s15, s13
	s_xor_b32 s14, s13, -1
	s_and_saveexec_b32 s15, s14
	s_xor_b32 s14, exec_lo, s15
; %bb.85:
	v_lshl_add_u32 v42, v45, 2, v2
	v_add_nc_u32_e32 v43, 1, v45
	ds_read_b32 v44, v42 offset:4
; %bb.86:
	s_or_saveexec_b32 s14, s14
	v_mov_b32_e32 v42, v45
	v_mov_b32_e32 v46, v38
	s_xor_b32 exec_lo, exec_lo, s14
	s_cbranch_execz .LBB11_88
; %bb.87:
	v_lshl_add_u32 v42, v41, 2, v2
	s_waitcnt lgkmcnt(0)
	v_add_nc_u32_e32 v44, 1, v41
	v_mov_b32_e32 v43, v45
	ds_read_b32 v46, v42 offset:4
	v_mov_b32_e32 v42, v41
	v_mov_b32_e32 v41, v44
	;; [unrolled: 1-line block ×3, first 2 shown]
.LBB11_88:
	s_or_b32 exec_lo, exec_lo, s14
	v_cmp_ge_i32_e64 s14, v43, v13
	s_waitcnt lgkmcnt(0)
	v_cmp_lt_i32_e64 s15, v46, v44
	v_cmp_lt_i32_e64 s16, v41, v14
	v_cndmask_b32_e64 v23, v23, v24, s8
	v_cndmask_b32_e64 v27, v27, v28, s9
	;; [unrolled: 1-line block ×3, first 2 shown]
	s_or_b32 s14, s14, s15
	v_cndmask_b32_e64 v35, v35, v36, s11
	s_and_b32 s14, s16, s14
	v_cndmask_b32_e64 v39, v39, v40, s12
	v_cndmask_b32_e64 v24, v43, v41, s14
	; wave barrier
	ds_write2_b32 v3, v4, v6 offset1:1
	ds_write2_b32 v3, v7, v8 offset0:2 offset1:3
	ds_write2_b32 v3, v9, v10 offset0:4 offset1:5
	;; [unrolled: 1-line block ×3, first 2 shown]
	v_lshl_add_u32 v3, v23, 2, v2
	v_lshl_add_u32 v4, v27, 2, v2
	;; [unrolled: 1-line block ×6, first 2 shown]
	; wave barrier
	v_lshl_add_u32 v11, v24, 2, v2
	ds_read_b32 v24, v3
	ds_read_b32 v23, v4
	;; [unrolled: 1-line block ×7, first 2 shown]
	v_cndmask_b32_e64 v13, v44, v46, s14
	v_cndmask_b32_e64 v6, v17, v18, s7
	v_cndmask_b32_e64 v18, v19, v20, s8
	v_cndmask_b32_e64 v8, v21, v22, s9
	v_cndmask_b32_e64 v11, v25, v26, s10
	v_cndmask_b32_e64 v12, v29, v30, s11
	v_cndmask_b32_e64 v14, v33, v34, s12
	v_cndmask_b32_e64 v17, v37, v38, s13
	s_and_saveexec_b32 s8, vcc_lo
	s_cbranch_execz .LBB11_90
; %bb.89:
	v_cndmask_b32_e64 v15, v16, v15, s7
	v_lshl_add_u32 v2, v15, 2, v2
	ds_read_b32 v2, v2
	s_waitcnt lgkmcnt(0)
	v_add_nc_u32_e32 v6, v2, v6
.LBB11_90:
	s_or_b32 exec_lo, exec_lo, s8
	s_waitcnt lgkmcnt(6)
	v_add_nc_u32_e32 v2, v18, v24
	v_add_co_u32 v0, s7, s18, v0
	s_waitcnt lgkmcnt(5)
	v_add_nc_u32_e32 v16, v8, v23
	s_waitcnt lgkmcnt(4)
	v_add_nc_u32_e32 v19, v11, v10
	v_cndmask_b32_e64 v15, v18, v2, s0
	s_waitcnt lgkmcnt(1)
	v_add_nc_u32_e32 v2, v17, v3
	v_add_nc_u32_e32 v7, v12, v7
	;; [unrolled: 1-line block ×3, first 2 shown]
	v_add_co_ci_u32_e64 v1, null, s19, v1, s7
	v_cndmask_b32_e64 v3, v17, v2, s5
	s_waitcnt lgkmcnt(0)
	v_add_nc_u32_e32 v2, v13, v9
	v_add_co_u32 v0, s7, v0, v5
	v_cndmask_b32_e64 v10, v8, v16, s1
	v_cndmask_b32_e64 v8, v11, v19, s2
	;; [unrolled: 1-line block ×5, first 2 shown]
	v_add_co_ci_u32_e64 v1, null, 0, v1, s7
	s_and_saveexec_b32 s7, vcc_lo
	s_xor_b32 s7, exec_lo, s7
	s_cbranch_execnz .LBB11_99
; %bb.91:
	s_or_b32 exec_lo, exec_lo, s7
	s_and_saveexec_b32 s7, s0
	s_cbranch_execnz .LBB11_100
.LBB11_92:
	s_or_b32 exec_lo, exec_lo, s7
	s_and_saveexec_b32 s0, s1
	s_cbranch_execnz .LBB11_101
.LBB11_93:
	s_or_b32 exec_lo, exec_lo, s0
	s_and_saveexec_b32 s0, s2
	s_cbranch_execnz .LBB11_102
.LBB11_94:
	s_or_b32 exec_lo, exec_lo, s0
	s_and_saveexec_b32 s0, s3
	s_cbranch_execnz .LBB11_103
.LBB11_95:
	s_or_b32 exec_lo, exec_lo, s0
	s_and_saveexec_b32 s0, s4
	s_cbranch_execnz .LBB11_104
.LBB11_96:
	s_or_b32 exec_lo, exec_lo, s0
	s_and_saveexec_b32 s0, s5
	s_cbranch_execnz .LBB11_105
.LBB11_97:
	s_or_b32 exec_lo, exec_lo, s0
	s_and_saveexec_b32 s0, s6
	s_cbranch_execnz .LBB11_106
.LBB11_98:
	s_endpgm
.LBB11_99:
	global_store_dword v[0:1], v6, off
	s_or_b32 exec_lo, exec_lo, s7
	s_and_saveexec_b32 s7, s0
	s_cbranch_execz .LBB11_92
.LBB11_100:
	global_store_dword v[0:1], v15, off offset:4
	s_or_b32 exec_lo, exec_lo, s7
	s_and_saveexec_b32 s0, s1
	s_cbranch_execz .LBB11_93
.LBB11_101:
	global_store_dword v[0:1], v10, off offset:8
	s_or_b32 exec_lo, exec_lo, s0
	s_and_saveexec_b32 s0, s2
	s_cbranch_execz .LBB11_94
.LBB11_102:
	global_store_dword v[0:1], v8, off offset:12
	s_or_b32 exec_lo, exec_lo, s0
	s_and_saveexec_b32 s0, s3
	s_cbranch_execz .LBB11_95
.LBB11_103:
	global_store_dword v[0:1], v7, off offset:16
	s_or_b32 exec_lo, exec_lo, s0
	s_and_saveexec_b32 s0, s4
	s_cbranch_execz .LBB11_96
.LBB11_104:
	global_store_dword v[0:1], v4, off offset:20
	s_or_b32 exec_lo, exec_lo, s0
	s_and_saveexec_b32 s0, s5
	s_cbranch_execz .LBB11_97
.LBB11_105:
	global_store_dword v[0:1], v3, off offset:24
	s_or_b32 exec_lo, exec_lo, s0
	s_and_saveexec_b32 s0, s6
	s_cbranch_execz .LBB11_98
.LBB11_106:
	global_store_dword v[0:1], v2, off offset:28
	s_endpgm
	.section	.rodata,"a",@progbits
	.p2align	6, 0x0
	.amdhsa_kernel _Z20sort_pairs_segmentedILj256ELj4ELj8EiN10test_utils4lessEEvPKT2_PS2_PKjT3_
		.amdhsa_group_segment_fixed_size 8448
		.amdhsa_private_segment_fixed_size 0
		.amdhsa_kernarg_size 28
		.amdhsa_user_sgpr_count 6
		.amdhsa_user_sgpr_private_segment_buffer 1
		.amdhsa_user_sgpr_dispatch_ptr 0
		.amdhsa_user_sgpr_queue_ptr 0
		.amdhsa_user_sgpr_kernarg_segment_ptr 1
		.amdhsa_user_sgpr_dispatch_id 0
		.amdhsa_user_sgpr_flat_scratch_init 0
		.amdhsa_user_sgpr_private_segment_size 0
		.amdhsa_wavefront_size32 1
		.amdhsa_uses_dynamic_stack 0
		.amdhsa_system_sgpr_private_segment_wavefront_offset 0
		.amdhsa_system_sgpr_workgroup_id_x 1
		.amdhsa_system_sgpr_workgroup_id_y 0
		.amdhsa_system_sgpr_workgroup_id_z 0
		.amdhsa_system_sgpr_workgroup_info 0
		.amdhsa_system_vgpr_workitem_id 0
		.amdhsa_next_free_vgpr 49
		.amdhsa_next_free_sgpr 20
		.amdhsa_reserve_vcc 1
		.amdhsa_reserve_flat_scratch 0
		.amdhsa_float_round_mode_32 0
		.amdhsa_float_round_mode_16_64 0
		.amdhsa_float_denorm_mode_32 3
		.amdhsa_float_denorm_mode_16_64 3
		.amdhsa_dx10_clamp 1
		.amdhsa_ieee_mode 1
		.amdhsa_fp16_overflow 0
		.amdhsa_workgroup_processor_mode 1
		.amdhsa_memory_ordered 1
		.amdhsa_forward_progress 1
		.amdhsa_shared_vgpr_count 0
		.amdhsa_exception_fp_ieee_invalid_op 0
		.amdhsa_exception_fp_denorm_src 0
		.amdhsa_exception_fp_ieee_div_zero 0
		.amdhsa_exception_fp_ieee_overflow 0
		.amdhsa_exception_fp_ieee_underflow 0
		.amdhsa_exception_fp_ieee_inexact 0
		.amdhsa_exception_int_div_zero 0
	.end_amdhsa_kernel
	.section	.text._Z20sort_pairs_segmentedILj256ELj4ELj8EiN10test_utils4lessEEvPKT2_PS2_PKjT3_,"axG",@progbits,_Z20sort_pairs_segmentedILj256ELj4ELj8EiN10test_utils4lessEEvPKT2_PS2_PKjT3_,comdat
.Lfunc_end11:
	.size	_Z20sort_pairs_segmentedILj256ELj4ELj8EiN10test_utils4lessEEvPKT2_PS2_PKjT3_, .Lfunc_end11-_Z20sort_pairs_segmentedILj256ELj4ELj8EiN10test_utils4lessEEvPKT2_PS2_PKjT3_
                                        ; -- End function
	.set _Z20sort_pairs_segmentedILj256ELj4ELj8EiN10test_utils4lessEEvPKT2_PS2_PKjT3_.num_vgpr, 49
	.set _Z20sort_pairs_segmentedILj256ELj4ELj8EiN10test_utils4lessEEvPKT2_PS2_PKjT3_.num_agpr, 0
	.set _Z20sort_pairs_segmentedILj256ELj4ELj8EiN10test_utils4lessEEvPKT2_PS2_PKjT3_.numbered_sgpr, 20
	.set _Z20sort_pairs_segmentedILj256ELj4ELj8EiN10test_utils4lessEEvPKT2_PS2_PKjT3_.num_named_barrier, 0
	.set _Z20sort_pairs_segmentedILj256ELj4ELj8EiN10test_utils4lessEEvPKT2_PS2_PKjT3_.private_seg_size, 0
	.set _Z20sort_pairs_segmentedILj256ELj4ELj8EiN10test_utils4lessEEvPKT2_PS2_PKjT3_.uses_vcc, 1
	.set _Z20sort_pairs_segmentedILj256ELj4ELj8EiN10test_utils4lessEEvPKT2_PS2_PKjT3_.uses_flat_scratch, 0
	.set _Z20sort_pairs_segmentedILj256ELj4ELj8EiN10test_utils4lessEEvPKT2_PS2_PKjT3_.has_dyn_sized_stack, 0
	.set _Z20sort_pairs_segmentedILj256ELj4ELj8EiN10test_utils4lessEEvPKT2_PS2_PKjT3_.has_recursion, 0
	.set _Z20sort_pairs_segmentedILj256ELj4ELj8EiN10test_utils4lessEEvPKT2_PS2_PKjT3_.has_indirect_call, 0
	.section	.AMDGPU.csdata,"",@progbits
; Kernel info:
; codeLenInByte = 5304
; TotalNumSgprs: 22
; NumVgprs: 49
; ScratchSize: 0
; MemoryBound: 0
; FloatMode: 240
; IeeeMode: 1
; LDSByteSize: 8448 bytes/workgroup (compile time only)
; SGPRBlocks: 0
; VGPRBlocks: 6
; NumSGPRsForWavesPerEU: 22
; NumVGPRsForWavesPerEU: 49
; Occupancy: 16
; WaveLimiterHint : 0
; COMPUTE_PGM_RSRC2:SCRATCH_EN: 0
; COMPUTE_PGM_RSRC2:USER_SGPR: 6
; COMPUTE_PGM_RSRC2:TRAP_HANDLER: 0
; COMPUTE_PGM_RSRC2:TGID_X_EN: 1
; COMPUTE_PGM_RSRC2:TGID_Y_EN: 0
; COMPUTE_PGM_RSRC2:TGID_Z_EN: 0
; COMPUTE_PGM_RSRC2:TIDIG_COMP_CNT: 0
	.section	.text._Z9sort_keysILj256ELj16ELj1EiN10test_utils4lessEEvPKT2_PS2_T3_,"axG",@progbits,_Z9sort_keysILj256ELj16ELj1EiN10test_utils4lessEEvPKT2_PS2_T3_,comdat
	.protected	_Z9sort_keysILj256ELj16ELj1EiN10test_utils4lessEEvPKT2_PS2_T3_ ; -- Begin function _Z9sort_keysILj256ELj16ELj1EiN10test_utils4lessEEvPKT2_PS2_T3_
	.globl	_Z9sort_keysILj256ELj16ELj1EiN10test_utils4lessEEvPKT2_PS2_T3_
	.p2align	8
	.type	_Z9sort_keysILj256ELj16ELj1EiN10test_utils4lessEEvPKT2_PS2_T3_,@function
_Z9sort_keysILj256ELj16ELj1EiN10test_utils4lessEEvPKT2_PS2_T3_: ; @_Z9sort_keysILj256ELj16ELj1EiN10test_utils4lessEEvPKT2_PS2_T3_
; %bb.0:
	s_load_dwordx4 s[0:3], s[4:5], 0x0
	s_mov_b32 s7, 0
	s_lshl_b32 s6, s6, 8
	v_lshlrev_b32_e32 v1, 2, v0
	s_lshl_b64 s[4:5], s[6:7], 2
	v_mbcnt_lo_u32_b32 v4, -1, 0
	v_lshrrev_b32_e32 v0, 4, v0
	v_mov_b32_e32 v8, 0
	v_and_b32_e32 v6, 14, v4
	v_and_b32_e32 v2, 15, v4
	;; [unrolled: 1-line block ×3, first 2 shown]
	v_or_b32_e32 v5, 1, v6
	v_lshlrev_b32_e32 v10, 2, v2
	v_sub_nc_u32_e32 v3, v5, v6
	s_waitcnt lgkmcnt(0)
	s_add_u32 s0, s0, s4
	s_addc_u32 s1, s1, s5
	global_load_dword v9, v1, s[0:1]
	v_min_i32_e32 v11, v7, v3
	v_mad_u32_u24 v3, 0x44, v0, v10
	v_mul_u32_u24_e32 v0, 0x44, v0
	s_mov_b32 s0, exec_lo
	; wave barrier
	s_waitcnt vmcnt(0)
	ds_write_b32 v3, v9
	; wave barrier
	v_cmpx_lt_i32_e32 0, v11
	s_cbranch_execz .LBB12_4
; %bb.1:
	v_lshl_add_u32 v9, v6, 2, v0
	v_mov_b32_e32 v10, 1
	v_mov_b32_e32 v8, 0
	v_lshl_add_u32 v11, v7, 2, v9
	.p2align	6
.LBB12_2:                               ; =>This Inner Loop Header: Depth=1
	v_sub_nc_u32_e32 v12, v10, v8
	v_lshrrev_b32_e32 v12, 1, v12
	v_add_nc_u32_e32 v12, v12, v8
	v_not_b32_e32 v13, v12
	v_lshl_add_u32 v14, v12, 2, v9
	v_add_nc_u32_e32 v15, 1, v12
	v_lshl_add_u32 v13, v13, 2, v11
	ds_read_b32 v14, v14
	ds_read_b32 v13, v13 offset:4
	s_waitcnt lgkmcnt(0)
	v_cmp_lt_i32_e32 vcc_lo, v13, v14
	v_cndmask_b32_e32 v10, v10, v12, vcc_lo
	v_cndmask_b32_e32 v8, v15, v8, vcc_lo
	v_cmp_ge_i32_e32 vcc_lo, v8, v10
	s_or_b32 s7, vcc_lo, s7
	s_andn2_b32 exec_lo, exec_lo, s7
	s_cbranch_execnz .LBB12_2
; %bb.3:
	s_or_b32 exec_lo, exec_lo, s7
.LBB12_4:
	s_or_b32 exec_lo, exec_lo, s0
	v_add_nc_u32_e32 v9, v6, v7
	v_lshlrev_b32_e32 v10, 2, v8
	v_lshlrev_b32_e32 v6, 2, v6
	v_cmp_lt_i32_e32 vcc_lo, 0, v8
	v_sub_nc_u32_e32 v9, v9, v8
	v_add3_u32 v6, v0, v10, v6
	v_lshl_add_u32 v9, v9, 2, v0
	ds_read_b32 v10, v6
	ds_read_b32 v11, v9 offset:4
	v_add_nc_u32_e32 v9, v5, v7
	v_and_b32_e32 v6, 12, v4
	; wave barrier
	v_sub_nc_u32_e32 v9, v9, v8
	v_or_b32_e32 v7, 2, v6
	v_and_b32_e32 v8, 3, v4
	v_cmp_ge_i32_e64 s1, v5, v9
	v_sub_nc_u32_e32 v12, v7, v6
	v_sub_nc_u32_e64 v5, v8, 2 clamp
	v_min_i32_e32 v9, v8, v12
	s_waitcnt lgkmcnt(0)
	v_cmp_lt_i32_e64 s0, v11, v10
	s_or_b32 s0, vcc_lo, s0
	s_and_b32 vcc_lo, s1, s0
	s_mov_b32 s0, 0
	v_cndmask_b32_e32 v10, v10, v11, vcc_lo
	s_mov_b32 s1, exec_lo
	ds_write_b32 v3, v10
	; wave barrier
	v_cmpx_lt_i32_e64 v5, v9
	s_cbranch_execz .LBB12_8
; %bb.5:
	v_lshl_add_u32 v10, v6, 2, v0
	v_lshl_add_u32 v11, v8, 2, v10
	.p2align	6
.LBB12_6:                               ; =>This Inner Loop Header: Depth=1
	v_sub_nc_u32_e32 v12, v9, v5
	v_lshrrev_b32_e32 v12, 1, v12
	v_add_nc_u32_e32 v12, v12, v5
	v_not_b32_e32 v13, v12
	v_lshl_add_u32 v14, v12, 2, v10
	v_add_nc_u32_e32 v15, 1, v12
	v_lshl_add_u32 v13, v13, 2, v11
	ds_read_b32 v14, v14
	ds_read_b32 v13, v13 offset:8
	s_waitcnt lgkmcnt(0)
	v_cmp_lt_i32_e32 vcc_lo, v13, v14
	v_cndmask_b32_e32 v9, v9, v12, vcc_lo
	v_cndmask_b32_e32 v5, v15, v5, vcc_lo
	v_cmp_ge_i32_e32 vcc_lo, v5, v9
	s_or_b32 s0, vcc_lo, s0
	s_andn2_b32 exec_lo, exec_lo, s0
	s_cbranch_execnz .LBB12_6
; %bb.7:
	s_or_b32 exec_lo, exec_lo, s0
.LBB12_8:
	s_or_b32 exec_lo, exec_lo, s1
	v_add_nc_u32_e32 v9, v6, v8
	v_lshlrev_b32_e32 v10, 2, v5
	v_lshlrev_b32_e32 v11, 2, v6
	v_add_nc_u32_e32 v7, v7, v8
	v_add_nc_u32_e32 v8, 4, v6
	v_sub_nc_u32_e32 v9, v9, v5
	v_cmp_lt_i32_e32 vcc_lo, 1, v5
	v_add3_u32 v10, v0, v10, v11
	v_sub_nc_u32_e32 v7, v7, v5
	v_lshl_add_u32 v9, v9, 2, v0
	ds_read_b32 v10, v10
	ds_read_b32 v11, v9 offset:8
	v_and_b32_e32 v9, 8, v4
	v_cmp_gt_i32_e64 s1, v8, v7
	v_and_b32_e32 v4, 7, v4
	; wave barrier
	v_or_b32_e32 v6, 4, v9
	v_sub_nc_u32_e64 v5, v4, 4 clamp
	v_sub_nc_u32_e32 v12, v6, v9
	v_min_i32_e32 v7, v4, v12
	s_waitcnt lgkmcnt(0)
	v_cmp_lt_i32_e64 s0, v11, v10
	s_or_b32 s0, vcc_lo, s0
	s_and_b32 vcc_lo, s1, s0
	s_mov_b32 s0, exec_lo
	v_cndmask_b32_e32 v8, v10, v11, vcc_lo
	ds_write_b32 v3, v8
	; wave barrier
	v_cmpx_lt_i32_e64 v5, v7
	s_cbranch_execz .LBB12_12
; %bb.9:
	v_lshl_add_u32 v8, v9, 2, v0
	s_mov_b32 s1, 0
	v_lshl_add_u32 v10, v4, 2, v8
	.p2align	6
.LBB12_10:                              ; =>This Inner Loop Header: Depth=1
	v_sub_nc_u32_e32 v11, v7, v5
	v_lshrrev_b32_e32 v11, 1, v11
	v_add_nc_u32_e32 v11, v11, v5
	v_not_b32_e32 v12, v11
	v_lshl_add_u32 v13, v11, 2, v8
	v_add_nc_u32_e32 v14, 1, v11
	v_lshl_add_u32 v12, v12, 2, v10
	ds_read_b32 v13, v13
	ds_read_b32 v12, v12 offset:16
	s_waitcnt lgkmcnt(0)
	v_cmp_lt_i32_e32 vcc_lo, v12, v13
	v_cndmask_b32_e32 v7, v7, v11, vcc_lo
	v_cndmask_b32_e32 v5, v14, v5, vcc_lo
	v_cmp_ge_i32_e32 vcc_lo, v5, v7
	s_or_b32 s1, vcc_lo, s1
	s_andn2_b32 exec_lo, exec_lo, s1
	s_cbranch_execnz .LBB12_10
; %bb.11:
	s_or_b32 exec_lo, exec_lo, s1
.LBB12_12:
	s_or_b32 exec_lo, exec_lo, s0
	v_add_nc_u32_e32 v7, v9, v4
	v_lshlrev_b32_e32 v8, 2, v5
	v_lshlrev_b32_e32 v10, 2, v9
	v_add_nc_u32_e32 v4, v6, v4
	v_add_nc_u32_e32 v6, 8, v9
	v_sub_nc_u32_e32 v7, v7, v5
	v_cmp_lt_i32_e32 vcc_lo, 3, v5
	v_add3_u32 v8, v0, v8, v10
	v_sub_nc_u32_e32 v4, v4, v5
	v_min_u32_e32 v5, 8, v2
	v_lshl_add_u32 v7, v7, 2, v0
	ds_read_b32 v8, v8
	ds_read_b32 v7, v7 offset:16
	v_cmp_gt_i32_e64 s1, v6, v4
	v_sub_nc_u32_e64 v4, v2, 8 clamp
	; wave barrier
	s_waitcnt lgkmcnt(0)
	v_cmp_lt_i32_e64 s0, v7, v8
	s_or_b32 s0, vcc_lo, s0
	s_and_b32 vcc_lo, s1, s0
	s_mov_b32 s0, exec_lo
	v_cndmask_b32_e32 v6, v8, v7, vcc_lo
	ds_write_b32 v3, v6
	; wave barrier
	v_cmpx_lt_u32_e64 v4, v5
	s_cbranch_execz .LBB12_16
; %bb.13:
	s_mov_b32 s1, 0
	.p2align	6
.LBB12_14:                              ; =>This Inner Loop Header: Depth=1
	v_sub_nc_u32_e32 v6, v5, v4
	v_lshrrev_b32_e32 v6, 1, v6
	v_add_nc_u32_e32 v6, v6, v4
	v_not_b32_e32 v7, v6
	v_lshl_add_u32 v8, v6, 2, v0
	v_add_nc_u32_e32 v9, 1, v6
	v_lshl_add_u32 v7, v7, 2, v3
	ds_read_b32 v8, v8
	ds_read_b32 v7, v7 offset:32
	s_waitcnt lgkmcnt(0)
	v_cmp_lt_i32_e32 vcc_lo, v7, v8
	v_cndmask_b32_e32 v5, v5, v6, vcc_lo
	v_cndmask_b32_e32 v4, v9, v4, vcc_lo
	v_cmp_ge_i32_e32 vcc_lo, v4, v5
	s_or_b32 s1, vcc_lo, s1
	s_andn2_b32 exec_lo, exec_lo, s1
	s_cbranch_execnz .LBB12_14
; %bb.15:
	s_or_b32 exec_lo, exec_lo, s1
.LBB12_16:
	s_or_b32 exec_lo, exec_lo, s0
	v_sub_nc_u32_e32 v2, v2, v4
	v_lshl_add_u32 v3, v4, 2, v0
	v_cmp_lt_i32_e32 vcc_lo, 7, v4
	v_lshl_add_u32 v0, v2, 2, v0
	v_add_nc_u32_e32 v2, 8, v2
	ds_read_b32 v3, v3
	ds_read_b32 v0, v0 offset:32
	v_cmp_gt_i32_e64 s1, 16, v2
	s_waitcnt lgkmcnt(0)
	v_cmp_lt_i32_e64 s0, v0, v3
	s_or_b32 s0, vcc_lo, s0
	s_and_b32 vcc_lo, s1, s0
	s_add_u32 s0, s2, s4
	v_cndmask_b32_e32 v0, v3, v0, vcc_lo
	s_addc_u32 s1, s3, s5
	global_store_dword v1, v0, s[0:1]
	s_endpgm
	.section	.rodata,"a",@progbits
	.p2align	6, 0x0
	.amdhsa_kernel _Z9sort_keysILj256ELj16ELj1EiN10test_utils4lessEEvPKT2_PS2_T3_
		.amdhsa_group_segment_fixed_size 1088
		.amdhsa_private_segment_fixed_size 0
		.amdhsa_kernarg_size 20
		.amdhsa_user_sgpr_count 6
		.amdhsa_user_sgpr_private_segment_buffer 1
		.amdhsa_user_sgpr_dispatch_ptr 0
		.amdhsa_user_sgpr_queue_ptr 0
		.amdhsa_user_sgpr_kernarg_segment_ptr 1
		.amdhsa_user_sgpr_dispatch_id 0
		.amdhsa_user_sgpr_flat_scratch_init 0
		.amdhsa_user_sgpr_private_segment_size 0
		.amdhsa_wavefront_size32 1
		.amdhsa_uses_dynamic_stack 0
		.amdhsa_system_sgpr_private_segment_wavefront_offset 0
		.amdhsa_system_sgpr_workgroup_id_x 1
		.amdhsa_system_sgpr_workgroup_id_y 0
		.amdhsa_system_sgpr_workgroup_id_z 0
		.amdhsa_system_sgpr_workgroup_info 0
		.amdhsa_system_vgpr_workitem_id 0
		.amdhsa_next_free_vgpr 16
		.amdhsa_next_free_sgpr 8
		.amdhsa_reserve_vcc 1
		.amdhsa_reserve_flat_scratch 0
		.amdhsa_float_round_mode_32 0
		.amdhsa_float_round_mode_16_64 0
		.amdhsa_float_denorm_mode_32 3
		.amdhsa_float_denorm_mode_16_64 3
		.amdhsa_dx10_clamp 1
		.amdhsa_ieee_mode 1
		.amdhsa_fp16_overflow 0
		.amdhsa_workgroup_processor_mode 1
		.amdhsa_memory_ordered 1
		.amdhsa_forward_progress 1
		.amdhsa_shared_vgpr_count 0
		.amdhsa_exception_fp_ieee_invalid_op 0
		.amdhsa_exception_fp_denorm_src 0
		.amdhsa_exception_fp_ieee_div_zero 0
		.amdhsa_exception_fp_ieee_overflow 0
		.amdhsa_exception_fp_ieee_underflow 0
		.amdhsa_exception_fp_ieee_inexact 0
		.amdhsa_exception_int_div_zero 0
	.end_amdhsa_kernel
	.section	.text._Z9sort_keysILj256ELj16ELj1EiN10test_utils4lessEEvPKT2_PS2_T3_,"axG",@progbits,_Z9sort_keysILj256ELj16ELj1EiN10test_utils4lessEEvPKT2_PS2_T3_,comdat
.Lfunc_end12:
	.size	_Z9sort_keysILj256ELj16ELj1EiN10test_utils4lessEEvPKT2_PS2_T3_, .Lfunc_end12-_Z9sort_keysILj256ELj16ELj1EiN10test_utils4lessEEvPKT2_PS2_T3_
                                        ; -- End function
	.set _Z9sort_keysILj256ELj16ELj1EiN10test_utils4lessEEvPKT2_PS2_T3_.num_vgpr, 16
	.set _Z9sort_keysILj256ELj16ELj1EiN10test_utils4lessEEvPKT2_PS2_T3_.num_agpr, 0
	.set _Z9sort_keysILj256ELj16ELj1EiN10test_utils4lessEEvPKT2_PS2_T3_.numbered_sgpr, 8
	.set _Z9sort_keysILj256ELj16ELj1EiN10test_utils4lessEEvPKT2_PS2_T3_.num_named_barrier, 0
	.set _Z9sort_keysILj256ELj16ELj1EiN10test_utils4lessEEvPKT2_PS2_T3_.private_seg_size, 0
	.set _Z9sort_keysILj256ELj16ELj1EiN10test_utils4lessEEvPKT2_PS2_T3_.uses_vcc, 1
	.set _Z9sort_keysILj256ELj16ELj1EiN10test_utils4lessEEvPKT2_PS2_T3_.uses_flat_scratch, 0
	.set _Z9sort_keysILj256ELj16ELj1EiN10test_utils4lessEEvPKT2_PS2_T3_.has_dyn_sized_stack, 0
	.set _Z9sort_keysILj256ELj16ELj1EiN10test_utils4lessEEvPKT2_PS2_T3_.has_recursion, 0
	.set _Z9sort_keysILj256ELj16ELj1EiN10test_utils4lessEEvPKT2_PS2_T3_.has_indirect_call, 0
	.section	.AMDGPU.csdata,"",@progbits
; Kernel info:
; codeLenInByte = 1212
; TotalNumSgprs: 10
; NumVgprs: 16
; ScratchSize: 0
; MemoryBound: 0
; FloatMode: 240
; IeeeMode: 1
; LDSByteSize: 1088 bytes/workgroup (compile time only)
; SGPRBlocks: 0
; VGPRBlocks: 1
; NumSGPRsForWavesPerEU: 10
; NumVGPRsForWavesPerEU: 16
; Occupancy: 16
; WaveLimiterHint : 0
; COMPUTE_PGM_RSRC2:SCRATCH_EN: 0
; COMPUTE_PGM_RSRC2:USER_SGPR: 6
; COMPUTE_PGM_RSRC2:TRAP_HANDLER: 0
; COMPUTE_PGM_RSRC2:TGID_X_EN: 1
; COMPUTE_PGM_RSRC2:TGID_Y_EN: 0
; COMPUTE_PGM_RSRC2:TGID_Z_EN: 0
; COMPUTE_PGM_RSRC2:TIDIG_COMP_CNT: 0
	.section	.text._Z10sort_pairsILj256ELj16ELj1EiN10test_utils4lessEEvPKT2_PS2_T3_,"axG",@progbits,_Z10sort_pairsILj256ELj16ELj1EiN10test_utils4lessEEvPKT2_PS2_T3_,comdat
	.protected	_Z10sort_pairsILj256ELj16ELj1EiN10test_utils4lessEEvPKT2_PS2_T3_ ; -- Begin function _Z10sort_pairsILj256ELj16ELj1EiN10test_utils4lessEEvPKT2_PS2_T3_
	.globl	_Z10sort_pairsILj256ELj16ELj1EiN10test_utils4lessEEvPKT2_PS2_T3_
	.p2align	8
	.type	_Z10sort_pairsILj256ELj16ELj1EiN10test_utils4lessEEvPKT2_PS2_T3_,@function
_Z10sort_pairsILj256ELj16ELj1EiN10test_utils4lessEEvPKT2_PS2_T3_: ; @_Z10sort_pairsILj256ELj16ELj1EiN10test_utils4lessEEvPKT2_PS2_T3_
; %bb.0:
	s_load_dwordx4 s[0:3], s[4:5], 0x0
	s_mov_b32 s7, 0
	s_lshl_b32 s6, s6, 8
	v_lshlrev_b32_e32 v1, 2, v0
	s_lshl_b64 s[4:5], s[6:7], 2
	v_mbcnt_lo_u32_b32 v4, -1, 0
	v_lshrrev_b32_e32 v3, 4, v0
	v_and_b32_e32 v6, 14, v4
	v_and_b32_e32 v2, 15, v4
	;; [unrolled: 1-line block ×3, first 2 shown]
	v_or_b32_e32 v7, 1, v6
	v_lshlrev_b32_e32 v0, 2, v2
	v_lshlrev_b32_e32 v10, 2, v6
	v_sub_nc_u32_e32 v9, v7, v6
	s_waitcnt lgkmcnt(0)
	s_add_u32 s0, s0, s4
	s_addc_u32 s1, s1, s5
	v_mad_u32_u24 v0, 0x44, v3, v0
	global_load_dword v5, v1, s[0:1]
	v_min_i32_e32 v11, v8, v9
	v_mov_b32_e32 v9, 0
	v_mad_u32_u24 v10, 0x44, v3, v10
	s_mov_b32 s0, exec_lo
	; wave barrier
	s_waitcnt vmcnt(0)
	ds_write_b32 v0, v5
	; wave barrier
	v_cmpx_lt_i32_e32 0, v11
	s_cbranch_execz .LBB13_4
; %bb.1:
	v_lshl_add_u32 v11, v8, 2, v10
	v_mov_b32_e32 v12, 1
	v_mov_b32_e32 v9, 0
	.p2align	6
.LBB13_2:                               ; =>This Inner Loop Header: Depth=1
	v_sub_nc_u32_e32 v13, v12, v9
	v_lshrrev_b32_e32 v13, 1, v13
	v_add_nc_u32_e32 v13, v13, v9
	v_not_b32_e32 v14, v13
	v_lshl_add_u32 v15, v13, 2, v10
	v_add_nc_u32_e32 v16, 1, v13
	v_lshl_add_u32 v14, v14, 2, v11
	ds_read_b32 v15, v15
	ds_read_b32 v14, v14 offset:4
	s_waitcnt lgkmcnt(0)
	v_cmp_lt_i32_e32 vcc_lo, v14, v15
	v_cndmask_b32_e32 v12, v12, v13, vcc_lo
	v_cndmask_b32_e32 v9, v16, v9, vcc_lo
	v_cmp_ge_i32_e32 vcc_lo, v9, v12
	s_or_b32 s7, vcc_lo, s7
	s_andn2_b32 exec_lo, exec_lo, s7
	s_cbranch_execnz .LBB13_2
; %bb.3:
	s_or_b32 exec_lo, exec_lo, s7
.LBB13_4:
	s_or_b32 exec_lo, exec_lo, s0
	v_add_nc_u32_e32 v11, v6, v8
	v_mul_u32_u24_e32 v3, 0x44, v3
	v_lshl_add_u32 v10, v9, 2, v10
	v_add_nc_u32_e32 v8, v7, v8
	v_cmp_lt_i32_e32 vcc_lo, 0, v9
	v_sub_nc_u32_e32 v11, v11, v9
	v_add_nc_u32_e32 v6, v9, v6
	v_add_nc_u32_e32 v5, 1, v5
	v_sub_nc_u32_e32 v8, v8, v9
	v_and_b32_e32 v9, 3, v4
	v_lshl_add_u32 v11, v11, 2, v3
	ds_read_b32 v10, v10
	ds_read_b32 v11, v11 offset:4
	v_cmp_ge_i32_e64 s1, v7, v8
	; wave barrier
	ds_write_b32 v0, v5
	; wave barrier
	s_waitcnt lgkmcnt(1)
	v_cmp_lt_i32_e64 s0, v11, v10
	s_or_b32 s0, vcc_lo, s0
	s_and_b32 vcc_lo, s1, s0
	s_mov_b32 s0, 0
	v_cndmask_b32_e32 v7, v6, v8, vcc_lo
	v_and_b32_e32 v6, 12, v4
	v_cndmask_b32_e32 v12, v10, v11, vcc_lo
	s_mov_b32 s1, exec_lo
	v_lshl_add_u32 v7, v7, 2, v3
	v_or_b32_e32 v8, 2, v6
	ds_read_b32 v5, v7
	v_sub_nc_u32_e32 v10, v8, v6
	v_sub_nc_u32_e64 v7, v9, 2 clamp
	; wave barrier
	ds_write_b32 v0, v12
	v_min_i32_e32 v11, v9, v10
	v_lshl_add_u32 v10, v6, 2, v3
	; wave barrier
	v_cmpx_lt_i32_e64 v7, v11
	s_cbranch_execz .LBB13_8
; %bb.5:
	v_lshl_add_u32 v12, v9, 2, v10
	.p2align	6
.LBB13_6:                               ; =>This Inner Loop Header: Depth=1
	v_sub_nc_u32_e32 v13, v11, v7
	v_lshrrev_b32_e32 v13, 1, v13
	v_add_nc_u32_e32 v13, v13, v7
	v_not_b32_e32 v14, v13
	v_lshl_add_u32 v15, v13, 2, v10
	v_add_nc_u32_e32 v16, 1, v13
	v_lshl_add_u32 v14, v14, 2, v12
	ds_read_b32 v15, v15
	ds_read_b32 v14, v14 offset:8
	s_waitcnt lgkmcnt(0)
	v_cmp_lt_i32_e32 vcc_lo, v14, v15
	v_cndmask_b32_e32 v11, v11, v13, vcc_lo
	v_cndmask_b32_e32 v7, v16, v7, vcc_lo
	v_cmp_ge_i32_e32 vcc_lo, v7, v11
	s_or_b32 s0, vcc_lo, s0
	s_andn2_b32 exec_lo, exec_lo, s0
	s_cbranch_execnz .LBB13_6
; %bb.7:
	s_or_b32 exec_lo, exec_lo, s0
.LBB13_8:
	s_or_b32 exec_lo, exec_lo, s1
	v_add_nc_u32_e32 v11, v6, v9
	v_lshl_add_u32 v10, v7, 2, v10
	v_add_nc_u32_e32 v8, v8, v9
	v_add_nc_u32_e32 v9, 4, v6
	v_cmp_lt_i32_e32 vcc_lo, 1, v7
	v_sub_nc_u32_e32 v11, v11, v7
	v_add_nc_u32_e32 v6, v7, v6
	v_sub_nc_u32_e32 v8, v8, v7
	v_lshl_add_u32 v11, v11, 2, v3
	ds_read_b32 v10, v10
	ds_read_b32 v11, v11 offset:8
	v_cmp_gt_i32_e64 s1, v9, v8
	; wave barrier
	s_waitcnt lgkmcnt(3)
	ds_write_b32 v0, v5
	; wave barrier
	s_waitcnt lgkmcnt(1)
	v_cmp_lt_i32_e64 s0, v11, v10
	s_or_b32 s0, vcc_lo, s0
	s_and_b32 vcc_lo, s1, s0
	s_mov_b32 s0, exec_lo
	v_cndmask_b32_e32 v7, v6, v8, vcc_lo
	v_and_b32_e32 v6, 8, v4
	v_and_b32_e32 v8, 7, v4
	v_cndmask_b32_e32 v11, v10, v11, vcc_lo
	v_lshl_add_u32 v7, v7, 2, v3
	v_sub_nc_u32_e64 v4, v8, 4 clamp
	ds_read_b32 v5, v7
	v_or_b32_e32 v7, 4, v6
	; wave barrier
	ds_write_b32 v0, v11
	v_sub_nc_u32_e32 v9, v7, v6
	; wave barrier
	v_min_i32_e32 v10, v8, v9
	v_lshl_add_u32 v9, v6, 2, v3
	v_cmpx_lt_i32_e64 v4, v10
	s_cbranch_execz .LBB13_12
; %bb.9:
	v_lshl_add_u32 v11, v8, 2, v9
	s_mov_b32 s1, 0
	.p2align	6
.LBB13_10:                              ; =>This Inner Loop Header: Depth=1
	v_sub_nc_u32_e32 v12, v10, v4
	v_lshrrev_b32_e32 v12, 1, v12
	v_add_nc_u32_e32 v12, v12, v4
	v_not_b32_e32 v13, v12
	v_lshl_add_u32 v14, v12, 2, v9
	v_add_nc_u32_e32 v15, 1, v12
	v_lshl_add_u32 v13, v13, 2, v11
	ds_read_b32 v14, v14
	ds_read_b32 v13, v13 offset:16
	s_waitcnt lgkmcnt(0)
	v_cmp_lt_i32_e32 vcc_lo, v13, v14
	v_cndmask_b32_e32 v10, v10, v12, vcc_lo
	v_cndmask_b32_e32 v4, v15, v4, vcc_lo
	v_cmp_ge_i32_e32 vcc_lo, v4, v10
	s_or_b32 s1, vcc_lo, s1
	s_andn2_b32 exec_lo, exec_lo, s1
	s_cbranch_execnz .LBB13_10
; %bb.11:
	s_or_b32 exec_lo, exec_lo, s1
.LBB13_12:
	s_or_b32 exec_lo, exec_lo, s0
	v_add_nc_u32_e32 v10, v6, v8
	v_lshl_add_u32 v9, v4, 2, v9
	v_add_nc_u32_e32 v7, v7, v8
	v_add_nc_u32_e32 v8, 8, v6
	v_cmp_lt_i32_e32 vcc_lo, 3, v4
	v_sub_nc_u32_e32 v10, v10, v4
	v_sub_nc_u32_e32 v7, v7, v4
	v_add_nc_u32_e32 v4, v4, v6
	v_min_u32_e32 v6, 8, v2
	v_lshl_add_u32 v10, v10, 2, v3
	ds_read_b32 v9, v9
	ds_read_b32 v10, v10 offset:16
	v_cmp_gt_i32_e64 s1, v8, v7
	; wave barrier
	s_waitcnt lgkmcnt(3)
	ds_write_b32 v0, v5
	; wave barrier
	v_sub_nc_u32_e64 v5, v2, 8 clamp
	s_waitcnt lgkmcnt(1)
	v_cmp_lt_i32_e64 s0, v10, v9
	s_or_b32 s0, vcc_lo, s0
	s_and_b32 vcc_lo, s1, s0
	s_mov_b32 s0, exec_lo
	v_cndmask_b32_e32 v4, v4, v7, vcc_lo
	v_cndmask_b32_e32 v8, v9, v10, vcc_lo
	v_lshl_add_u32 v4, v4, 2, v3
	ds_read_b32 v4, v4
	; wave barrier
	ds_write_b32 v0, v8
	; wave barrier
	v_cmpx_lt_u32_e64 v5, v6
	s_cbranch_execz .LBB13_16
; %bb.13:
	s_mov_b32 s1, 0
	.p2align	6
.LBB13_14:                              ; =>This Inner Loop Header: Depth=1
	v_sub_nc_u32_e32 v7, v6, v5
	v_lshrrev_b32_e32 v7, 1, v7
	v_add_nc_u32_e32 v7, v7, v5
	v_not_b32_e32 v8, v7
	v_lshl_add_u32 v9, v7, 2, v3
	v_add_nc_u32_e32 v10, 1, v7
	v_lshl_add_u32 v8, v8, 2, v0
	ds_read_b32 v9, v9
	ds_read_b32 v8, v8 offset:32
	s_waitcnt lgkmcnt(0)
	v_cmp_lt_i32_e32 vcc_lo, v8, v9
	v_cndmask_b32_e32 v6, v6, v7, vcc_lo
	v_cndmask_b32_e32 v5, v10, v5, vcc_lo
	v_cmp_ge_i32_e32 vcc_lo, v5, v6
	s_or_b32 s1, vcc_lo, s1
	s_andn2_b32 exec_lo, exec_lo, s1
	s_cbranch_execnz .LBB13_14
; %bb.15:
	s_or_b32 exec_lo, exec_lo, s1
.LBB13_16:
	s_or_b32 exec_lo, exec_lo, s0
	v_sub_nc_u32_e32 v2, v2, v5
	v_lshl_add_u32 v6, v5, 2, v3
	v_cmp_lt_i32_e32 vcc_lo, 7, v5
	v_lshl_add_u32 v7, v2, 2, v3
	v_add_nc_u32_e32 v2, 8, v2
	ds_read_b32 v6, v6
	ds_read_b32 v7, v7 offset:32
	v_cmp_gt_i32_e64 s1, 16, v2
	; wave barrier
	s_waitcnt lgkmcnt(3)
	ds_write_b32 v0, v4
	; wave barrier
	s_waitcnt lgkmcnt(1)
	v_cmp_lt_i32_e64 s0, v7, v6
	s_or_b32 s0, vcc_lo, s0
	s_and_b32 vcc_lo, s1, s0
	s_add_u32 s0, s2, s4
	v_cndmask_b32_e32 v2, v5, v2, vcc_lo
	v_cndmask_b32_e32 v6, v6, v7, vcc_lo
	s_addc_u32 s1, s3, s5
	v_lshl_add_u32 v2, v2, 2, v3
	ds_read_b32 v0, v2
	s_waitcnt lgkmcnt(0)
	v_add_nc_u32_e32 v0, v0, v6
	global_store_dword v1, v0, s[0:1]
	s_endpgm
	.section	.rodata,"a",@progbits
	.p2align	6, 0x0
	.amdhsa_kernel _Z10sort_pairsILj256ELj16ELj1EiN10test_utils4lessEEvPKT2_PS2_T3_
		.amdhsa_group_segment_fixed_size 1088
		.amdhsa_private_segment_fixed_size 0
		.amdhsa_kernarg_size 20
		.amdhsa_user_sgpr_count 6
		.amdhsa_user_sgpr_private_segment_buffer 1
		.amdhsa_user_sgpr_dispatch_ptr 0
		.amdhsa_user_sgpr_queue_ptr 0
		.amdhsa_user_sgpr_kernarg_segment_ptr 1
		.amdhsa_user_sgpr_dispatch_id 0
		.amdhsa_user_sgpr_flat_scratch_init 0
		.amdhsa_user_sgpr_private_segment_size 0
		.amdhsa_wavefront_size32 1
		.amdhsa_uses_dynamic_stack 0
		.amdhsa_system_sgpr_private_segment_wavefront_offset 0
		.amdhsa_system_sgpr_workgroup_id_x 1
		.amdhsa_system_sgpr_workgroup_id_y 0
		.amdhsa_system_sgpr_workgroup_id_z 0
		.amdhsa_system_sgpr_workgroup_info 0
		.amdhsa_system_vgpr_workitem_id 0
		.amdhsa_next_free_vgpr 17
		.amdhsa_next_free_sgpr 8
		.amdhsa_reserve_vcc 1
		.amdhsa_reserve_flat_scratch 0
		.amdhsa_float_round_mode_32 0
		.amdhsa_float_round_mode_16_64 0
		.amdhsa_float_denorm_mode_32 3
		.amdhsa_float_denorm_mode_16_64 3
		.amdhsa_dx10_clamp 1
		.amdhsa_ieee_mode 1
		.amdhsa_fp16_overflow 0
		.amdhsa_workgroup_processor_mode 1
		.amdhsa_memory_ordered 1
		.amdhsa_forward_progress 1
		.amdhsa_shared_vgpr_count 0
		.amdhsa_exception_fp_ieee_invalid_op 0
		.amdhsa_exception_fp_denorm_src 0
		.amdhsa_exception_fp_ieee_div_zero 0
		.amdhsa_exception_fp_ieee_overflow 0
		.amdhsa_exception_fp_ieee_underflow 0
		.amdhsa_exception_fp_ieee_inexact 0
		.amdhsa_exception_int_div_zero 0
	.end_amdhsa_kernel
	.section	.text._Z10sort_pairsILj256ELj16ELj1EiN10test_utils4lessEEvPKT2_PS2_T3_,"axG",@progbits,_Z10sort_pairsILj256ELj16ELj1EiN10test_utils4lessEEvPKT2_PS2_T3_,comdat
.Lfunc_end13:
	.size	_Z10sort_pairsILj256ELj16ELj1EiN10test_utils4lessEEvPKT2_PS2_T3_, .Lfunc_end13-_Z10sort_pairsILj256ELj16ELj1EiN10test_utils4lessEEvPKT2_PS2_T3_
                                        ; -- End function
	.set _Z10sort_pairsILj256ELj16ELj1EiN10test_utils4lessEEvPKT2_PS2_T3_.num_vgpr, 17
	.set _Z10sort_pairsILj256ELj16ELj1EiN10test_utils4lessEEvPKT2_PS2_T3_.num_agpr, 0
	.set _Z10sort_pairsILj256ELj16ELj1EiN10test_utils4lessEEvPKT2_PS2_T3_.numbered_sgpr, 8
	.set _Z10sort_pairsILj256ELj16ELj1EiN10test_utils4lessEEvPKT2_PS2_T3_.num_named_barrier, 0
	.set _Z10sort_pairsILj256ELj16ELj1EiN10test_utils4lessEEvPKT2_PS2_T3_.private_seg_size, 0
	.set _Z10sort_pairsILj256ELj16ELj1EiN10test_utils4lessEEvPKT2_PS2_T3_.uses_vcc, 1
	.set _Z10sort_pairsILj256ELj16ELj1EiN10test_utils4lessEEvPKT2_PS2_T3_.uses_flat_scratch, 0
	.set _Z10sort_pairsILj256ELj16ELj1EiN10test_utils4lessEEvPKT2_PS2_T3_.has_dyn_sized_stack, 0
	.set _Z10sort_pairsILj256ELj16ELj1EiN10test_utils4lessEEvPKT2_PS2_T3_.has_recursion, 0
	.set _Z10sort_pairsILj256ELj16ELj1EiN10test_utils4lessEEvPKT2_PS2_T3_.has_indirect_call, 0
	.section	.AMDGPU.csdata,"",@progbits
; Kernel info:
; codeLenInByte = 1316
; TotalNumSgprs: 10
; NumVgprs: 17
; ScratchSize: 0
; MemoryBound: 0
; FloatMode: 240
; IeeeMode: 1
; LDSByteSize: 1088 bytes/workgroup (compile time only)
; SGPRBlocks: 0
; VGPRBlocks: 2
; NumSGPRsForWavesPerEU: 10
; NumVGPRsForWavesPerEU: 17
; Occupancy: 16
; WaveLimiterHint : 0
; COMPUTE_PGM_RSRC2:SCRATCH_EN: 0
; COMPUTE_PGM_RSRC2:USER_SGPR: 6
; COMPUTE_PGM_RSRC2:TRAP_HANDLER: 0
; COMPUTE_PGM_RSRC2:TGID_X_EN: 1
; COMPUTE_PGM_RSRC2:TGID_Y_EN: 0
; COMPUTE_PGM_RSRC2:TGID_Z_EN: 0
; COMPUTE_PGM_RSRC2:TIDIG_COMP_CNT: 0
	.section	.text._Z19sort_keys_segmentedILj256ELj16ELj1EiN10test_utils4lessEEvPKT2_PS2_PKjT3_,"axG",@progbits,_Z19sort_keys_segmentedILj256ELj16ELj1EiN10test_utils4lessEEvPKT2_PS2_PKjT3_,comdat
	.protected	_Z19sort_keys_segmentedILj256ELj16ELj1EiN10test_utils4lessEEvPKT2_PS2_PKjT3_ ; -- Begin function _Z19sort_keys_segmentedILj256ELj16ELj1EiN10test_utils4lessEEvPKT2_PS2_PKjT3_
	.globl	_Z19sort_keys_segmentedILj256ELj16ELj1EiN10test_utils4lessEEvPKT2_PS2_PKjT3_
	.p2align	8
	.type	_Z19sort_keys_segmentedILj256ELj16ELj1EiN10test_utils4lessEEvPKT2_PS2_PKjT3_,@function
_Z19sort_keys_segmentedILj256ELj16ELj1EiN10test_utils4lessEEvPKT2_PS2_PKjT3_: ; @_Z19sort_keys_segmentedILj256ELj16ELj1EiN10test_utils4lessEEvPKT2_PS2_PKjT3_
; %bb.0:
	s_load_dwordx2 s[0:1], s[4:5], 0x10
	v_lshrrev_b32_e32 v8, 4, v0
	v_mov_b32_e32 v1, 0
	v_mbcnt_lo_u32_b32 v7, -1, 0
	v_lshl_or_b32 v0, s6, 4, v8
	s_load_dwordx4 s[4:7], s[4:5], 0x0
	v_and_b32_e32 v5, 15, v7
	v_lshlrev_b64 v[2:3], 2, v[0:1]
	v_lshlrev_b32_e32 v0, 4, v0
	s_waitcnt lgkmcnt(0)
	v_add_co_u32 v2, vcc_lo, s0, v2
	v_add_co_ci_u32_e64 v3, null, s1, v3, vcc_lo
	global_load_dword v4, v[2:3], off
	s_waitcnt vmcnt(0)
	v_cmp_ge_u32_e64 s0, v5, v4
	v_cmp_lt_u32_e32 vcc_lo, v5, v4
	s_and_saveexec_b32 s1, s0
	s_xor_b32 s0, exec_lo, s1
	s_or_saveexec_b32 s1, s0
	v_lshlrev_b64 v[0:1], 2, v[0:1]
                                        ; implicit-def: $vgpr16
	s_xor_b32 exec_lo, exec_lo, s1
	s_cbranch_execz .LBB14_2
; %bb.1:
	v_lshlrev_b32_e32 v2, 2, v5
	v_add_co_u32 v3, s0, s4, v0
	v_add_co_ci_u32_e64 v6, null, s5, v1, s0
	v_add_co_u32 v2, s0, v3, v2
	v_add_co_ci_u32_e64 v3, null, 0, v6, s0
	global_load_dword v16, v[2:3], off
.LBB14_2:
	s_or_b32 exec_lo, exec_lo, s1
	v_and_b32_e32 v2, 14, v7
	v_and_b32_e32 v3, 1, v7
	s_mov_b32 s2, 0
	s_mov_b32 s1, exec_lo
	v_min_i32_e32 v13, v4, v2
	v_min_i32_e32 v10, v4, v3
	v_mul_u32_u24_e32 v3, 0x44, v8
	; wave barrier
	v_add_nc_u32_e32 v2, 1, v13
	v_lshlrev_b32_e32 v17, 2, v13
	v_min_i32_e32 v12, v4, v2
	v_add_nc_u32_e32 v2, 1, v12
	v_sub_nc_u32_e32 v15, v12, v13
	v_min_i32_e32 v11, v4, v2
	v_lshlrev_b32_e32 v2, 2, v5
	v_min_i32_e32 v15, v10, v15
	v_sub_nc_u32_e32 v6, v11, v12
	v_sub_nc_u32_e32 v9, v10, v6
	v_cmp_ge_i32_e64 s0, v10, v6
	v_mad_u32_u24 v6, 0x44, v8, v2
	v_cndmask_b32_e64 v14, 0, v9, s0
	v_mad_u32_u24 v9, 0x44, v8, v17
	s_waitcnt vmcnt(0)
	ds_write_b32 v6, v16
	; wave barrier
	v_cmpx_lt_i32_e64 v14, v15
	s_cbranch_execz .LBB14_6
; %bb.3:
	v_lshlrev_b32_e32 v8, 2, v12
	v_lshlrev_b32_e32 v16, 2, v10
	v_add3_u32 v8, v3, v8, v16
	.p2align	6
.LBB14_4:                               ; =>This Inner Loop Header: Depth=1
	v_sub_nc_u32_e32 v16, v15, v14
	v_lshrrev_b32_e32 v16, 1, v16
	v_add_nc_u32_e32 v16, v16, v14
	v_not_b32_e32 v17, v16
	v_lshl_add_u32 v18, v16, 2, v9
	v_add_nc_u32_e32 v19, 1, v16
	v_lshl_add_u32 v17, v17, 2, v8
	ds_read_b32 v18, v18
	ds_read_b32 v17, v17
	s_waitcnt lgkmcnt(0)
	v_cmp_lt_i32_e64 s0, v17, v18
	v_cndmask_b32_e64 v15, v15, v16, s0
	v_cndmask_b32_e64 v14, v19, v14, s0
	v_cmp_ge_i32_e64 s0, v14, v15
	s_or_b32 s2, s0, s2
	s_andn2_b32 exec_lo, exec_lo, s2
	s_cbranch_execnz .LBB14_4
; %bb.5:
	s_or_b32 exec_lo, exec_lo, s2
.LBB14_6:
	s_or_b32 exec_lo, exec_lo, s1
	v_add_nc_u32_e32 v8, v12, v10
	v_and_b32_e32 v10, 12, v7
	v_lshl_add_u32 v9, v14, 2, v9
	v_add_nc_u32_e32 v13, v14, v13
	v_sub_nc_u32_e32 v15, v8, v14
	v_min_i32_e32 v8, v4, v10
	v_cmp_le_i32_e64 s0, v12, v13
	v_lshl_add_u32 v10, v15, 2, v3
	v_add_nc_u32_e32 v16, 2, v8
	v_cmp_gt_i32_e64 s2, v11, v15
	ds_read_b32 v17, v9
	ds_read_b32 v18, v10
	v_min_i32_e32 v10, v4, v16
	v_and_b32_e32 v16, 3, v7
	; wave barrier
	v_add_nc_u32_e32 v9, 2, v10
	v_min_i32_e32 v14, v4, v16
	v_sub_nc_u32_e32 v12, v10, v8
	v_min_i32_e32 v9, v4, v9
	v_min_i32_e32 v11, v14, v12
	v_lshl_add_u32 v12, v8, 2, v3
	v_sub_nc_u32_e32 v16, v9, v10
	s_waitcnt lgkmcnt(0)
	v_cmp_lt_i32_e64 s1, v18, v17
	v_sub_nc_u32_e32 v13, v14, v16
	s_or_b32 s1, s0, s1
	v_cmp_ge_i32_e64 s0, v14, v16
	v_cndmask_b32_e64 v13, 0, v13, s0
	s_and_b32 s0, s2, s1
	s_mov_b32 s2, 0
	v_cndmask_b32_e64 v15, v17, v18, s0
	s_mov_b32 s1, exec_lo
	ds_write_b32 v6, v15
	; wave barrier
	v_cmpx_lt_i32_e64 v13, v11
	s_cbranch_execz .LBB14_10
; %bb.7:
	v_lshlrev_b32_e32 v15, 2, v10
	v_lshlrev_b32_e32 v16, 2, v14
	v_add3_u32 v15, v3, v15, v16
	.p2align	6
.LBB14_8:                               ; =>This Inner Loop Header: Depth=1
	v_sub_nc_u32_e32 v16, v11, v13
	v_lshrrev_b32_e32 v16, 1, v16
	v_add_nc_u32_e32 v16, v16, v13
	v_not_b32_e32 v17, v16
	v_lshl_add_u32 v18, v16, 2, v12
	v_add_nc_u32_e32 v19, 1, v16
	v_lshl_add_u32 v17, v17, 2, v15
	ds_read_b32 v18, v18
	ds_read_b32 v17, v17
	s_waitcnt lgkmcnt(0)
	v_cmp_lt_i32_e64 s0, v17, v18
	v_cndmask_b32_e64 v11, v11, v16, s0
	v_cndmask_b32_e64 v13, v19, v13, s0
	v_cmp_ge_i32_e64 s0, v13, v11
	s_or_b32 s2, s0, s2
	s_andn2_b32 exec_lo, exec_lo, s2
	s_cbranch_execnz .LBB14_8
; %bb.9:
	s_or_b32 exec_lo, exec_lo, s2
.LBB14_10:
	s_or_b32 exec_lo, exec_lo, s1
	v_add_nc_u32_e32 v11, v10, v14
	v_and_b32_e32 v14, 8, v7
	v_lshl_add_u32 v12, v13, 2, v12
	v_and_b32_e32 v18, 7, v7
	v_sub_nc_u32_e32 v15, v11, v13
	v_min_i32_e32 v11, v4, v14
	v_add_nc_u32_e32 v13, v13, v8
	v_min_i32_e32 v8, v4, v18
	v_lshl_add_u32 v14, v15, 2, v3
	v_add_nc_u32_e32 v16, 4, v11
	v_cmp_le_i32_e64 s0, v10, v13
	v_cmp_gt_i32_e64 s2, v9, v15
	ds_read_b32 v17, v12
	ds_read_b32 v14, v14
	v_lshl_add_u32 v9, v11, 2, v3
	v_min_i32_e32 v12, v4, v16
	; wave barrier
	v_add_nc_u32_e32 v16, 4, v12
	v_sub_nc_u32_e32 v10, v12, v11
	v_min_i32_e32 v7, v4, v16
	v_min_i32_e32 v10, v8, v10
	v_sub_nc_u32_e32 v16, v7, v12
	s_waitcnt lgkmcnt(0)
	v_cmp_lt_i32_e64 s1, v14, v17
	v_sub_nc_u32_e32 v13, v8, v16
	s_or_b32 s1, s0, s1
	v_cmp_ge_i32_e64 s0, v8, v16
	v_cndmask_b32_e64 v13, 0, v13, s0
	s_and_b32 s0, s2, s1
	s_mov_b32 s2, 0
	v_cndmask_b32_e64 v14, v17, v14, s0
	s_mov_b32 s1, exec_lo
	ds_write_b32 v6, v14
	; wave barrier
	v_cmpx_lt_i32_e64 v13, v10
	s_cbranch_execz .LBB14_14
; %bb.11:
	v_lshlrev_b32_e32 v14, 2, v12
	v_lshlrev_b32_e32 v15, 2, v8
	v_add3_u32 v14, v3, v14, v15
	.p2align	6
.LBB14_12:                              ; =>This Inner Loop Header: Depth=1
	v_sub_nc_u32_e32 v15, v10, v13
	v_lshrrev_b32_e32 v15, 1, v15
	v_add_nc_u32_e32 v15, v15, v13
	v_not_b32_e32 v16, v15
	v_lshl_add_u32 v17, v15, 2, v9
	v_add_nc_u32_e32 v18, 1, v15
	v_lshl_add_u32 v16, v16, 2, v14
	ds_read_b32 v17, v17
	ds_read_b32 v16, v16
	s_waitcnt lgkmcnt(0)
	v_cmp_lt_i32_e64 s0, v16, v17
	v_cndmask_b32_e64 v10, v10, v15, s0
	v_cndmask_b32_e64 v13, v18, v13, s0
	v_cmp_ge_i32_e64 s0, v13, v10
	s_or_b32 s2, s0, s2
	s_andn2_b32 exec_lo, exec_lo, s2
	s_cbranch_execnz .LBB14_12
; %bb.13:
	s_or_b32 exec_lo, exec_lo, s2
.LBB14_14:
	s_or_b32 exec_lo, exec_lo, s1
	v_add_nc_u32_e32 v8, v12, v8
	v_lshl_add_u32 v9, v13, 2, v9
	v_add_nc_u32_e32 v11, v13, v11
	s_mov_b32 s3, 0
	v_sub_nc_u32_e32 v14, v8, v13
	v_min_i32_e32 v8, 0, v4
	v_cmp_le_i32_e64 s0, v12, v11
	v_lshl_add_u32 v10, v14, 2, v3
	v_add_nc_u32_e32 v15, 8, v8
	v_cmp_gt_i32_e64 s2, v7, v14
	v_lshl_add_u32 v7, v8, 2, v3
	ds_read_b32 v16, v9
	ds_read_b32 v17, v10
	v_min_i32_e32 v10, v4, v15
	; wave barrier
	v_add_nc_u32_e32 v9, 8, v10
	v_sub_nc_u32_e32 v11, v10, v8
	v_min_i32_e32 v9, v4, v9
	v_min_i32_e32 v4, v4, v5
	v_sub_nc_u32_e32 v5, v9, v10
	v_min_i32_e32 v11, v4, v11
	s_waitcnt lgkmcnt(0)
	v_cmp_lt_i32_e64 s1, v17, v16
	v_sub_nc_u32_e32 v12, v4, v5
	s_or_b32 s1, s0, s1
	v_cmp_ge_i32_e64 s0, v4, v5
	v_cndmask_b32_e64 v5, 0, v12, s0
	s_and_b32 s0, s2, s1
	s_mov_b32 s1, exec_lo
	v_cndmask_b32_e64 v12, v16, v17, s0
	ds_write_b32 v6, v12
	; wave barrier
	v_cmpx_lt_i32_e64 v5, v11
	s_cbranch_execnz .LBB14_17
; %bb.15:
	s_or_b32 exec_lo, exec_lo, s1
	s_and_saveexec_b32 s0, vcc_lo
	s_cbranch_execnz .LBB14_20
.LBB14_16:
	s_endpgm
.LBB14_17:
	v_lshlrev_b32_e32 v6, 2, v10
	v_lshlrev_b32_e32 v12, 2, v4
	v_add3_u32 v6, v3, v6, v12
	.p2align	6
.LBB14_18:                              ; =>This Inner Loop Header: Depth=1
	v_sub_nc_u32_e32 v12, v11, v5
	v_lshrrev_b32_e32 v12, 1, v12
	v_add_nc_u32_e32 v12, v12, v5
	v_not_b32_e32 v13, v12
	v_lshl_add_u32 v14, v12, 2, v7
	v_add_nc_u32_e32 v15, 1, v12
	v_lshl_add_u32 v13, v13, 2, v6
	ds_read_b32 v14, v14
	ds_read_b32 v13, v13
	s_waitcnt lgkmcnt(0)
	v_cmp_lt_i32_e64 s0, v13, v14
	v_cndmask_b32_e64 v11, v11, v12, s0
	v_cndmask_b32_e64 v5, v15, v5, s0
	v_cmp_ge_i32_e64 s0, v5, v11
	s_or_b32 s3, s0, s3
	s_andn2_b32 exec_lo, exec_lo, s3
	s_cbranch_execnz .LBB14_18
; %bb.19:
	s_or_b32 exec_lo, exec_lo, s3
	s_or_b32 exec_lo, exec_lo, s1
	s_and_saveexec_b32 s0, vcc_lo
	s_cbranch_execz .LBB14_16
.LBB14_20:
	v_add_nc_u32_e32 v4, v10, v4
	v_lshl_add_u32 v6, v5, 2, v7
	v_add_co_u32 v0, s1, s6, v0
	v_add_co_ci_u32_e64 v1, null, s7, v1, s1
	v_sub_nc_u32_e32 v4, v4, v5
	v_add_nc_u32_e32 v5, v5, v8
	v_lshl_add_u32 v3, v4, 2, v3
	v_cmp_le_i32_e32 vcc_lo, v10, v5
	v_cmp_gt_i32_e64 s1, v9, v4
	ds_read_b32 v3, v3
	ds_read_b32 v6, v6
	s_waitcnt lgkmcnt(0)
	v_cmp_lt_i32_e64 s0, v3, v6
	s_or_b32 s0, vcc_lo, s0
	v_add_co_u32 v0, vcc_lo, v0, v2
	v_add_co_ci_u32_e64 v1, null, 0, v1, vcc_lo
	s_and_b32 vcc_lo, s1, s0
	v_cndmask_b32_e32 v2, v6, v3, vcc_lo
	global_store_dword v[0:1], v2, off
	s_endpgm
	.section	.rodata,"a",@progbits
	.p2align	6, 0x0
	.amdhsa_kernel _Z19sort_keys_segmentedILj256ELj16ELj1EiN10test_utils4lessEEvPKT2_PS2_PKjT3_
		.amdhsa_group_segment_fixed_size 1088
		.amdhsa_private_segment_fixed_size 0
		.amdhsa_kernarg_size 28
		.amdhsa_user_sgpr_count 6
		.amdhsa_user_sgpr_private_segment_buffer 1
		.amdhsa_user_sgpr_dispatch_ptr 0
		.amdhsa_user_sgpr_queue_ptr 0
		.amdhsa_user_sgpr_kernarg_segment_ptr 1
		.amdhsa_user_sgpr_dispatch_id 0
		.amdhsa_user_sgpr_flat_scratch_init 0
		.amdhsa_user_sgpr_private_segment_size 0
		.amdhsa_wavefront_size32 1
		.amdhsa_uses_dynamic_stack 0
		.amdhsa_system_sgpr_private_segment_wavefront_offset 0
		.amdhsa_system_sgpr_workgroup_id_x 1
		.amdhsa_system_sgpr_workgroup_id_y 0
		.amdhsa_system_sgpr_workgroup_id_z 0
		.amdhsa_system_sgpr_workgroup_info 0
		.amdhsa_system_vgpr_workitem_id 0
		.amdhsa_next_free_vgpr 20
		.amdhsa_next_free_sgpr 8
		.amdhsa_reserve_vcc 1
		.amdhsa_reserve_flat_scratch 0
		.amdhsa_float_round_mode_32 0
		.amdhsa_float_round_mode_16_64 0
		.amdhsa_float_denorm_mode_32 3
		.amdhsa_float_denorm_mode_16_64 3
		.amdhsa_dx10_clamp 1
		.amdhsa_ieee_mode 1
		.amdhsa_fp16_overflow 0
		.amdhsa_workgroup_processor_mode 1
		.amdhsa_memory_ordered 1
		.amdhsa_forward_progress 1
		.amdhsa_shared_vgpr_count 0
		.amdhsa_exception_fp_ieee_invalid_op 0
		.amdhsa_exception_fp_denorm_src 0
		.amdhsa_exception_fp_ieee_div_zero 0
		.amdhsa_exception_fp_ieee_overflow 0
		.amdhsa_exception_fp_ieee_underflow 0
		.amdhsa_exception_fp_ieee_inexact 0
		.amdhsa_exception_int_div_zero 0
	.end_amdhsa_kernel
	.section	.text._Z19sort_keys_segmentedILj256ELj16ELj1EiN10test_utils4lessEEvPKT2_PS2_PKjT3_,"axG",@progbits,_Z19sort_keys_segmentedILj256ELj16ELj1EiN10test_utils4lessEEvPKT2_PS2_PKjT3_,comdat
.Lfunc_end14:
	.size	_Z19sort_keys_segmentedILj256ELj16ELj1EiN10test_utils4lessEEvPKT2_PS2_PKjT3_, .Lfunc_end14-_Z19sort_keys_segmentedILj256ELj16ELj1EiN10test_utils4lessEEvPKT2_PS2_PKjT3_
                                        ; -- End function
	.set _Z19sort_keys_segmentedILj256ELj16ELj1EiN10test_utils4lessEEvPKT2_PS2_PKjT3_.num_vgpr, 20
	.set _Z19sort_keys_segmentedILj256ELj16ELj1EiN10test_utils4lessEEvPKT2_PS2_PKjT3_.num_agpr, 0
	.set _Z19sort_keys_segmentedILj256ELj16ELj1EiN10test_utils4lessEEvPKT2_PS2_PKjT3_.numbered_sgpr, 8
	.set _Z19sort_keys_segmentedILj256ELj16ELj1EiN10test_utils4lessEEvPKT2_PS2_PKjT3_.num_named_barrier, 0
	.set _Z19sort_keys_segmentedILj256ELj16ELj1EiN10test_utils4lessEEvPKT2_PS2_PKjT3_.private_seg_size, 0
	.set _Z19sort_keys_segmentedILj256ELj16ELj1EiN10test_utils4lessEEvPKT2_PS2_PKjT3_.uses_vcc, 1
	.set _Z19sort_keys_segmentedILj256ELj16ELj1EiN10test_utils4lessEEvPKT2_PS2_PKjT3_.uses_flat_scratch, 0
	.set _Z19sort_keys_segmentedILj256ELj16ELj1EiN10test_utils4lessEEvPKT2_PS2_PKjT3_.has_dyn_sized_stack, 0
	.set _Z19sort_keys_segmentedILj256ELj16ELj1EiN10test_utils4lessEEvPKT2_PS2_PKjT3_.has_recursion, 0
	.set _Z19sort_keys_segmentedILj256ELj16ELj1EiN10test_utils4lessEEvPKT2_PS2_PKjT3_.has_indirect_call, 0
	.section	.AMDGPU.csdata,"",@progbits
; Kernel info:
; codeLenInByte = 1584
; TotalNumSgprs: 10
; NumVgprs: 20
; ScratchSize: 0
; MemoryBound: 0
; FloatMode: 240
; IeeeMode: 1
; LDSByteSize: 1088 bytes/workgroup (compile time only)
; SGPRBlocks: 0
; VGPRBlocks: 2
; NumSGPRsForWavesPerEU: 10
; NumVGPRsForWavesPerEU: 20
; Occupancy: 16
; WaveLimiterHint : 0
; COMPUTE_PGM_RSRC2:SCRATCH_EN: 0
; COMPUTE_PGM_RSRC2:USER_SGPR: 6
; COMPUTE_PGM_RSRC2:TRAP_HANDLER: 0
; COMPUTE_PGM_RSRC2:TGID_X_EN: 1
; COMPUTE_PGM_RSRC2:TGID_Y_EN: 0
; COMPUTE_PGM_RSRC2:TGID_Z_EN: 0
; COMPUTE_PGM_RSRC2:TIDIG_COMP_CNT: 0
	.section	.text._Z20sort_pairs_segmentedILj256ELj16ELj1EiN10test_utils4lessEEvPKT2_PS2_PKjT3_,"axG",@progbits,_Z20sort_pairs_segmentedILj256ELj16ELj1EiN10test_utils4lessEEvPKT2_PS2_PKjT3_,comdat
	.protected	_Z20sort_pairs_segmentedILj256ELj16ELj1EiN10test_utils4lessEEvPKT2_PS2_PKjT3_ ; -- Begin function _Z20sort_pairs_segmentedILj256ELj16ELj1EiN10test_utils4lessEEvPKT2_PS2_PKjT3_
	.globl	_Z20sort_pairs_segmentedILj256ELj16ELj1EiN10test_utils4lessEEvPKT2_PS2_PKjT3_
	.p2align	8
	.type	_Z20sort_pairs_segmentedILj256ELj16ELj1EiN10test_utils4lessEEvPKT2_PS2_PKjT3_,@function
_Z20sort_pairs_segmentedILj256ELj16ELj1EiN10test_utils4lessEEvPKT2_PS2_PKjT3_: ; @_Z20sort_pairs_segmentedILj256ELj16ELj1EiN10test_utils4lessEEvPKT2_PS2_PKjT3_
; %bb.0:
	s_load_dwordx2 s[0:1], s[4:5], 0x10
	v_lshrrev_b32_e32 v9, 4, v0
	v_mov_b32_e32 v1, 0
	v_mbcnt_lo_u32_b32 v7, -1, 0
	v_lshl_or_b32 v0, s6, 4, v9
	s_load_dwordx4 s[4:7], s[4:5], 0x0
	v_and_b32_e32 v6, 15, v7
	v_lshlrev_b64 v[2:3], 2, v[0:1]
	v_lshlrev_b32_e32 v0, 4, v0
	s_waitcnt lgkmcnt(0)
	v_add_co_u32 v2, vcc_lo, s0, v2
	v_add_co_ci_u32_e64 v3, null, s1, v3, vcc_lo
	global_load_dword v4, v[2:3], off
	s_waitcnt vmcnt(0)
	v_cmp_ge_u32_e64 s0, v6, v4
	v_cmp_lt_u32_e32 vcc_lo, v6, v4
	s_and_saveexec_b32 s1, s0
	s_xor_b32 s0, exec_lo, s1
	s_or_saveexec_b32 s1, s0
	v_lshlrev_b64 v[0:1], 2, v[0:1]
                                        ; implicit-def: $vgpr8
	s_xor_b32 exec_lo, exec_lo, s1
	s_cbranch_execz .LBB15_2
; %bb.1:
	v_lshlrev_b32_e32 v2, 2, v6
	v_add_co_u32 v3, s0, s4, v0
	v_add_co_ci_u32_e64 v5, null, s5, v1, s0
	v_add_co_u32 v2, s0, v3, v2
	v_add_co_ci_u32_e64 v3, null, 0, v5, s0
	global_load_dword v8, v[2:3], off
.LBB15_2:
	s_or_b32 exec_lo, exec_lo, s1
	v_and_b32_e32 v2, 14, v7
	v_and_b32_e32 v3, 1, v7
	s_mov_b32 s2, 0
	s_mov_b32 s1, exec_lo
	v_min_i32_e32 v10, v4, v2
	v_min_i32_e32 v14, v4, v3
	v_mul_u32_u24_e32 v3, 0x44, v9
	; wave barrier
	v_add_nc_u32_e32 v2, 1, v10
	v_lshlrev_b32_e32 v16, 2, v10
	v_min_i32_e32 v11, v4, v2
	v_add_nc_u32_e32 v2, 1, v11
	v_sub_nc_u32_e32 v15, v11, v10
	v_min_i32_e32 v12, v4, v2
	v_lshlrev_b32_e32 v2, 2, v6
	v_min_i32_e32 v15, v14, v15
	v_sub_nc_u32_e32 v5, v12, v11
	v_sub_nc_u32_e32 v13, v14, v5
	v_cmp_ge_i32_e64 s0, v14, v5
	v_mad_u32_u24 v5, 0x44, v9, v2
	v_mad_u32_u24 v9, 0x44, v9, v16
	v_cndmask_b32_e64 v13, 0, v13, s0
	s_waitcnt vmcnt(0)
	ds_write_b32 v5, v8
	; wave barrier
	v_cmpx_lt_i32_e64 v13, v15
	s_cbranch_execz .LBB15_6
; %bb.3:
	v_lshlrev_b32_e32 v16, 2, v11
	v_lshlrev_b32_e32 v17, 2, v14
	v_add3_u32 v16, v3, v16, v17
	.p2align	6
.LBB15_4:                               ; =>This Inner Loop Header: Depth=1
	v_sub_nc_u32_e32 v17, v15, v13
	v_lshrrev_b32_e32 v17, 1, v17
	v_add_nc_u32_e32 v17, v17, v13
	v_not_b32_e32 v18, v17
	v_lshl_add_u32 v19, v17, 2, v9
	v_add_nc_u32_e32 v20, 1, v17
	v_lshl_add_u32 v18, v18, 2, v16
	ds_read_b32 v19, v19
	ds_read_b32 v18, v18
	s_waitcnt lgkmcnt(0)
	v_cmp_lt_i32_e64 s0, v18, v19
	v_cndmask_b32_e64 v15, v15, v17, s0
	v_cndmask_b32_e64 v13, v20, v13, s0
	v_cmp_ge_i32_e64 s0, v13, v15
	s_or_b32 s2, s0, s2
	s_andn2_b32 exec_lo, exec_lo, s2
	s_cbranch_execnz .LBB15_4
; %bb.5:
	s_or_b32 exec_lo, exec_lo, s2
.LBB15_6:
	s_or_b32 exec_lo, exec_lo, s1
	v_add_nc_u32_e32 v14, v11, v14
	v_lshl_add_u32 v9, v13, 2, v9
	v_add_nc_u32_e32 v8, 1, v8
	v_sub_nc_u32_e32 v14, v14, v13
	v_add_nc_u32_e32 v13, v13, v10
	v_lshl_add_u32 v15, v14, 2, v3
	v_cmp_le_i32_e64 s0, v11, v13
	v_cmp_gt_i32_e64 s2, v12, v14
	ds_read_b32 v16, v9
	ds_read_b32 v15, v15
	v_and_b32_e32 v9, 12, v7
	; wave barrier
	ds_write_b32 v5, v8
	v_and_b32_e32 v8, 3, v7
	v_min_i32_e32 v9, v4, v9
	; wave barrier
	v_add_nc_u32_e32 v10, 2, v9
	v_min_i32_e32 v10, v4, v10
	s_waitcnt lgkmcnt(1)
	v_cmp_lt_i32_e64 s1, v15, v16
	v_add_nc_u32_e32 v11, 2, v10
	s_or_b32 s0, s0, s1
	v_min_i32_e32 v12, v4, v11
	s_and_b32 s0, s2, s0
	s_mov_b32 s2, 0
	v_cndmask_b32_e64 v13, v13, v14, s0
	v_cndmask_b32_e64 v16, v16, v15, s0
	v_sub_nc_u32_e32 v15, v10, v9
	s_mov_b32 s1, exec_lo
	v_lshl_add_u32 v11, v13, 2, v3
	v_min_i32_e32 v13, v4, v8
	v_sub_nc_u32_e32 v8, v12, v10
	ds_read_b32 v11, v11
	v_min_i32_e32 v15, v13, v15
	v_sub_nc_u32_e32 v14, v13, v8
	v_cmp_ge_i32_e64 s0, v13, v8
	; wave barrier
	ds_write_b32 v5, v16
	v_cndmask_b32_e64 v8, 0, v14, s0
	v_lshl_add_u32 v14, v9, 2, v3
	; wave barrier
	v_cmpx_lt_i32_e64 v8, v15
	s_cbranch_execz .LBB15_10
; %bb.7:
	v_lshlrev_b32_e32 v16, 2, v10
	v_lshlrev_b32_e32 v17, 2, v13
	v_add3_u32 v16, v3, v16, v17
	.p2align	6
.LBB15_8:                               ; =>This Inner Loop Header: Depth=1
	v_sub_nc_u32_e32 v17, v15, v8
	v_lshrrev_b32_e32 v17, 1, v17
	v_add_nc_u32_e32 v17, v17, v8
	v_not_b32_e32 v18, v17
	v_lshl_add_u32 v19, v17, 2, v14
	v_add_nc_u32_e32 v20, 1, v17
	v_lshl_add_u32 v18, v18, 2, v16
	ds_read_b32 v19, v19
	ds_read_b32 v18, v18
	s_waitcnt lgkmcnt(0)
	v_cmp_lt_i32_e64 s0, v18, v19
	v_cndmask_b32_e64 v15, v15, v17, s0
	v_cndmask_b32_e64 v8, v20, v8, s0
	v_cmp_ge_i32_e64 s0, v8, v15
	s_or_b32 s2, s0, s2
	s_andn2_b32 exec_lo, exec_lo, s2
	s_cbranch_execnz .LBB15_8
; %bb.9:
	s_or_b32 exec_lo, exec_lo, s2
.LBB15_10:
	s_or_b32 exec_lo, exec_lo, s1
	v_add_nc_u32_e32 v13, v10, v13
	v_add_nc_u32_e32 v9, v8, v9
	v_sub_nc_u32_e32 v15, v13, v8
	v_lshl_add_u32 v13, v8, 2, v14
	v_cmp_le_i32_e64 s0, v10, v9
	v_lshl_add_u32 v14, v15, 2, v3
	v_cmp_gt_i32_e64 s2, v12, v15
	ds_read_b32 v16, v13
	ds_read_b32 v14, v14
	v_and_b32_e32 v13, 8, v7
	; wave barrier
	s_waitcnt lgkmcnt(3)
	ds_write_b32 v5, v11
	v_and_b32_e32 v7, 7, v7
	v_min_i32_e32 v13, v4, v13
	; wave barrier
	v_add_nc_u32_e32 v8, 4, v13
	v_min_i32_e32 v8, v4, v8
	s_waitcnt lgkmcnt(1)
	v_cmp_lt_i32_e64 s1, v14, v16
	v_add_nc_u32_e32 v10, 4, v8
	s_or_b32 s0, s0, s1
	s_mov_b32 s1, exec_lo
	s_and_b32 s0, s2, s0
	s_mov_b32 s2, 0
	v_cndmask_b32_e64 v12, v9, v15, s0
	v_min_i32_e32 v9, v4, v10
	v_min_i32_e32 v10, v4, v7
	v_cndmask_b32_e64 v16, v16, v14, s0
	v_sub_nc_u32_e32 v14, v8, v13
	v_lshl_add_u32 v11, v12, 2, v3
	v_sub_nc_u32_e32 v12, v9, v8
	v_min_i32_e32 v14, v10, v14
	ds_read_b32 v7, v11
	v_sub_nc_u32_e32 v11, v10, v12
	v_cmp_ge_i32_e64 s0, v10, v12
	v_lshl_add_u32 v12, v13, 2, v3
	; wave barrier
	ds_write_b32 v5, v16
	v_cndmask_b32_e64 v11, 0, v11, s0
	; wave barrier
	v_cmpx_lt_i32_e64 v11, v14
	s_cbranch_execz .LBB15_14
; %bb.11:
	v_lshlrev_b32_e32 v15, 2, v8
	v_lshlrev_b32_e32 v16, 2, v10
	v_add3_u32 v15, v3, v15, v16
	.p2align	6
.LBB15_12:                              ; =>This Inner Loop Header: Depth=1
	v_sub_nc_u32_e32 v16, v14, v11
	v_lshrrev_b32_e32 v16, 1, v16
	v_add_nc_u32_e32 v16, v16, v11
	v_not_b32_e32 v17, v16
	v_lshl_add_u32 v18, v16, 2, v12
	v_add_nc_u32_e32 v19, 1, v16
	v_lshl_add_u32 v17, v17, 2, v15
	ds_read_b32 v18, v18
	ds_read_b32 v17, v17
	s_waitcnt lgkmcnt(0)
	v_cmp_lt_i32_e64 s0, v17, v18
	v_cndmask_b32_e64 v14, v14, v16, s0
	v_cndmask_b32_e64 v11, v19, v11, s0
	v_cmp_ge_i32_e64 s0, v11, v14
	s_or_b32 s2, s0, s2
	s_andn2_b32 exec_lo, exec_lo, s2
	s_cbranch_execnz .LBB15_12
; %bb.13:
	s_or_b32 exec_lo, exec_lo, s2
.LBB15_14:
	s_or_b32 exec_lo, exec_lo, s1
	v_add_nc_u32_e32 v10, v8, v10
	v_sub_nc_u32_e32 v14, v10, v11
	v_lshl_add_u32 v10, v11, 2, v12
	v_add_nc_u32_e32 v11, v11, v13
	v_lshl_add_u32 v12, v14, 2, v3
	v_cmp_gt_i32_e64 s2, v9, v14
	v_cmp_le_i32_e64 s0, v8, v11
	ds_read_b32 v15, v10
	ds_read_b32 v12, v12
	v_min_i32_e32 v10, 0, v4
	; wave barrier
	s_waitcnt lgkmcnt(3)
	ds_write_b32 v5, v7
	v_add_nc_u32_e32 v8, 8, v10
	; wave barrier
	v_min_i32_e32 v8, v4, v8
	v_add_nc_u32_e32 v9, 8, v8
	s_waitcnt lgkmcnt(1)
	v_cmp_lt_i32_e64 s1, v12, v15
	v_min_i32_e32 v7, v4, v9
	v_min_i32_e32 v9, v4, v6
	s_or_b32 s0, s0, s1
	v_sub_nc_u32_e32 v4, v7, v8
	s_and_b32 s0, s2, s0
	s_mov_b32 s2, 0
	v_cndmask_b32_e64 v11, v11, v14, s0
	v_cndmask_b32_e64 v13, v15, v12, s0
	v_sub_nc_u32_e32 v12, v8, v10
	v_cmp_ge_i32_e64 s0, v9, v4
	s_mov_b32 s1, exec_lo
	v_lshl_add_u32 v11, v11, 2, v3
	v_min_i32_e32 v12, v9, v12
	ds_read_b32 v6, v11
	v_sub_nc_u32_e32 v11, v9, v4
	; wave barrier
	ds_write_b32 v5, v13
	v_cndmask_b32_e64 v4, 0, v11, s0
	v_lshl_add_u32 v11, v10, 2, v3
	; wave barrier
	v_cmpx_lt_i32_e64 v4, v12
	s_cbranch_execz .LBB15_18
; %bb.15:
	v_lshlrev_b32_e32 v13, 2, v8
	v_lshlrev_b32_e32 v14, 2, v9
	v_add3_u32 v13, v3, v13, v14
	.p2align	6
.LBB15_16:                              ; =>This Inner Loop Header: Depth=1
	v_sub_nc_u32_e32 v14, v12, v4
	v_lshrrev_b32_e32 v14, 1, v14
	v_add_nc_u32_e32 v14, v14, v4
	v_not_b32_e32 v15, v14
	v_lshl_add_u32 v16, v14, 2, v11
	v_add_nc_u32_e32 v17, 1, v14
	v_lshl_add_u32 v15, v15, 2, v13
	ds_read_b32 v16, v16
	ds_read_b32 v15, v15
	s_waitcnt lgkmcnt(0)
	v_cmp_lt_i32_e64 s0, v15, v16
	v_cndmask_b32_e64 v12, v12, v14, s0
	v_cndmask_b32_e64 v4, v17, v4, s0
	v_cmp_ge_i32_e64 s0, v4, v12
	s_or_b32 s2, s0, s2
	s_andn2_b32 exec_lo, exec_lo, s2
	s_cbranch_execnz .LBB15_16
; %bb.17:
	s_or_b32 exec_lo, exec_lo, s2
.LBB15_18:
	s_or_b32 exec_lo, exec_lo, s1
	v_add_nc_u32_e32 v9, v8, v9
	v_lshl_add_u32 v11, v4, 2, v11
	v_sub_nc_u32_e32 v9, v9, v4
	v_lshl_add_u32 v12, v9, 2, v3
	ds_read_b32 v11, v11
	ds_read_b32 v12, v12
	; wave barrier
	s_waitcnt lgkmcnt(3)
	ds_write_b32 v5, v6
	; wave barrier
	s_and_saveexec_b32 s0, vcc_lo
	s_cbranch_execz .LBB15_20
; %bb.19:
	v_add_nc_u32_e32 v4, v4, v10
	s_waitcnt lgkmcnt(1)
	v_cmp_lt_i32_e32 vcc_lo, v12, v11
	v_cmp_gt_i32_e64 s1, v7, v9
	v_cmp_le_i32_e64 s0, v8, v4
	s_or_b32 s0, s0, vcc_lo
	s_and_b32 vcc_lo, s1, s0
	v_cndmask_b32_e32 v4, v4, v9, vcc_lo
	v_cndmask_b32_e32 v5, v11, v12, vcc_lo
	v_add_co_u32 v0, vcc_lo, s6, v0
	v_add_co_ci_u32_e64 v1, null, s7, v1, vcc_lo
	v_lshl_add_u32 v3, v4, 2, v3
	v_add_co_u32 v0, vcc_lo, v0, v2
	v_add_co_ci_u32_e64 v1, null, 0, v1, vcc_lo
	ds_read_b32 v3, v3
	s_waitcnt lgkmcnt(0)
	v_add_nc_u32_e32 v3, v3, v5
	global_store_dword v[0:1], v3, off
.LBB15_20:
	s_endpgm
	.section	.rodata,"a",@progbits
	.p2align	6, 0x0
	.amdhsa_kernel _Z20sort_pairs_segmentedILj256ELj16ELj1EiN10test_utils4lessEEvPKT2_PS2_PKjT3_
		.amdhsa_group_segment_fixed_size 1088
		.amdhsa_private_segment_fixed_size 0
		.amdhsa_kernarg_size 28
		.amdhsa_user_sgpr_count 6
		.amdhsa_user_sgpr_private_segment_buffer 1
		.amdhsa_user_sgpr_dispatch_ptr 0
		.amdhsa_user_sgpr_queue_ptr 0
		.amdhsa_user_sgpr_kernarg_segment_ptr 1
		.amdhsa_user_sgpr_dispatch_id 0
		.amdhsa_user_sgpr_flat_scratch_init 0
		.amdhsa_user_sgpr_private_segment_size 0
		.amdhsa_wavefront_size32 1
		.amdhsa_uses_dynamic_stack 0
		.amdhsa_system_sgpr_private_segment_wavefront_offset 0
		.amdhsa_system_sgpr_workgroup_id_x 1
		.amdhsa_system_sgpr_workgroup_id_y 0
		.amdhsa_system_sgpr_workgroup_id_z 0
		.amdhsa_system_sgpr_workgroup_info 0
		.amdhsa_system_vgpr_workitem_id 0
		.amdhsa_next_free_vgpr 21
		.amdhsa_next_free_sgpr 8
		.amdhsa_reserve_vcc 1
		.amdhsa_reserve_flat_scratch 0
		.amdhsa_float_round_mode_32 0
		.amdhsa_float_round_mode_16_64 0
		.amdhsa_float_denorm_mode_32 3
		.amdhsa_float_denorm_mode_16_64 3
		.amdhsa_dx10_clamp 1
		.amdhsa_ieee_mode 1
		.amdhsa_fp16_overflow 0
		.amdhsa_workgroup_processor_mode 1
		.amdhsa_memory_ordered 1
		.amdhsa_forward_progress 1
		.amdhsa_shared_vgpr_count 0
		.amdhsa_exception_fp_ieee_invalid_op 0
		.amdhsa_exception_fp_denorm_src 0
		.amdhsa_exception_fp_ieee_div_zero 0
		.amdhsa_exception_fp_ieee_overflow 0
		.amdhsa_exception_fp_ieee_underflow 0
		.amdhsa_exception_fp_ieee_inexact 0
		.amdhsa_exception_int_div_zero 0
	.end_amdhsa_kernel
	.section	.text._Z20sort_pairs_segmentedILj256ELj16ELj1EiN10test_utils4lessEEvPKT2_PS2_PKjT3_,"axG",@progbits,_Z20sort_pairs_segmentedILj256ELj16ELj1EiN10test_utils4lessEEvPKT2_PS2_PKjT3_,comdat
.Lfunc_end15:
	.size	_Z20sort_pairs_segmentedILj256ELj16ELj1EiN10test_utils4lessEEvPKT2_PS2_PKjT3_, .Lfunc_end15-_Z20sort_pairs_segmentedILj256ELj16ELj1EiN10test_utils4lessEEvPKT2_PS2_PKjT3_
                                        ; -- End function
	.set _Z20sort_pairs_segmentedILj256ELj16ELj1EiN10test_utils4lessEEvPKT2_PS2_PKjT3_.num_vgpr, 21
	.set _Z20sort_pairs_segmentedILj256ELj16ELj1EiN10test_utils4lessEEvPKT2_PS2_PKjT3_.num_agpr, 0
	.set _Z20sort_pairs_segmentedILj256ELj16ELj1EiN10test_utils4lessEEvPKT2_PS2_PKjT3_.numbered_sgpr, 8
	.set _Z20sort_pairs_segmentedILj256ELj16ELj1EiN10test_utils4lessEEvPKT2_PS2_PKjT3_.num_named_barrier, 0
	.set _Z20sort_pairs_segmentedILj256ELj16ELj1EiN10test_utils4lessEEvPKT2_PS2_PKjT3_.private_seg_size, 0
	.set _Z20sort_pairs_segmentedILj256ELj16ELj1EiN10test_utils4lessEEvPKT2_PS2_PKjT3_.uses_vcc, 1
	.set _Z20sort_pairs_segmentedILj256ELj16ELj1EiN10test_utils4lessEEvPKT2_PS2_PKjT3_.uses_flat_scratch, 0
	.set _Z20sort_pairs_segmentedILj256ELj16ELj1EiN10test_utils4lessEEvPKT2_PS2_PKjT3_.has_dyn_sized_stack, 0
	.set _Z20sort_pairs_segmentedILj256ELj16ELj1EiN10test_utils4lessEEvPKT2_PS2_PKjT3_.has_recursion, 0
	.set _Z20sort_pairs_segmentedILj256ELj16ELj1EiN10test_utils4lessEEvPKT2_PS2_PKjT3_.has_indirect_call, 0
	.section	.AMDGPU.csdata,"",@progbits
; Kernel info:
; codeLenInByte = 1816
; TotalNumSgprs: 10
; NumVgprs: 21
; ScratchSize: 0
; MemoryBound: 0
; FloatMode: 240
; IeeeMode: 1
; LDSByteSize: 1088 bytes/workgroup (compile time only)
; SGPRBlocks: 0
; VGPRBlocks: 2
; NumSGPRsForWavesPerEU: 10
; NumVGPRsForWavesPerEU: 21
; Occupancy: 16
; WaveLimiterHint : 0
; COMPUTE_PGM_RSRC2:SCRATCH_EN: 0
; COMPUTE_PGM_RSRC2:USER_SGPR: 6
; COMPUTE_PGM_RSRC2:TRAP_HANDLER: 0
; COMPUTE_PGM_RSRC2:TGID_X_EN: 1
; COMPUTE_PGM_RSRC2:TGID_Y_EN: 0
; COMPUTE_PGM_RSRC2:TGID_Z_EN: 0
; COMPUTE_PGM_RSRC2:TIDIG_COMP_CNT: 0
	.section	.text._Z9sort_keysILj256ELj16ELj4EiN10test_utils4lessEEvPKT2_PS2_T3_,"axG",@progbits,_Z9sort_keysILj256ELj16ELj4EiN10test_utils4lessEEvPKT2_PS2_T3_,comdat
	.protected	_Z9sort_keysILj256ELj16ELj4EiN10test_utils4lessEEvPKT2_PS2_T3_ ; -- Begin function _Z9sort_keysILj256ELj16ELj4EiN10test_utils4lessEEvPKT2_PS2_T3_
	.globl	_Z9sort_keysILj256ELj16ELj4EiN10test_utils4lessEEvPKT2_PS2_T3_
	.p2align	8
	.type	_Z9sort_keysILj256ELj16ELj4EiN10test_utils4lessEEvPKT2_PS2_T3_,@function
_Z9sort_keysILj256ELj16ELj4EiN10test_utils4lessEEvPKT2_PS2_T3_: ; @_Z9sort_keysILj256ELj16ELj4EiN10test_utils4lessEEvPKT2_PS2_T3_
; %bb.0:
	s_load_dwordx4 s[8:11], s[4:5], 0x0
	s_mov_b32 s3, 0
	s_lshl_b32 s2, s6, 10
	v_lshlrev_b32_e32 v1, 4, v0
	s_lshl_b64 s[4:5], s[2:3], 2
	v_lshlrev_b32_e32 v4, 2, v0
	v_lshrrev_b32_e32 v0, 4, v0
	v_mov_b32_e32 v6, 0
	s_waitcnt lgkmcnt(0)
	s_add_u32 s0, s8, s4
	s_addc_u32 s1, s9, s5
	global_load_dwordx4 v[11:14], v1, s[0:1]
	v_mbcnt_lo_u32_b32 v1, -1, 0
	; wave barrier
	v_lshlrev_b32_e32 v3, 2, v1
	v_and_b32_e32 v10, 56, v3
	v_and_b32_e32 v1, 60, v3
	;; [unrolled: 1-line block ×3, first 2 shown]
	v_or_b32_e32 v5, 4, v10
	s_waitcnt vmcnt(0)
	v_cmp_lt_i32_e32 vcc_lo, v12, v11
	v_min_i32_e32 v7, v12, v11
	v_max_i32_e32 v8, v12, v11
	v_cmp_lt_i32_e64 s0, v14, v13
	v_min_i32_e32 v15, v14, v13
	v_max_i32_e32 v17, v14, v13
	v_cndmask_b32_e32 v2, v11, v12, vcc_lo
	v_cndmask_b32_e32 v11, v12, v11, vcc_lo
	v_cndmask_b32_e64 v16, v14, v13, s0
	v_cndmask_b32_e64 v12, v13, v14, s0
	v_cmp_lt_i32_e32 vcc_lo, v15, v8
	v_max_i32_e32 v13, v15, v8
	v_min_i32_e32 v14, v15, v8
	v_cmp_lt_i32_e64 s0, v15, v7
	v_cmp_gt_i32_e64 s1, v8, v17
	v_cndmask_b32_e32 v8, v12, v8, vcc_lo
	v_cndmask_b32_e32 v11, v11, v15, vcc_lo
	v_cndmask_b32_e64 v12, v2, v14, s0
	v_cndmask_b32_e64 v14, v14, v7, s0
	;; [unrolled: 1-line block ×4, first 2 shown]
	v_lshlrev_b32_e32 v2, 2, v1
	v_sub_nc_u32_e32 v16, v5, v10
	v_cndmask_b32_e64 v7, v11, v7, s0
	v_cndmask_b32_e64 v11, v8, v17, s1
	v_cmp_lt_i32_e32 vcc_lo, v13, v14
	v_lshlrev_b32_e32 v17, 2, v10
	v_mad_u32_u24 v2, 0x104, v0, v2
	v_min_i32_e32 v8, v9, v16
	s_mov_b32 s0, exec_lo
	v_cndmask_b32_e32 v13, v7, v13, vcc_lo
	v_mad_u32_u24 v7, 0x104, v0, v17
	v_cndmask_b32_e32 v11, v11, v14, vcc_lo
	ds_write2_b32 v2, v12, v13 offset1:1
	ds_write2_b32 v2, v11, v15 offset0:2 offset1:3
	; wave barrier
	v_cmpx_lt_i32_e32 0, v8
	s_cbranch_execz .LBB16_4
; %bb.1:
	v_lshl_add_u32 v11, v9, 2, v7
	v_mov_b32_e32 v6, 0
	.p2align	6
.LBB16_2:                               ; =>This Inner Loop Header: Depth=1
	v_sub_nc_u32_e32 v12, v8, v6
	v_lshrrev_b32_e32 v12, 1, v12
	v_add_nc_u32_e32 v12, v12, v6
	v_not_b32_e32 v13, v12
	v_lshl_add_u32 v14, v12, 2, v7
	v_add_nc_u32_e32 v15, 1, v12
	v_lshl_add_u32 v13, v13, 2, v11
	ds_read_b32 v14, v14
	ds_read_b32 v13, v13 offset:16
	s_waitcnt lgkmcnt(0)
	v_cmp_lt_i32_e32 vcc_lo, v13, v14
	v_cndmask_b32_e32 v8, v8, v12, vcc_lo
	v_cndmask_b32_e32 v6, v15, v6, vcc_lo
	v_cmp_ge_i32_e32 vcc_lo, v6, v8
	s_or_b32 s3, vcc_lo, s3
	s_andn2_b32 exec_lo, exec_lo, s3
	s_cbranch_execnz .LBB16_2
; %bb.3:
	s_or_b32 exec_lo, exec_lo, s3
.LBB16_4:
	s_or_b32 exec_lo, exec_lo, s0
	v_add_nc_u32_e32 v8, v10, v9
	v_mul_u32_u24_e32 v0, 0x104, v0
	v_lshl_add_u32 v12, v6, 2, v7
	v_add_nc_u32_e32 v11, v5, v9
	v_add_nc_u32_e32 v9, 8, v10
	v_sub_nc_u32_e32 v8, v8, v6
	v_cmp_lt_i32_e32 vcc_lo, 3, v6
	v_sub_nc_u32_e32 v13, v11, v6
                                        ; implicit-def: $vgpr11
	v_lshl_add_u32 v14, v8, 2, v0
	ds_read_b32 v7, v12
	ds_read_b32 v8, v14 offset:16
	v_cmp_gt_i32_e64 s1, v9, v13
	s_waitcnt lgkmcnt(0)
	v_cmp_lt_i32_e64 s0, v8, v7
	s_or_b32 s0, vcc_lo, s0
	s_and_b32 vcc_lo, s1, s0
	s_xor_b32 s0, vcc_lo, -1
	s_and_saveexec_b32 s1, s0
	s_xor_b32 s0, exec_lo, s1
; %bb.5:
	ds_read_b32 v11, v12 offset:4
                                        ; implicit-def: $vgpr14
; %bb.6:
	s_or_saveexec_b32 s0, s0
	v_mov_b32_e32 v12, v8
	s_xor_b32 exec_lo, exec_lo, s0
	s_cbranch_execz .LBB16_8
; %bb.7:
	ds_read_b32 v12, v14 offset:20
	s_waitcnt lgkmcnt(1)
	v_mov_b32_e32 v11, v7
.LBB16_8:
	s_or_b32 exec_lo, exec_lo, s0
	v_add_nc_u32_e32 v6, v6, v10
	v_add_nc_u32_e32 v15, 1, v13
	s_waitcnt lgkmcnt(0)
	v_cmp_lt_i32_e64 s1, v12, v11
	v_add_nc_u32_e32 v10, 1, v6
	v_cndmask_b32_e32 v14, v10, v6, vcc_lo
	v_cndmask_b32_e32 v10, v13, v15, vcc_lo
                                        ; implicit-def: $vgpr6
	v_cmp_ge_i32_e64 s0, v14, v5
	v_cmp_lt_i32_e64 s2, v10, v9
	s_or_b32 s0, s0, s1
	s_and_b32 s0, s2, s0
	s_xor_b32 s1, s0, -1
	s_and_saveexec_b32 s2, s1
	s_xor_b32 s1, exec_lo, s2
; %bb.9:
	v_lshl_add_u32 v6, v14, 2, v0
	ds_read_b32 v6, v6 offset:4
; %bb.10:
	s_or_saveexec_b32 s1, s1
	v_mov_b32_e32 v13, v12
	s_xor_b32 exec_lo, exec_lo, s1
	s_cbranch_execz .LBB16_12
; %bb.11:
	s_waitcnt lgkmcnt(0)
	v_lshl_add_u32 v6, v10, 2, v0
	ds_read_b32 v13, v6 offset:4
	v_mov_b32_e32 v6, v11
.LBB16_12:
	s_or_b32 exec_lo, exec_lo, s1
	v_add_nc_u32_e32 v15, 1, v14
	v_add_nc_u32_e32 v17, 1, v10
	s_waitcnt lgkmcnt(0)
	v_cmp_lt_i32_e64 s2, v13, v6
	v_cndmask_b32_e64 v16, v15, v14, s0
	v_cndmask_b32_e64 v14, v10, v17, s0
                                        ; implicit-def: $vgpr15
	v_cmp_ge_i32_e64 s1, v16, v5
	v_cmp_lt_i32_e64 s3, v14, v9
	s_or_b32 s1, s1, s2
	s_and_b32 s1, s3, s1
	s_xor_b32 s2, s1, -1
	s_and_saveexec_b32 s3, s2
	s_xor_b32 s2, exec_lo, s3
; %bb.13:
	v_lshl_add_u32 v10, v16, 2, v0
	ds_read_b32 v15, v10 offset:4
; %bb.14:
	s_or_saveexec_b32 s2, s2
	v_mov_b32_e32 v17, v13
	s_xor_b32 exec_lo, exec_lo, s2
	s_cbranch_execz .LBB16_16
; %bb.15:
	v_lshl_add_u32 v10, v14, 2, v0
	s_waitcnt lgkmcnt(0)
	v_mov_b32_e32 v15, v6
	ds_read_b32 v17, v10 offset:4
.LBB16_16:
	s_or_b32 exec_lo, exec_lo, s2
	v_add_nc_u32_e32 v18, 1, v16
	v_add_nc_u32_e32 v19, 1, v14
	v_and_b32_e32 v10, 48, v3
	v_cndmask_b32_e64 v20, v11, v12, s0
	v_cndmask_b32_e64 v13, v6, v13, s1
	;; [unrolled: 1-line block ×4, first 2 shown]
	v_or_b32_e32 v6, 8, v10
	s_waitcnt lgkmcnt(0)
	v_cmp_lt_i32_e64 s0, v17, v15
	v_and_b32_e32 v11, 12, v3
	v_cmp_ge_i32_e64 s1, v12, v5
	v_cmp_lt_i32_e64 s2, v14, v9
	v_sub_nc_u32_e32 v5, v6, v10
	v_cndmask_b32_e32 v8, v7, v8, vcc_lo
	v_sub_nc_u32_e64 v12, v11, 8 clamp
	s_or_b32 s0, s1, s0
	s_and_b32 vcc_lo, s2, s0
	v_min_i32_e32 v7, v11, v5
	v_lshl_add_u32 v5, v10, 2, v0
	v_cndmask_b32_e32 v9, v15, v17, vcc_lo
	s_mov_b32 s0, exec_lo
	; wave barrier
	ds_write2_b32 v2, v8, v20 offset1:1
	ds_write2_b32 v2, v13, v9 offset0:2 offset1:3
	; wave barrier
	v_cmpx_lt_i32_e64 v12, v7
	s_cbranch_execz .LBB16_20
; %bb.17:
	v_lshl_add_u32 v8, v11, 2, v5
	s_mov_b32 s1, 0
	.p2align	6
.LBB16_18:                              ; =>This Inner Loop Header: Depth=1
	v_sub_nc_u32_e32 v9, v7, v12
	v_lshrrev_b32_e32 v9, 1, v9
	v_add_nc_u32_e32 v9, v9, v12
	v_not_b32_e32 v13, v9
	v_lshl_add_u32 v14, v9, 2, v5
	v_add_nc_u32_e32 v15, 1, v9
	v_lshl_add_u32 v13, v13, 2, v8
	ds_read_b32 v14, v14
	ds_read_b32 v13, v13 offset:32
	s_waitcnt lgkmcnt(0)
	v_cmp_lt_i32_e32 vcc_lo, v13, v14
	v_cndmask_b32_e32 v7, v7, v9, vcc_lo
	v_cndmask_b32_e32 v12, v15, v12, vcc_lo
	v_cmp_ge_i32_e32 vcc_lo, v12, v7
	s_or_b32 s1, vcc_lo, s1
	s_andn2_b32 exec_lo, exec_lo, s1
	s_cbranch_execnz .LBB16_18
; %bb.19:
	s_or_b32 exec_lo, exec_lo, s1
.LBB16_20:
	s_or_b32 exec_lo, exec_lo, s0
	v_add_nc_u32_e32 v7, v10, v11
	v_lshl_add_u32 v15, v12, 2, v5
	v_add_nc_u32_e32 v5, v6, v11
	v_add_nc_u32_e32 v9, 16, v10
	v_cmp_lt_i32_e32 vcc_lo, 7, v12
	v_sub_nc_u32_e32 v7, v7, v12
	v_sub_nc_u32_e32 v13, v5, v12
                                        ; implicit-def: $vgpr5
	v_lshl_add_u32 v14, v7, 2, v0
	ds_read_b32 v7, v15
	ds_read_b32 v8, v14 offset:32
	v_cmp_gt_i32_e64 s1, v9, v13
	s_waitcnt lgkmcnt(0)
	v_cmp_lt_i32_e64 s0, v8, v7
	s_or_b32 s0, vcc_lo, s0
	s_and_b32 vcc_lo, s1, s0
	s_xor_b32 s0, vcc_lo, -1
	s_and_saveexec_b32 s1, s0
	s_xor_b32 s0, exec_lo, s1
; %bb.21:
	ds_read_b32 v5, v15 offset:4
                                        ; implicit-def: $vgpr14
; %bb.22:
	s_or_saveexec_b32 s0, s0
	v_mov_b32_e32 v11, v8
	s_xor_b32 exec_lo, exec_lo, s0
	s_cbranch_execz .LBB16_24
; %bb.23:
	ds_read_b32 v11, v14 offset:36
	s_waitcnt lgkmcnt(1)
	v_mov_b32_e32 v5, v7
.LBB16_24:
	s_or_b32 exec_lo, exec_lo, s0
	v_add_nc_u32_e32 v10, v12, v10
	v_add_nc_u32_e32 v15, 1, v13
	s_waitcnt lgkmcnt(0)
	v_cmp_lt_i32_e64 s1, v11, v5
	v_add_nc_u32_e32 v12, 1, v10
	v_cndmask_b32_e32 v14, v12, v10, vcc_lo
	v_cndmask_b32_e32 v10, v13, v15, vcc_lo
                                        ; implicit-def: $vgpr12
	v_cmp_ge_i32_e64 s0, v14, v6
	v_cmp_lt_i32_e64 s2, v10, v9
	s_or_b32 s0, s0, s1
	s_and_b32 s0, s2, s0
	s_xor_b32 s1, s0, -1
	s_and_saveexec_b32 s2, s1
	s_xor_b32 s1, exec_lo, s2
; %bb.25:
	v_lshl_add_u32 v12, v14, 2, v0
	ds_read_b32 v12, v12 offset:4
; %bb.26:
	s_or_saveexec_b32 s1, s1
	v_mov_b32_e32 v13, v11
	s_xor_b32 exec_lo, exec_lo, s1
	s_cbranch_execz .LBB16_28
; %bb.27:
	s_waitcnt lgkmcnt(0)
	v_lshl_add_u32 v12, v10, 2, v0
	ds_read_b32 v13, v12 offset:4
	v_mov_b32_e32 v12, v5
.LBB16_28:
	s_or_b32 exec_lo, exec_lo, s1
	v_add_nc_u32_e32 v15, 1, v14
	v_add_nc_u32_e32 v17, 1, v10
	s_waitcnt lgkmcnt(0)
	v_cmp_lt_i32_e64 s2, v13, v12
	v_cndmask_b32_e64 v16, v15, v14, s0
	v_cndmask_b32_e64 v14, v10, v17, s0
                                        ; implicit-def: $vgpr15
	v_cmp_ge_i32_e64 s1, v16, v6
	v_cmp_lt_i32_e64 s3, v14, v9
	s_or_b32 s1, s1, s2
	s_and_b32 s1, s3, s1
	s_xor_b32 s2, s1, -1
	s_and_saveexec_b32 s3, s2
	s_xor_b32 s2, exec_lo, s3
; %bb.29:
	v_lshl_add_u32 v10, v16, 2, v0
	ds_read_b32 v15, v10 offset:4
; %bb.30:
	s_or_saveexec_b32 s2, s2
	v_mov_b32_e32 v17, v13
	s_xor_b32 exec_lo, exec_lo, s2
	s_cbranch_execz .LBB16_32
; %bb.31:
	v_lshl_add_u32 v10, v14, 2, v0
	s_waitcnt lgkmcnt(0)
	v_mov_b32_e32 v15, v12
	ds_read_b32 v17, v10 offset:4
.LBB16_32:
	s_or_b32 exec_lo, exec_lo, s2
	v_add_nc_u32_e32 v18, 1, v16
	v_add_nc_u32_e32 v19, 1, v14
	v_and_b32_e32 v10, 32, v3
	v_cndmask_b32_e64 v12, v12, v13, s1
	v_cndmask_b32_e64 v13, v5, v11, s0
	;; [unrolled: 1-line block ×4, first 2 shown]
	v_or_b32_e32 v5, 16, v10
	s_waitcnt lgkmcnt(0)
	v_cmp_lt_i32_e64 s0, v17, v15
	v_and_b32_e32 v11, 28, v3
	v_cmp_ge_i32_e64 s1, v16, v6
	v_cmp_lt_i32_e64 s2, v14, v9
	v_sub_nc_u32_e32 v3, v5, v10
	v_cndmask_b32_e32 v7, v7, v8, vcc_lo
	v_sub_nc_u32_e64 v9, v11, 16 clamp
	s_or_b32 s0, s1, s0
	s_and_b32 vcc_lo, s2, s0
	v_min_i32_e32 v6, v11, v3
	v_lshl_add_u32 v3, v10, 2, v0
	v_cndmask_b32_e32 v8, v15, v17, vcc_lo
	s_mov_b32 s0, exec_lo
	; wave barrier
	ds_write2_b32 v2, v7, v13 offset1:1
	ds_write2_b32 v2, v12, v8 offset0:2 offset1:3
	; wave barrier
	v_cmpx_lt_i32_e64 v9, v6
	s_cbranch_execz .LBB16_36
; %bb.33:
	v_lshl_add_u32 v7, v11, 2, v3
	s_mov_b32 s1, 0
	.p2align	6
.LBB16_34:                              ; =>This Inner Loop Header: Depth=1
	v_sub_nc_u32_e32 v8, v6, v9
	v_lshrrev_b32_e32 v8, 1, v8
	v_add_nc_u32_e32 v8, v8, v9
	v_not_b32_e32 v12, v8
	v_lshl_add_u32 v13, v8, 2, v3
	v_add_nc_u32_e32 v14, 1, v8
	v_lshl_add_u32 v12, v12, 2, v7
	ds_read_b32 v13, v13
	ds_read_b32 v12, v12 offset:64
	s_waitcnt lgkmcnt(0)
	v_cmp_lt_i32_e32 vcc_lo, v12, v13
	v_cndmask_b32_e32 v6, v6, v8, vcc_lo
	v_cndmask_b32_e32 v9, v14, v9, vcc_lo
	v_cmp_ge_i32_e32 vcc_lo, v9, v6
	s_or_b32 s1, vcc_lo, s1
	s_andn2_b32 exec_lo, exec_lo, s1
	s_cbranch_execnz .LBB16_34
; %bb.35:
	s_or_b32 exec_lo, exec_lo, s1
.LBB16_36:
	s_or_b32 exec_lo, exec_lo, s0
	v_add_nc_u32_e32 v6, v10, v11
	v_lshl_add_u32 v14, v9, 2, v3
	v_add_nc_u32_e32 v8, v5, v11
	v_add_nc_u32_e32 v7, 32, v10
	v_cmp_lt_i32_e32 vcc_lo, 15, v9
	v_sub_nc_u32_e32 v6, v6, v9
	v_sub_nc_u32_e32 v12, v8, v9
                                        ; implicit-def: $vgpr8
	v_lshl_add_u32 v13, v6, 2, v0
	ds_read_b32 v3, v14
	ds_read_b32 v6, v13 offset:64
	v_cmp_gt_i32_e64 s1, v7, v12
	s_waitcnt lgkmcnt(0)
	v_cmp_lt_i32_e64 s0, v6, v3
	s_or_b32 s0, vcc_lo, s0
	s_and_b32 vcc_lo, s1, s0
	s_xor_b32 s0, vcc_lo, -1
	s_and_saveexec_b32 s1, s0
	s_xor_b32 s0, exec_lo, s1
; %bb.37:
	ds_read_b32 v8, v14 offset:4
                                        ; implicit-def: $vgpr13
; %bb.38:
	s_or_saveexec_b32 s0, s0
	v_mov_b32_e32 v11, v6
	s_xor_b32 exec_lo, exec_lo, s0
	s_cbranch_execz .LBB16_40
; %bb.39:
	ds_read_b32 v11, v13 offset:68
	s_waitcnt lgkmcnt(1)
	v_mov_b32_e32 v8, v3
.LBB16_40:
	s_or_b32 exec_lo, exec_lo, s0
	v_add_nc_u32_e32 v9, v9, v10
	v_add_nc_u32_e32 v14, 1, v12
	s_waitcnt lgkmcnt(0)
	v_cmp_lt_i32_e64 s1, v11, v8
	v_add_nc_u32_e32 v10, 1, v9
	v_cndmask_b32_e32 v12, v12, v14, vcc_lo
	v_cndmask_b32_e32 v13, v10, v9, vcc_lo
	v_cmp_lt_i32_e64 s2, v12, v7
                                        ; implicit-def: $vgpr9
	v_cmp_ge_i32_e64 s0, v13, v5
	s_or_b32 s0, s0, s1
	s_and_b32 s0, s2, s0
	s_xor_b32 s1, s0, -1
	s_and_saveexec_b32 s2, s1
	s_xor_b32 s1, exec_lo, s2
; %bb.41:
	v_lshl_add_u32 v9, v13, 2, v0
	ds_read_b32 v9, v9 offset:4
; %bb.42:
	s_or_saveexec_b32 s1, s1
	v_mov_b32_e32 v10, v11
	s_xor_b32 exec_lo, exec_lo, s1
	s_cbranch_execz .LBB16_44
; %bb.43:
	s_waitcnt lgkmcnt(0)
	v_lshl_add_u32 v9, v12, 2, v0
	ds_read_b32 v10, v9 offset:4
	v_mov_b32_e32 v9, v8
.LBB16_44:
	s_or_b32 exec_lo, exec_lo, s1
	v_add_nc_u32_e32 v14, 1, v13
	v_add_nc_u32_e32 v16, 1, v12
	s_waitcnt lgkmcnt(0)
	v_cmp_lt_i32_e64 s2, v10, v9
	v_cndmask_b32_e64 v15, v14, v13, s0
	v_cndmask_b32_e64 v14, v12, v16, s0
                                        ; implicit-def: $vgpr12
	v_cmp_ge_i32_e64 s1, v15, v5
	v_cmp_lt_i32_e64 s3, v14, v7
	s_or_b32 s1, s1, s2
	s_and_b32 s1, s3, s1
	s_xor_b32 s2, s1, -1
	s_and_saveexec_b32 s3, s2
	s_xor_b32 s2, exec_lo, s3
; %bb.45:
	v_lshl_add_u32 v12, v15, 2, v0
	ds_read_b32 v12, v12 offset:4
; %bb.46:
	s_or_saveexec_b32 s2, s2
	v_mov_b32_e32 v13, v10
	s_xor_b32 exec_lo, exec_lo, s2
	s_cbranch_execz .LBB16_48
; %bb.47:
	s_waitcnt lgkmcnt(0)
	v_lshl_add_u32 v12, v14, 2, v0
	ds_read_b32 v13, v12 offset:4
	v_mov_b32_e32 v12, v9
.LBB16_48:
	s_or_b32 exec_lo, exec_lo, s2
	v_add_nc_u32_e32 v16, 1, v15
	v_add_nc_u32_e32 v17, 1, v14
	v_cndmask_b32_e64 v9, v9, v10, s1
	v_cndmask_b32_e32 v6, v3, v6, vcc_lo
	v_min_u32_e32 v3, 32, v1
	v_cndmask_b32_e64 v15, v16, v15, s1
	v_cndmask_b32_e64 v14, v14, v17, s1
	s_waitcnt lgkmcnt(0)
	v_cmp_lt_i32_e64 s1, v13, v12
	; wave barrier
	v_cmp_ge_i32_e64 s2, v15, v5
	v_cndmask_b32_e64 v5, v8, v11, s0
	v_cmp_lt_i32_e64 s0, v14, v7
	v_sub_nc_u32_e64 v7, v1, 32 clamp
	s_or_b32 s1, s2, s1
	s_and_b32 vcc_lo, s0, s1
	s_mov_b32 s0, exec_lo
	v_cndmask_b32_e32 v8, v12, v13, vcc_lo
	ds_write2_b32 v2, v6, v5 offset1:1
	ds_write2_b32 v2, v9, v8 offset0:2 offset1:3
	; wave barrier
	v_cmpx_lt_u32_e64 v7, v3
	s_cbranch_execz .LBB16_52
; %bb.49:
	s_mov_b32 s1, 0
	.p2align	6
.LBB16_50:                              ; =>This Inner Loop Header: Depth=1
	v_sub_nc_u32_e32 v5, v3, v7
	v_lshrrev_b32_e32 v5, 1, v5
	v_add_nc_u32_e32 v5, v5, v7
	v_not_b32_e32 v6, v5
	v_lshl_add_u32 v8, v5, 2, v0
	v_add_nc_u32_e32 v9, 1, v5
	v_lshl_add_u32 v6, v6, 2, v2
	ds_read_b32 v8, v8
	ds_read_b32 v6, v6 offset:128
	s_waitcnt lgkmcnt(0)
	v_cmp_lt_i32_e32 vcc_lo, v6, v8
	v_cndmask_b32_e32 v3, v3, v5, vcc_lo
	v_cndmask_b32_e32 v7, v9, v7, vcc_lo
	v_cmp_ge_i32_e32 vcc_lo, v7, v3
	s_or_b32 s1, vcc_lo, s1
	s_andn2_b32 exec_lo, exec_lo, s1
	s_cbranch_execnz .LBB16_50
; %bb.51:
	s_or_b32 exec_lo, exec_lo, s1
.LBB16_52:
	s_or_b32 exec_lo, exec_lo, s0
	v_sub_nc_u32_e32 v1, v1, v7
	v_lshl_add_u32 v6, v7, 2, v0
	v_cmp_lt_i32_e32 vcc_lo, 31, v7
	v_lshl_add_u32 v8, v1, 2, v0
	v_add_nc_u32_e32 v2, 32, v1
                                        ; implicit-def: $vgpr1
	ds_read_b32 v3, v6
	ds_read_b32 v5, v8 offset:128
	v_cmp_gt_i32_e64 s1, 64, v2
	s_waitcnt lgkmcnt(0)
	v_cmp_lt_i32_e64 s0, v5, v3
	s_or_b32 s0, vcc_lo, s0
	s_and_b32 vcc_lo, s1, s0
	s_xor_b32 s0, vcc_lo, -1
	s_and_saveexec_b32 s1, s0
	s_xor_b32 s0, exec_lo, s1
; %bb.53:
	ds_read_b32 v1, v6 offset:4
                                        ; implicit-def: $vgpr8
; %bb.54:
	s_or_saveexec_b32 s0, s0
	v_mov_b32_e32 v6, v5
	s_xor_b32 exec_lo, exec_lo, s0
	s_cbranch_execz .LBB16_56
; %bb.55:
	ds_read_b32 v6, v8 offset:132
	s_waitcnt lgkmcnt(1)
	v_mov_b32_e32 v1, v3
.LBB16_56:
	s_or_b32 exec_lo, exec_lo, s0
	v_add_nc_u32_e32 v8, 1, v7
	v_add_nc_u32_e32 v10, 1, v2
	s_waitcnt lgkmcnt(0)
	v_cmp_lt_i32_e64 s1, v6, v1
	v_cndmask_b32_e32 v9, v8, v7, vcc_lo
	v_cndmask_b32_e32 v2, v2, v10, vcc_lo
                                        ; implicit-def: $vgpr8
	v_cmp_lt_i32_e64 s0, 31, v9
	v_cmp_gt_i32_e64 s2, 64, v2
	s_or_b32 s0, s0, s1
	s_and_b32 s0, s2, s0
	s_xor_b32 s1, s0, -1
	s_and_saveexec_b32 s2, s1
	s_xor_b32 s1, exec_lo, s2
; %bb.57:
	v_lshl_add_u32 v7, v9, 2, v0
	ds_read_b32 v8, v7 offset:4
; %bb.58:
	s_or_saveexec_b32 s1, s1
	v_mov_b32_e32 v7, v6
	s_xor_b32 exec_lo, exec_lo, s1
	s_cbranch_execz .LBB16_60
; %bb.59:
	v_lshl_add_u32 v7, v2, 2, v0
	s_waitcnt lgkmcnt(0)
	v_mov_b32_e32 v8, v1
	ds_read_b32 v7, v7 offset:4
.LBB16_60:
	s_or_b32 exec_lo, exec_lo, s1
	v_add_nc_u32_e32 v10, 1, v9
	v_add_nc_u32_e32 v12, 1, v2
	s_waitcnt lgkmcnt(0)
	v_cmp_ge_i32_e64 s2, v7, v8
	v_cndmask_b32_e64 v11, v10, v9, s0
	v_cndmask_b32_e64 v9, v2, v12, s0
                                        ; implicit-def: $vgpr10
                                        ; implicit-def: $vgpr12
	v_cmp_gt_i32_e64 s1, 32, v11
	v_cmp_lt_i32_e64 s3, 63, v9
	s_and_b32 s1, s1, s2
	s_or_b32 s1, s3, s1
	s_and_saveexec_b32 s2, s1
	s_xor_b32 s1, exec_lo, s2
; %bb.61:
	v_lshl_add_u32 v0, v11, 2, v0
	v_add_nc_u32_e32 v12, 1, v11
                                        ; implicit-def: $vgpr11
	ds_read_b32 v10, v0 offset:4
                                        ; implicit-def: $vgpr0
; %bb.62:
	s_or_saveexec_b32 s1, s1
	v_mov_b32_e32 v2, v8
	s_xor_b32 exec_lo, exec_lo, s1
	s_cbranch_execz .LBB16_64
; %bb.63:
	v_lshl_add_u32 v0, v9, 2, v0
	v_add_nc_u32_e32 v9, 1, v9
	v_mov_b32_e32 v2, v7
	v_mov_b32_e32 v12, v11
	s_waitcnt lgkmcnt(0)
	v_mov_b32_e32 v10, v8
	ds_read_b32 v0, v0 offset:4
	s_waitcnt lgkmcnt(0)
	v_mov_b32_e32 v7, v0
.LBB16_64:
	s_or_b32 exec_lo, exec_lo, s1
	v_cmp_lt_i32_e64 s1, 31, v12
	s_waitcnt lgkmcnt(0)
	v_cmp_lt_i32_e64 s2, v7, v10
	v_cmp_gt_i32_e64 s3, 64, v9
	v_cndmask_b32_e64 v1, v1, v6, s0
	v_cndmask_b32_e32 v0, v3, v5, vcc_lo
	v_lshlrev_b32_e32 v4, 2, v4
	s_or_b32 s0, s1, s2
	s_and_b32 vcc_lo, s3, s0
	s_add_u32 s0, s10, s4
	v_cndmask_b32_e32 v3, v10, v7, vcc_lo
	s_addc_u32 s1, s11, s5
	global_store_dwordx4 v4, v[0:3], s[0:1]
	s_endpgm
	.section	.rodata,"a",@progbits
	.p2align	6, 0x0
	.amdhsa_kernel _Z9sort_keysILj256ELj16ELj4EiN10test_utils4lessEEvPKT2_PS2_T3_
		.amdhsa_group_segment_fixed_size 4160
		.amdhsa_private_segment_fixed_size 0
		.amdhsa_kernarg_size 20
		.amdhsa_user_sgpr_count 6
		.amdhsa_user_sgpr_private_segment_buffer 1
		.amdhsa_user_sgpr_dispatch_ptr 0
		.amdhsa_user_sgpr_queue_ptr 0
		.amdhsa_user_sgpr_kernarg_segment_ptr 1
		.amdhsa_user_sgpr_dispatch_id 0
		.amdhsa_user_sgpr_flat_scratch_init 0
		.amdhsa_user_sgpr_private_segment_size 0
		.amdhsa_wavefront_size32 1
		.amdhsa_uses_dynamic_stack 0
		.amdhsa_system_sgpr_private_segment_wavefront_offset 0
		.amdhsa_system_sgpr_workgroup_id_x 1
		.amdhsa_system_sgpr_workgroup_id_y 0
		.amdhsa_system_sgpr_workgroup_id_z 0
		.amdhsa_system_sgpr_workgroup_info 0
		.amdhsa_system_vgpr_workitem_id 0
		.amdhsa_next_free_vgpr 21
		.amdhsa_next_free_sgpr 12
		.amdhsa_reserve_vcc 1
		.amdhsa_reserve_flat_scratch 0
		.amdhsa_float_round_mode_32 0
		.amdhsa_float_round_mode_16_64 0
		.amdhsa_float_denorm_mode_32 3
		.amdhsa_float_denorm_mode_16_64 3
		.amdhsa_dx10_clamp 1
		.amdhsa_ieee_mode 1
		.amdhsa_fp16_overflow 0
		.amdhsa_workgroup_processor_mode 1
		.amdhsa_memory_ordered 1
		.amdhsa_forward_progress 1
		.amdhsa_shared_vgpr_count 0
		.amdhsa_exception_fp_ieee_invalid_op 0
		.amdhsa_exception_fp_denorm_src 0
		.amdhsa_exception_fp_ieee_div_zero 0
		.amdhsa_exception_fp_ieee_overflow 0
		.amdhsa_exception_fp_ieee_underflow 0
		.amdhsa_exception_fp_ieee_inexact 0
		.amdhsa_exception_int_div_zero 0
	.end_amdhsa_kernel
	.section	.text._Z9sort_keysILj256ELj16ELj4EiN10test_utils4lessEEvPKT2_PS2_T3_,"axG",@progbits,_Z9sort_keysILj256ELj16ELj4EiN10test_utils4lessEEvPKT2_PS2_T3_,comdat
.Lfunc_end16:
	.size	_Z9sort_keysILj256ELj16ELj4EiN10test_utils4lessEEvPKT2_PS2_T3_, .Lfunc_end16-_Z9sort_keysILj256ELj16ELj4EiN10test_utils4lessEEvPKT2_PS2_T3_
                                        ; -- End function
	.set _Z9sort_keysILj256ELj16ELj4EiN10test_utils4lessEEvPKT2_PS2_T3_.num_vgpr, 21
	.set _Z9sort_keysILj256ELj16ELj4EiN10test_utils4lessEEvPKT2_PS2_T3_.num_agpr, 0
	.set _Z9sort_keysILj256ELj16ELj4EiN10test_utils4lessEEvPKT2_PS2_T3_.numbered_sgpr, 12
	.set _Z9sort_keysILj256ELj16ELj4EiN10test_utils4lessEEvPKT2_PS2_T3_.num_named_barrier, 0
	.set _Z9sort_keysILj256ELj16ELj4EiN10test_utils4lessEEvPKT2_PS2_T3_.private_seg_size, 0
	.set _Z9sort_keysILj256ELj16ELj4EiN10test_utils4lessEEvPKT2_PS2_T3_.uses_vcc, 1
	.set _Z9sort_keysILj256ELj16ELj4EiN10test_utils4lessEEvPKT2_PS2_T3_.uses_flat_scratch, 0
	.set _Z9sort_keysILj256ELj16ELj4EiN10test_utils4lessEEvPKT2_PS2_T3_.has_dyn_sized_stack, 0
	.set _Z9sort_keysILj256ELj16ELj4EiN10test_utils4lessEEvPKT2_PS2_T3_.has_recursion, 0
	.set _Z9sort_keysILj256ELj16ELj4EiN10test_utils4lessEEvPKT2_PS2_T3_.has_indirect_call, 0
	.section	.AMDGPU.csdata,"",@progbits
; Kernel info:
; codeLenInByte = 2940
; TotalNumSgprs: 14
; NumVgprs: 21
; ScratchSize: 0
; MemoryBound: 0
; FloatMode: 240
; IeeeMode: 1
; LDSByteSize: 4160 bytes/workgroup (compile time only)
; SGPRBlocks: 0
; VGPRBlocks: 2
; NumSGPRsForWavesPerEU: 14
; NumVGPRsForWavesPerEU: 21
; Occupancy: 16
; WaveLimiterHint : 0
; COMPUTE_PGM_RSRC2:SCRATCH_EN: 0
; COMPUTE_PGM_RSRC2:USER_SGPR: 6
; COMPUTE_PGM_RSRC2:TRAP_HANDLER: 0
; COMPUTE_PGM_RSRC2:TGID_X_EN: 1
; COMPUTE_PGM_RSRC2:TGID_Y_EN: 0
; COMPUTE_PGM_RSRC2:TGID_Z_EN: 0
; COMPUTE_PGM_RSRC2:TIDIG_COMP_CNT: 0
	.section	.text._Z10sort_pairsILj256ELj16ELj4EiN10test_utils4lessEEvPKT2_PS2_T3_,"axG",@progbits,_Z10sort_pairsILj256ELj16ELj4EiN10test_utils4lessEEvPKT2_PS2_T3_,comdat
	.protected	_Z10sort_pairsILj256ELj16ELj4EiN10test_utils4lessEEvPKT2_PS2_T3_ ; -- Begin function _Z10sort_pairsILj256ELj16ELj4EiN10test_utils4lessEEvPKT2_PS2_T3_
	.globl	_Z10sort_pairsILj256ELj16ELj4EiN10test_utils4lessEEvPKT2_PS2_T3_
	.p2align	8
	.type	_Z10sort_pairsILj256ELj16ELj4EiN10test_utils4lessEEvPKT2_PS2_T3_,@function
_Z10sort_pairsILj256ELj16ELj4EiN10test_utils4lessEEvPKT2_PS2_T3_: ; @_Z10sort_pairsILj256ELj16ELj4EiN10test_utils4lessEEvPKT2_PS2_T3_
; %bb.0:
	s_load_dwordx4 s[8:11], s[4:5], 0x0
	s_mov_b32 s7, 0
	s_lshl_b32 s6, s6, 10
	v_lshlrev_b32_e32 v1, 4, v0
	s_lshl_b64 s[12:13], s[6:7], 2
	v_mbcnt_lo_u32_b32 v7, -1, 0
	v_lshlrev_b32_e32 v5, 2, v0
	v_lshrrev_b32_e32 v6, 4, v0
	v_mov_b32_e32 v14, 0
	s_mov_b32 s6, exec_lo
	v_lshlrev_b32_e32 v8, 2, v7
	v_and_b32_e32 v17, 56, v8
	v_and_b32_e32 v7, 60, v8
	;; [unrolled: 1-line block ×3, first 2 shown]
	s_waitcnt lgkmcnt(0)
	s_add_u32 s0, s8, s12
	s_addc_u32 s1, s9, s13
	v_lshlrev_b32_e32 v16, 2, v7
	global_load_dwordx4 v[1:4], v1, s[0:1]
	; wave barrier
	s_waitcnt vmcnt(0)
	v_cmp_lt_i32_e32 vcc_lo, v2, v1
	v_cmp_lt_i32_e64 s0, v4, v3
	v_min_i32_e32 v9, v4, v3
	v_cndmask_b32_e32 v10, v2, v1, vcc_lo
	v_cndmask_b32_e32 v0, v1, v2, vcc_lo
	v_cndmask_b32_e64 v13, v3, v4, s0
	v_cndmask_b32_e64 v11, v4, v3, s0
	v_cmp_lt_i32_e64 s4, v9, v10
	v_min_i32_e32 v15, v9, v10
	v_cndmask_b32_e64 v13, v13, v10, s4
	v_cndmask_b32_e64 v10, v10, v9, s4
	v_cmp_lt_i32_e64 s1, v15, v0
	v_or_b32_e32 v9, 4, v17
	v_cmp_lt_i32_e64 s2, v11, v13
	v_min_i32_e32 v18, v11, v13
	v_cndmask_b32_e64 v19, v10, v0, s1
	v_lshlrev_b32_e32 v10, 2, v17
	v_sub_nc_u32_e32 v20, v9, v17
	v_cndmask_b32_e64 v21, v11, v13, s2
	v_cndmask_b32_e64 v13, v13, v11, s2
	v_cmp_lt_i32_e64 s3, v18, v19
	v_cndmask_b32_e64 v15, v0, v15, s1
	v_mad_u32_u24 v0, 0x104, v6, v16
	v_mad_u32_u24 v10, 0x104, v6, v10
	v_min_i32_e32 v11, v12, v20
	v_cndmask_b32_e64 v13, v13, v19, s3
	v_cndmask_b32_e64 v16, v19, v18, s3
	ds_write2_b32 v0, v13, v21 offset0:2 offset1:3
	ds_write2_b32 v0, v15, v16 offset1:1
	; wave barrier
	v_cmpx_lt_i32_e32 0, v11
	s_cbranch_execz .LBB17_4
; %bb.1:
	v_lshl_add_u32 v13, v12, 2, v10
	v_mov_b32_e32 v14, 0
	.p2align	6
.LBB17_2:                               ; =>This Inner Loop Header: Depth=1
	v_sub_nc_u32_e32 v15, v11, v14
	v_lshrrev_b32_e32 v15, 1, v15
	v_add_nc_u32_e32 v15, v15, v14
	v_not_b32_e32 v16, v15
	v_lshl_add_u32 v18, v15, 2, v10
	v_add_nc_u32_e32 v19, 1, v15
	v_lshl_add_u32 v16, v16, 2, v13
	ds_read_b32 v18, v18
	ds_read_b32 v16, v16 offset:16
	s_waitcnt lgkmcnt(0)
	v_cmp_lt_i32_e64 s5, v16, v18
	v_cndmask_b32_e64 v11, v11, v15, s5
	v_cndmask_b32_e64 v14, v19, v14, s5
	v_cmp_ge_i32_e64 s5, v14, v11
	s_or_b32 s7, s5, s7
	s_andn2_b32 exec_lo, exec_lo, s7
	s_cbranch_execnz .LBB17_2
; %bb.3:
	s_or_b32 exec_lo, exec_lo, s7
.LBB17_4:
	s_or_b32 exec_lo, exec_lo, s6
	v_add_nc_u32_e32 v11, v17, v12
	v_mul_u32_u24_e32 v6, 0x104, v6
	v_lshl_add_u32 v13, v14, 2, v10
	v_add_nc_u32_e32 v12, v9, v12
	v_add_nc_u32_e32 v15, 8, v17
	v_sub_nc_u32_e32 v11, v11, v14
	v_cmp_lt_i32_e64 s5, 3, v14
	v_sub_nc_u32_e32 v16, v12, v14
                                        ; implicit-def: $vgpr12
	v_lshl_add_u32 v18, v11, 2, v6
	ds_read_b32 v10, v13
	ds_read_b32 v11, v18 offset:16
	v_cmp_gt_i32_e64 s7, v15, v16
	s_waitcnt lgkmcnt(0)
	v_cmp_lt_i32_e64 s6, v11, v10
	s_or_b32 s5, s5, s6
	s_and_b32 s5, s7, s5
	s_xor_b32 s6, s5, -1
	s_and_saveexec_b32 s7, s6
	s_xor_b32 s6, exec_lo, s7
; %bb.5:
	ds_read_b32 v12, v13 offset:4
                                        ; implicit-def: $vgpr18
; %bb.6:
	s_or_saveexec_b32 s6, s6
	v_mov_b32_e32 v13, v11
	s_xor_b32 exec_lo, exec_lo, s6
	s_cbranch_execz .LBB17_8
; %bb.7:
	ds_read_b32 v13, v18 offset:20
	s_waitcnt lgkmcnt(1)
	v_mov_b32_e32 v12, v10
.LBB17_8:
	s_or_b32 exec_lo, exec_lo, s6
	v_add_nc_u32_e32 v18, v14, v17
	v_add_nc_u32_e32 v17, 1, v16
	s_waitcnt lgkmcnt(0)
	v_cmp_lt_i32_e64 s7, v13, v12
	v_add_nc_u32_e32 v14, 1, v18
	v_cndmask_b32_e64 v20, v16, v17, s5
	v_cndmask_b32_e64 v19, v14, v18, s5
	v_cmp_lt_i32_e64 s8, v20, v15
                                        ; implicit-def: $vgpr14
	v_cmp_ge_i32_e64 s6, v19, v9
	s_or_b32 s6, s6, s7
	s_and_b32 s6, s8, s6
	s_xor_b32 s7, s6, -1
	s_and_saveexec_b32 s8, s7
	s_xor_b32 s7, exec_lo, s8
; %bb.9:
	v_lshl_add_u32 v14, v19, 2, v6
	ds_read_b32 v14, v14 offset:4
; %bb.10:
	s_or_saveexec_b32 s7, s7
	v_mov_b32_e32 v17, v13
	s_xor_b32 exec_lo, exec_lo, s7
	s_cbranch_execz .LBB17_12
; %bb.11:
	s_waitcnt lgkmcnt(0)
	v_lshl_add_u32 v14, v20, 2, v6
	ds_read_b32 v17, v14 offset:4
	v_mov_b32_e32 v14, v12
.LBB17_12:
	s_or_b32 exec_lo, exec_lo, s7
	v_add_nc_u32_e32 v21, 1, v19
	v_add_nc_u32_e32 v23, 1, v20
	s_waitcnt lgkmcnt(0)
	v_cmp_lt_i32_e64 s8, v17, v14
	v_cndmask_b32_e64 v22, v21, v19, s6
	v_cndmask_b32_e64 v23, v20, v23, s6
                                        ; implicit-def: $vgpr21
	v_cmp_ge_i32_e64 s7, v22, v9
	v_cmp_lt_i32_e64 s9, v23, v15
	s_or_b32 s7, s7, s8
	s_and_b32 s7, s9, s7
	s_xor_b32 s8, s7, -1
	s_and_saveexec_b32 s9, s8
	s_xor_b32 s8, exec_lo, s9
; %bb.13:
	v_lshl_add_u32 v21, v22, 2, v6
	ds_read_b32 v21, v21 offset:4
; %bb.14:
	s_or_saveexec_b32 s8, s8
	v_mov_b32_e32 v24, v17
	s_xor_b32 exec_lo, exec_lo, s8
	s_cbranch_execz .LBB17_16
; %bb.15:
	s_waitcnt lgkmcnt(0)
	v_lshl_add_u32 v21, v23, 2, v6
	ds_read_b32 v24, v21 offset:4
	v_mov_b32_e32 v21, v14
.LBB17_16:
	s_or_b32 exec_lo, exec_lo, s8
	v_add_nc_u32_e32 v1, 1, v1
	v_add_nc_u32_e32 v2, 1, v2
	v_add_nc_u32_e32 v3, 1, v3
	v_add_nc_u32_e32 v4, 1, v4
	v_add_nc_u32_e32 v26, 1, v22
	v_add_nc_u32_e32 v25, 1, v23
	v_cndmask_b32_e32 v27, v2, v1, vcc_lo
	v_cndmask_b32_e32 v1, v1, v2, vcc_lo
	v_cndmask_b32_e64 v28, v3, v4, s0
	v_cndmask_b32_e64 v26, v26, v22, s7
	;; [unrolled: 1-line block ×4, first 2 shown]
	s_waitcnt lgkmcnt(0)
	v_cmp_lt_i32_e64 s0, v24, v21
	v_cndmask_b32_e64 v3, v27, v28, s4
	v_cndmask_b32_e64 v4, v28, v27, s4
	v_cmp_ge_i32_e32 vcc_lo, v26, v9
	v_cndmask_b32_e64 v19, v19, v20, s6
	v_cndmask_b32_e64 v16, v18, v16, s5
	;; [unrolled: 1-line block ×5, first 2 shown]
	v_cmp_lt_i32_e64 s1, v25, v15
	s_or_b32 s0, vcc_lo, s0
	v_cndmask_b32_e64 v2, v2, v4, s2
	v_cndmask_b32_e64 v4, v18, v20, s3
	v_cndmask_b32_e64 v3, v20, v18, s3
	s_and_b32 vcc_lo, s1, s0
	v_cndmask_b32_e64 v22, v22, v23, s7
	v_cndmask_b32_e32 v9, v26, v25, vcc_lo
	; wave barrier
	ds_write2_b32 v0, v1, v4 offset1:1
	ds_write2_b32 v0, v3, v2 offset0:2 offset1:3
	v_lshl_add_u32 v1, v16, 2, v6
	v_lshl_add_u32 v2, v19, 2, v6
	;; [unrolled: 1-line block ×4, first 2 shown]
	; wave barrier
	ds_read_b32 v1, v1
	ds_read_b32 v2, v2
	ds_read_b32 v3, v3
	ds_read_b32 v4, v4
	v_and_b32_e32 v16, 48, v8
	v_and_b32_e32 v15, 12, v8
	v_cndmask_b32_e64 v14, v14, v17, s7
	v_cndmask_b32_e64 v13, v12, v13, s6
	;; [unrolled: 1-line block ×3, first 2 shown]
	v_or_b32_e32 v9, 8, v16
	v_sub_nc_u32_e64 v17, v15, 8 clamp
	v_lshl_add_u32 v10, v16, 2, v6
	v_cndmask_b32_e32 v18, v21, v24, vcc_lo
	s_mov_b32 s0, exec_lo
	v_sub_nc_u32_e32 v19, v9, v16
	; wave barrier
	ds_write2_b32 v0, v11, v13 offset1:1
	ds_write2_b32 v0, v14, v18 offset0:2 offset1:3
	v_min_i32_e32 v12, v15, v19
	; wave barrier
	v_cmpx_lt_i32_e64 v17, v12
	s_cbranch_execz .LBB17_20
; %bb.17:
	v_lshl_add_u32 v11, v15, 2, v10
	s_mov_b32 s1, 0
	.p2align	6
.LBB17_18:                              ; =>This Inner Loop Header: Depth=1
	v_sub_nc_u32_e32 v13, v12, v17
	v_lshrrev_b32_e32 v13, 1, v13
	v_add_nc_u32_e32 v13, v13, v17
	v_not_b32_e32 v14, v13
	v_lshl_add_u32 v18, v13, 2, v10
	v_add_nc_u32_e32 v19, 1, v13
	v_lshl_add_u32 v14, v14, 2, v11
	ds_read_b32 v18, v18
	ds_read_b32 v14, v14 offset:32
	s_waitcnt lgkmcnt(0)
	v_cmp_lt_i32_e32 vcc_lo, v14, v18
	v_cndmask_b32_e32 v12, v12, v13, vcc_lo
	v_cndmask_b32_e32 v17, v19, v17, vcc_lo
	v_cmp_ge_i32_e32 vcc_lo, v17, v12
	s_or_b32 s1, vcc_lo, s1
	s_andn2_b32 exec_lo, exec_lo, s1
	s_cbranch_execnz .LBB17_18
; %bb.19:
	s_or_b32 exec_lo, exec_lo, s1
.LBB17_20:
	s_or_b32 exec_lo, exec_lo, s0
	v_add_nc_u32_e32 v11, v16, v15
	v_lshl_add_u32 v13, v17, 2, v10
	v_add_nc_u32_e32 v12, v9, v15
	v_add_nc_u32_e32 v14, 16, v16
	v_cmp_lt_i32_e32 vcc_lo, 7, v17
	v_sub_nc_u32_e32 v11, v11, v17
	v_sub_nc_u32_e32 v15, v12, v17
                                        ; implicit-def: $vgpr12
	v_lshl_add_u32 v18, v11, 2, v6
	ds_read_b32 v10, v13
	ds_read_b32 v11, v18 offset:32
	v_cmp_gt_i32_e64 s1, v14, v15
	s_waitcnt lgkmcnt(0)
	v_cmp_lt_i32_e64 s0, v11, v10
	s_or_b32 s0, vcc_lo, s0
	s_and_b32 vcc_lo, s1, s0
	s_xor_b32 s0, vcc_lo, -1
	s_and_saveexec_b32 s1, s0
	s_xor_b32 s0, exec_lo, s1
; %bb.21:
	ds_read_b32 v12, v13 offset:4
                                        ; implicit-def: $vgpr18
; %bb.22:
	s_or_saveexec_b32 s0, s0
	v_mov_b32_e32 v13, v11
	s_xor_b32 exec_lo, exec_lo, s0
	s_cbranch_execz .LBB17_24
; %bb.23:
	ds_read_b32 v13, v18 offset:36
	s_waitcnt lgkmcnt(1)
	v_mov_b32_e32 v12, v10
.LBB17_24:
	s_or_b32 exec_lo, exec_lo, s0
	v_add_nc_u32_e32 v18, v17, v16
	v_add_nc_u32_e32 v17, 1, v15
	s_waitcnt lgkmcnt(0)
	v_cmp_lt_i32_e64 s1, v13, v12
	v_add_nc_u32_e32 v16, 1, v18
	v_cndmask_b32_e32 v20, v15, v17, vcc_lo
	v_cndmask_b32_e32 v19, v16, v18, vcc_lo
	v_cmp_lt_i32_e64 s2, v20, v14
                                        ; implicit-def: $vgpr16
	v_cmp_ge_i32_e64 s0, v19, v9
	s_or_b32 s0, s0, s1
	s_and_b32 s0, s2, s0
	s_xor_b32 s1, s0, -1
	s_and_saveexec_b32 s2, s1
	s_xor_b32 s1, exec_lo, s2
; %bb.25:
	v_lshl_add_u32 v16, v19, 2, v6
	ds_read_b32 v16, v16 offset:4
; %bb.26:
	s_or_saveexec_b32 s1, s1
	v_mov_b32_e32 v17, v13
	s_xor_b32 exec_lo, exec_lo, s1
	s_cbranch_execz .LBB17_28
; %bb.27:
	s_waitcnt lgkmcnt(0)
	v_lshl_add_u32 v16, v20, 2, v6
	ds_read_b32 v17, v16 offset:4
	v_mov_b32_e32 v16, v12
.LBB17_28:
	s_or_b32 exec_lo, exec_lo, s1
	v_add_nc_u32_e32 v21, 1, v19
	v_add_nc_u32_e32 v22, 1, v20
	s_waitcnt lgkmcnt(0)
	v_cmp_lt_i32_e64 s2, v17, v16
	v_cndmask_b32_e64 v23, v21, v19, s0
	v_cndmask_b32_e64 v22, v20, v22, s0
                                        ; implicit-def: $vgpr21
	v_cmp_ge_i32_e64 s1, v23, v9
	v_cmp_lt_i32_e64 s3, v22, v14
	s_or_b32 s1, s1, s2
	s_and_b32 s1, s3, s1
	s_xor_b32 s2, s1, -1
	s_and_saveexec_b32 s3, s2
	s_xor_b32 s2, exec_lo, s3
; %bb.29:
	v_lshl_add_u32 v21, v23, 2, v6
	ds_read_b32 v21, v21 offset:4
; %bb.30:
	s_or_saveexec_b32 s2, s2
	v_mov_b32_e32 v24, v17
	s_xor_b32 exec_lo, exec_lo, s2
	s_cbranch_execz .LBB17_32
; %bb.31:
	s_waitcnt lgkmcnt(0)
	v_lshl_add_u32 v21, v22, 2, v6
	ds_read_b32 v24, v21 offset:4
	v_mov_b32_e32 v21, v16
.LBB17_32:
	s_or_b32 exec_lo, exec_lo, s2
	v_add_nc_u32_e32 v25, 1, v23
	v_add_nc_u32_e32 v26, 1, v22
	v_cndmask_b32_e64 v19, v19, v20, s0
	v_cndmask_b32_e32 v15, v18, v15, vcc_lo
	s_waitcnt lgkmcnt(0)
	v_cmp_lt_i32_e64 s2, v24, v21
	v_cndmask_b32_e64 v20, v25, v23, s1
	v_cndmask_b32_e64 v18, v22, v26, s1
	;; [unrolled: 1-line block ×3, first 2 shown]
	; wave barrier
	v_cmp_ge_i32_e64 s3, v20, v9
	v_cmp_lt_i32_e64 s4, v18, v14
	ds_write2_b32 v0, v1, v2 offset1:1
	ds_write2_b32 v0, v3, v4 offset0:2 offset1:3
	v_lshl_add_u32 v2, v15, 2, v6
	v_lshl_add_u32 v4, v19, 2, v6
	s_or_b32 s2, s3, s2
	v_lshl_add_u32 v9, v27, 2, v6
	s_and_b32 s2, s4, s2
	v_cndmask_b32_e64 v1, v20, v18, s2
	; wave barrier
	v_and_b32_e32 v15, 32, v8
	v_and_b32_e32 v8, 28, v8
	v_cndmask_b32_e64 v17, v16, v17, s1
	v_lshl_add_u32 v18, v1, 2, v6
	v_cndmask_b32_e64 v13, v12, v13, s0
	ds_read_b32 v3, v2
	ds_read_b32 v4, v4
	;; [unrolled: 1-line block ×4, first 2 shown]
	v_or_b32_e32 v9, 16, v15
	v_sub_nc_u32_e64 v16, v8, 16 clamp
	v_cndmask_b32_e32 v11, v10, v11, vcc_lo
	v_lshl_add_u32 v10, v15, 2, v6
	v_cndmask_b32_e64 v14, v21, v24, s2
	v_sub_nc_u32_e32 v18, v9, v15
	s_mov_b32 s0, exec_lo
	; wave barrier
	ds_write2_b32 v0, v11, v13 offset1:1
	ds_write2_b32 v0, v17, v14 offset0:2 offset1:3
	v_min_i32_e32 v12, v8, v18
	; wave barrier
	v_cmpx_lt_i32_e64 v16, v12
	s_cbranch_execz .LBB17_36
; %bb.33:
	v_lshl_add_u32 v11, v8, 2, v10
	s_mov_b32 s1, 0
	.p2align	6
.LBB17_34:                              ; =>This Inner Loop Header: Depth=1
	v_sub_nc_u32_e32 v13, v12, v16
	v_lshrrev_b32_e32 v13, 1, v13
	v_add_nc_u32_e32 v13, v13, v16
	v_not_b32_e32 v14, v13
	v_lshl_add_u32 v17, v13, 2, v10
	v_add_nc_u32_e32 v18, 1, v13
	v_lshl_add_u32 v14, v14, 2, v11
	ds_read_b32 v17, v17
	ds_read_b32 v14, v14 offset:64
	s_waitcnt lgkmcnt(0)
	v_cmp_lt_i32_e32 vcc_lo, v14, v17
	v_cndmask_b32_e32 v12, v12, v13, vcc_lo
	v_cndmask_b32_e32 v16, v18, v16, vcc_lo
	v_cmp_ge_i32_e32 vcc_lo, v16, v12
	s_or_b32 s1, vcc_lo, s1
	s_andn2_b32 exec_lo, exec_lo, s1
	s_cbranch_execnz .LBB17_34
; %bb.35:
	s_or_b32 exec_lo, exec_lo, s1
.LBB17_36:
	s_or_b32 exec_lo, exec_lo, s0
	v_add_nc_u32_e32 v11, v15, v8
	v_lshl_add_u32 v13, v16, 2, v10
	v_add_nc_u32_e32 v8, v9, v8
	v_add_nc_u32_e32 v12, 32, v15
	v_cmp_lt_i32_e32 vcc_lo, 15, v16
	v_sub_nc_u32_e32 v11, v11, v16
	v_sub_nc_u32_e32 v14, v8, v16
                                        ; implicit-def: $vgpr8
	v_lshl_add_u32 v17, v11, 2, v6
	ds_read_b32 v10, v13
	ds_read_b32 v11, v17 offset:64
	v_cmp_gt_i32_e64 s1, v12, v14
	s_waitcnt lgkmcnt(0)
	v_cmp_lt_i32_e64 s0, v11, v10
	s_or_b32 s0, vcc_lo, s0
	s_and_b32 vcc_lo, s1, s0
	s_xor_b32 s0, vcc_lo, -1
	s_and_saveexec_b32 s1, s0
	s_xor_b32 s0, exec_lo, s1
; %bb.37:
	ds_read_b32 v8, v13 offset:4
                                        ; implicit-def: $vgpr17
; %bb.38:
	s_or_saveexec_b32 s0, s0
	v_mov_b32_e32 v13, v11
	s_xor_b32 exec_lo, exec_lo, s0
	s_cbranch_execz .LBB17_40
; %bb.39:
	ds_read_b32 v13, v17 offset:68
	s_waitcnt lgkmcnt(1)
	v_mov_b32_e32 v8, v10
.LBB17_40:
	s_or_b32 exec_lo, exec_lo, s0
	v_add_nc_u32_e32 v17, v16, v15
	v_add_nc_u32_e32 v16, 1, v14
	s_waitcnt lgkmcnt(0)
	v_cmp_lt_i32_e64 s1, v13, v8
	v_add_nc_u32_e32 v15, 1, v17
	v_cndmask_b32_e32 v19, v14, v16, vcc_lo
	v_cndmask_b32_e32 v18, v15, v17, vcc_lo
	v_cmp_lt_i32_e64 s2, v19, v12
                                        ; implicit-def: $vgpr15
	v_cmp_ge_i32_e64 s0, v18, v9
	s_or_b32 s0, s0, s1
	s_and_b32 s0, s2, s0
	s_xor_b32 s1, s0, -1
	s_and_saveexec_b32 s2, s1
	s_xor_b32 s1, exec_lo, s2
; %bb.41:
	v_lshl_add_u32 v15, v18, 2, v6
	ds_read_b32 v15, v15 offset:4
; %bb.42:
	s_or_saveexec_b32 s1, s1
	v_mov_b32_e32 v16, v13
	s_xor_b32 exec_lo, exec_lo, s1
	s_cbranch_execz .LBB17_44
; %bb.43:
	s_waitcnt lgkmcnt(0)
	v_lshl_add_u32 v15, v19, 2, v6
	ds_read_b32 v16, v15 offset:4
	v_mov_b32_e32 v15, v8
.LBB17_44:
	s_or_b32 exec_lo, exec_lo, s1
	v_add_nc_u32_e32 v20, 1, v18
	v_add_nc_u32_e32 v21, 1, v19
	s_waitcnt lgkmcnt(0)
	v_cmp_lt_i32_e64 s2, v16, v15
	v_cndmask_b32_e64 v22, v20, v18, s0
	v_cndmask_b32_e64 v21, v19, v21, s0
                                        ; implicit-def: $vgpr20
	v_cmp_ge_i32_e64 s1, v22, v9
	v_cmp_lt_i32_e64 s3, v21, v12
	s_or_b32 s1, s1, s2
	s_and_b32 s1, s3, s1
	s_xor_b32 s2, s1, -1
	s_and_saveexec_b32 s3, s2
	s_xor_b32 s2, exec_lo, s3
; %bb.45:
	v_lshl_add_u32 v20, v22, 2, v6
	ds_read_b32 v20, v20 offset:4
; %bb.46:
	s_or_saveexec_b32 s2, s2
	v_mov_b32_e32 v23, v16
	s_xor_b32 exec_lo, exec_lo, s2
	s_cbranch_execz .LBB17_48
; %bb.47:
	s_waitcnt lgkmcnt(0)
	v_lshl_add_u32 v20, v21, 2, v6
	ds_read_b32 v23, v20 offset:4
	v_mov_b32_e32 v20, v15
.LBB17_48:
	s_or_b32 exec_lo, exec_lo, s2
	v_add_nc_u32_e32 v24, 1, v22
	v_add_nc_u32_e32 v25, 1, v21
	s_waitcnt lgkmcnt(0)
	v_cmp_lt_i32_e64 s2, v23, v20
	v_cndmask_b32_e64 v18, v18, v19, s0
	v_cndmask_b32_e64 v24, v24, v22, s1
	;; [unrolled: 1-line block ×4, first 2 shown]
	; wave barrier
	ds_write2_b32 v0, v3, v4 offset1:1
	v_cmp_ge_i32_e64 s3, v24, v9
	v_cndmask_b32_e32 v9, v17, v14, vcc_lo
	v_cmp_lt_i32_e64 s4, v21, v12
	ds_write2_b32 v0, v1, v2 offset0:2 offset1:3
	v_lshl_add_u32 v2, v18, 2, v6
	s_or_b32 s2, s3, s2
	v_lshl_add_u32 v1, v9, 2, v6
	s_and_b32 s2, s4, s2
	v_lshl_add_u32 v4, v22, 2, v6
	v_cndmask_b32_e64 v3, v24, v21, s2
	; wave barrier
	v_cndmask_b32_e64 v13, v8, v13, s0
	v_sub_nc_u32_e64 v8, v7, 32 clamp
	v_lshl_add_u32 v9, v3, 2, v6
	v_cndmask_b32_e32 v10, v10, v11, vcc_lo
	ds_read_b32 v1, v1
	ds_read_b32 v2, v2
	;; [unrolled: 1-line block ×4, first 2 shown]
	v_min_u32_e32 v9, 32, v7
	v_cndmask_b32_e64 v12, v20, v23, s2
	v_cndmask_b32_e64 v11, v15, v16, s1
	s_mov_b32 s0, exec_lo
	; wave barrier
	ds_write2_b32 v0, v10, v13 offset1:1
	ds_write2_b32 v0, v11, v12 offset0:2 offset1:3
	; wave barrier
	v_cmpx_lt_u32_e64 v8, v9
	s_cbranch_execz .LBB17_52
; %bb.49:
	s_mov_b32 s1, 0
	.p2align	6
.LBB17_50:                              ; =>This Inner Loop Header: Depth=1
	v_sub_nc_u32_e32 v10, v9, v8
	v_lshrrev_b32_e32 v10, 1, v10
	v_add_nc_u32_e32 v10, v10, v8
	v_not_b32_e32 v11, v10
	v_lshl_add_u32 v12, v10, 2, v6
	v_add_nc_u32_e32 v13, 1, v10
	v_lshl_add_u32 v11, v11, 2, v0
	ds_read_b32 v12, v12
	ds_read_b32 v11, v11 offset:128
	s_waitcnt lgkmcnt(0)
	v_cmp_lt_i32_e32 vcc_lo, v11, v12
	v_cndmask_b32_e32 v9, v9, v10, vcc_lo
	v_cndmask_b32_e32 v8, v13, v8, vcc_lo
	v_cmp_ge_i32_e32 vcc_lo, v8, v9
	s_or_b32 s1, vcc_lo, s1
	s_andn2_b32 exec_lo, exec_lo, s1
	s_cbranch_execnz .LBB17_50
; %bb.51:
	s_or_b32 exec_lo, exec_lo, s1
.LBB17_52:
	s_or_b32 exec_lo, exec_lo, s0
	v_sub_nc_u32_e32 v10, v7, v8
	v_lshl_add_u32 v11, v8, 2, v6
	v_cmp_lt_i32_e32 vcc_lo, 31, v8
	v_lshl_add_u32 v13, v10, 2, v6
	v_add_nc_u32_e32 v12, 32, v10
                                        ; implicit-def: $vgpr10
	ds_read_b32 v7, v11
	ds_read_b32 v9, v13 offset:128
	v_cmp_gt_i32_e64 s1, 64, v12
	s_waitcnt lgkmcnt(0)
	v_cmp_lt_i32_e64 s0, v9, v7
	s_or_b32 s0, vcc_lo, s0
	s_and_b32 vcc_lo, s1, s0
	s_xor_b32 s0, vcc_lo, -1
	s_and_saveexec_b32 s1, s0
	s_xor_b32 s0, exec_lo, s1
; %bb.53:
	ds_read_b32 v10, v11 offset:4
                                        ; implicit-def: $vgpr13
; %bb.54:
	s_or_saveexec_b32 s0, s0
	v_mov_b32_e32 v11, v9
	s_xor_b32 exec_lo, exec_lo, s0
	s_cbranch_execz .LBB17_56
; %bb.55:
	ds_read_b32 v11, v13 offset:132
	s_waitcnt lgkmcnt(1)
	v_mov_b32_e32 v10, v7
.LBB17_56:
	s_or_b32 exec_lo, exec_lo, s0
	v_add_nc_u32_e32 v13, 1, v8
	v_add_nc_u32_e32 v14, 1, v12
	s_waitcnt lgkmcnt(0)
	v_cmp_lt_i32_e64 s1, v11, v10
                                        ; implicit-def: $vgpr16
	v_cndmask_b32_e32 v13, v13, v8, vcc_lo
	v_cndmask_b32_e32 v14, v12, v14, vcc_lo
	v_cmp_lt_i32_e64 s0, 31, v13
	v_cmp_gt_i32_e64 s2, 64, v14
	s_or_b32 s0, s0, s1
	s_and_b32 s0, s2, s0
	s_xor_b32 s1, s0, -1
	s_and_saveexec_b32 s2, s1
	s_xor_b32 s1, exec_lo, s2
; %bb.57:
	v_lshl_add_u32 v15, v13, 2, v6
	ds_read_b32 v16, v15 offset:4
; %bb.58:
	s_or_saveexec_b32 s1, s1
	v_mov_b32_e32 v15, v11
	s_xor_b32 exec_lo, exec_lo, s1
	s_cbranch_execz .LBB17_60
; %bb.59:
	v_lshl_add_u32 v15, v14, 2, v6
	s_waitcnt lgkmcnt(0)
	v_mov_b32_e32 v16, v10
	ds_read_b32 v15, v15 offset:4
.LBB17_60:
	s_or_b32 exec_lo, exec_lo, s1
	v_add_nc_u32_e32 v17, 1, v13
	v_add_nc_u32_e32 v18, 1, v14
	s_waitcnt lgkmcnt(0)
	v_cmp_ge_i32_e64 s2, v15, v16
                                        ; implicit-def: $vgpr20
                                        ; implicit-def: $vgpr19
	v_cndmask_b32_e64 v22, v17, v13, s0
	v_cndmask_b32_e64 v17, v14, v18, s0
	v_cmp_gt_i32_e64 s1, 32, v22
	v_cmp_lt_i32_e64 s3, 63, v17
	s_and_b32 s1, s1, s2
	s_or_b32 s1, s3, s1
	s_and_saveexec_b32 s2, s1
	s_xor_b32 s1, exec_lo, s2
; %bb.61:
	v_lshl_add_u32 v18, v22, 2, v6
	v_add_nc_u32_e32 v19, 1, v22
	ds_read_b32 v20, v18 offset:4
; %bb.62:
	s_or_saveexec_b32 s1, s1
	v_mov_b32_e32 v18, v16
	v_mov_b32_e32 v21, v22
	s_xor_b32 exec_lo, exec_lo, s1
	s_cbranch_execz .LBB17_64
; %bb.63:
	v_lshl_add_u32 v18, v17, 2, v6
	s_waitcnt lgkmcnt(0)
	v_add_nc_u32_e32 v20, 1, v17
	v_mov_b32_e32 v21, v17
	v_mov_b32_e32 v19, v22
	ds_read_b32 v23, v18 offset:4
	v_mov_b32_e32 v18, v15
	v_mov_b32_e32 v17, v20
	;; [unrolled: 1-line block ×3, first 2 shown]
	s_waitcnt lgkmcnt(0)
	v_mov_b32_e32 v15, v23
.LBB17_64:
	s_or_b32 exec_lo, exec_lo, s1
	v_cmp_lt_i32_e64 s1, 31, v19
	s_waitcnt lgkmcnt(0)
	v_cmp_lt_i32_e64 s2, v15, v20
	v_cmp_gt_i32_e64 s3, 64, v17
	v_cndmask_b32_e32 v8, v8, v12, vcc_lo
	v_cndmask_b32_e64 v13, v13, v14, s0
	s_or_b32 s1, s1, s2
	; wave barrier
	s_and_b32 s1, s3, s1
	ds_write2_b32 v0, v1, v2 offset1:1
	ds_write2_b32 v0, v3, v4 offset0:2 offset1:3
	v_cndmask_b32_e64 v14, v19, v17, s1
	v_lshl_add_u32 v0, v8, 2, v6
	v_lshl_add_u32 v1, v13, 2, v6
	;; [unrolled: 1-line block ×4, first 2 shown]
	; wave barrier
	ds_read_b32 v0, v0
	ds_read_b32 v1, v1
	;; [unrolled: 1-line block ×4, first 2 shown]
	v_cndmask_b32_e64 v12, v20, v15, s1
	v_cndmask_b32_e32 v4, v7, v9, vcc_lo
	v_cndmask_b32_e64 v6, v10, v11, s0
	s_add_u32 s0, s10, s12
	s_addc_u32 s1, s11, s13
	s_waitcnt lgkmcnt(3)
	v_add_nc_u32_e32 v0, v0, v4
	s_waitcnt lgkmcnt(2)
	v_add_nc_u32_e32 v1, v1, v6
	;; [unrolled: 2-line block ×4, first 2 shown]
	v_lshlrev_b32_e32 v4, 2, v5
	global_store_dwordx4 v4, v[0:3], s[0:1]
	s_endpgm
	.section	.rodata,"a",@progbits
	.p2align	6, 0x0
	.amdhsa_kernel _Z10sort_pairsILj256ELj16ELj4EiN10test_utils4lessEEvPKT2_PS2_T3_
		.amdhsa_group_segment_fixed_size 4160
		.amdhsa_private_segment_fixed_size 0
		.amdhsa_kernarg_size 20
		.amdhsa_user_sgpr_count 6
		.amdhsa_user_sgpr_private_segment_buffer 1
		.amdhsa_user_sgpr_dispatch_ptr 0
		.amdhsa_user_sgpr_queue_ptr 0
		.amdhsa_user_sgpr_kernarg_segment_ptr 1
		.amdhsa_user_sgpr_dispatch_id 0
		.amdhsa_user_sgpr_flat_scratch_init 0
		.amdhsa_user_sgpr_private_segment_size 0
		.amdhsa_wavefront_size32 1
		.amdhsa_uses_dynamic_stack 0
		.amdhsa_system_sgpr_private_segment_wavefront_offset 0
		.amdhsa_system_sgpr_workgroup_id_x 1
		.amdhsa_system_sgpr_workgroup_id_y 0
		.amdhsa_system_sgpr_workgroup_id_z 0
		.amdhsa_system_sgpr_workgroup_info 0
		.amdhsa_system_vgpr_workitem_id 0
		.amdhsa_next_free_vgpr 29
		.amdhsa_next_free_sgpr 14
		.amdhsa_reserve_vcc 1
		.amdhsa_reserve_flat_scratch 0
		.amdhsa_float_round_mode_32 0
		.amdhsa_float_round_mode_16_64 0
		.amdhsa_float_denorm_mode_32 3
		.amdhsa_float_denorm_mode_16_64 3
		.amdhsa_dx10_clamp 1
		.amdhsa_ieee_mode 1
		.amdhsa_fp16_overflow 0
		.amdhsa_workgroup_processor_mode 1
		.amdhsa_memory_ordered 1
		.amdhsa_forward_progress 1
		.amdhsa_shared_vgpr_count 0
		.amdhsa_exception_fp_ieee_invalid_op 0
		.amdhsa_exception_fp_denorm_src 0
		.amdhsa_exception_fp_ieee_div_zero 0
		.amdhsa_exception_fp_ieee_overflow 0
		.amdhsa_exception_fp_ieee_underflow 0
		.amdhsa_exception_fp_ieee_inexact 0
		.amdhsa_exception_int_div_zero 0
	.end_amdhsa_kernel
	.section	.text._Z10sort_pairsILj256ELj16ELj4EiN10test_utils4lessEEvPKT2_PS2_T3_,"axG",@progbits,_Z10sort_pairsILj256ELj16ELj4EiN10test_utils4lessEEvPKT2_PS2_T3_,comdat
.Lfunc_end17:
	.size	_Z10sort_pairsILj256ELj16ELj4EiN10test_utils4lessEEvPKT2_PS2_T3_, .Lfunc_end17-_Z10sort_pairsILj256ELj16ELj4EiN10test_utils4lessEEvPKT2_PS2_T3_
                                        ; -- End function
	.set _Z10sort_pairsILj256ELj16ELj4EiN10test_utils4lessEEvPKT2_PS2_T3_.num_vgpr, 29
	.set _Z10sort_pairsILj256ELj16ELj4EiN10test_utils4lessEEvPKT2_PS2_T3_.num_agpr, 0
	.set _Z10sort_pairsILj256ELj16ELj4EiN10test_utils4lessEEvPKT2_PS2_T3_.numbered_sgpr, 14
	.set _Z10sort_pairsILj256ELj16ELj4EiN10test_utils4lessEEvPKT2_PS2_T3_.num_named_barrier, 0
	.set _Z10sort_pairsILj256ELj16ELj4EiN10test_utils4lessEEvPKT2_PS2_T3_.private_seg_size, 0
	.set _Z10sort_pairsILj256ELj16ELj4EiN10test_utils4lessEEvPKT2_PS2_T3_.uses_vcc, 1
	.set _Z10sort_pairsILj256ELj16ELj4EiN10test_utils4lessEEvPKT2_PS2_T3_.uses_flat_scratch, 0
	.set _Z10sort_pairsILj256ELj16ELj4EiN10test_utils4lessEEvPKT2_PS2_T3_.has_dyn_sized_stack, 0
	.set _Z10sort_pairsILj256ELj16ELj4EiN10test_utils4lessEEvPKT2_PS2_T3_.has_recursion, 0
	.set _Z10sort_pairsILj256ELj16ELj4EiN10test_utils4lessEEvPKT2_PS2_T3_.has_indirect_call, 0
	.section	.AMDGPU.csdata,"",@progbits
; Kernel info:
; codeLenInByte = 3536
; TotalNumSgprs: 16
; NumVgprs: 29
; ScratchSize: 0
; MemoryBound: 0
; FloatMode: 240
; IeeeMode: 1
; LDSByteSize: 4160 bytes/workgroup (compile time only)
; SGPRBlocks: 0
; VGPRBlocks: 3
; NumSGPRsForWavesPerEU: 16
; NumVGPRsForWavesPerEU: 29
; Occupancy: 16
; WaveLimiterHint : 0
; COMPUTE_PGM_RSRC2:SCRATCH_EN: 0
; COMPUTE_PGM_RSRC2:USER_SGPR: 6
; COMPUTE_PGM_RSRC2:TRAP_HANDLER: 0
; COMPUTE_PGM_RSRC2:TGID_X_EN: 1
; COMPUTE_PGM_RSRC2:TGID_Y_EN: 0
; COMPUTE_PGM_RSRC2:TGID_Z_EN: 0
; COMPUTE_PGM_RSRC2:TIDIG_COMP_CNT: 0
	.section	.text._Z19sort_keys_segmentedILj256ELj16ELj4EiN10test_utils4lessEEvPKT2_PS2_PKjT3_,"axG",@progbits,_Z19sort_keys_segmentedILj256ELj16ELj4EiN10test_utils4lessEEvPKT2_PS2_PKjT3_,comdat
	.protected	_Z19sort_keys_segmentedILj256ELj16ELj4EiN10test_utils4lessEEvPKT2_PS2_PKjT3_ ; -- Begin function _Z19sort_keys_segmentedILj256ELj16ELj4EiN10test_utils4lessEEvPKT2_PS2_PKjT3_
	.globl	_Z19sort_keys_segmentedILj256ELj16ELj4EiN10test_utils4lessEEvPKT2_PS2_PKjT3_
	.p2align	8
	.type	_Z19sort_keys_segmentedILj256ELj16ELj4EiN10test_utils4lessEEvPKT2_PS2_PKjT3_,@function
_Z19sort_keys_segmentedILj256ELj16ELj4EiN10test_utils4lessEEvPKT2_PS2_PKjT3_: ; @_Z19sort_keys_segmentedILj256ELj16ELj4EiN10test_utils4lessEEvPKT2_PS2_PKjT3_
; %bb.0:
	s_clause 0x1
	s_load_dwordx2 s[0:1], s[4:5], 0x10
	s_load_dwordx4 s[8:11], s[4:5], 0x0
	v_lshrrev_b32_e32 v9, 4, v0
	v_mov_b32_e32 v2, 0
	v_mbcnt_lo_u32_b32 v0, -1, 0
	v_lshl_or_b32 v1, s6, 4, v9
	v_mov_b32_e32 v10, v2
	v_lshlrev_b32_e32 v8, 2, v0
	v_mov_b32_e32 v14, v2
	v_mov_b32_e32 v13, v2
	v_lshlrev_b64 v[3:4], 2, v[1:2]
	v_lshlrev_b32_e32 v1, 6, v1
	v_and_b32_e32 v7, 60, v8
	v_lshlrev_b64 v[0:1], 2, v[1:2]
	v_lshlrev_b32_e32 v5, 2, v7
	s_waitcnt lgkmcnt(0)
	v_add_co_u32 v3, vcc_lo, s0, v3
	v_add_co_ci_u32_e64 v4, null, s1, v4, vcc_lo
	global_load_dword v6, v[3:4], off
	v_add_co_u32 v3, vcc_lo, s8, v0
	v_add_co_ci_u32_e64 v4, null, s9, v1, vcc_lo
	v_add_co_u32 v3, vcc_lo, v3, v5
	v_add_co_ci_u32_e64 v4, null, 0, v4, vcc_lo
	s_waitcnt vmcnt(0)
	v_cmp_lt_u32_e32 vcc_lo, v7, v6
	s_and_saveexec_b32 s0, vcc_lo
	s_cbranch_execz .LBB18_2
; %bb.1:
	global_load_dword v10, v[3:4], off
	v_mov_b32_e32 v14, v2
	v_mov_b32_e32 v13, v2
.LBB18_2:
	s_or_b32 exec_lo, exec_lo, s0
	v_or_b32_e32 v11, 1, v7
	v_cmp_lt_u32_e64 s0, v11, v6
	s_and_saveexec_b32 s1, s0
	s_cbranch_execz .LBB18_4
; %bb.3:
	global_load_dword v2, v[3:4], off offset:4
.LBB18_4:
	s_or_b32 exec_lo, exec_lo, s1
	v_or_b32_e32 v12, 2, v7
	v_cmp_lt_u32_e64 s1, v12, v6
	s_and_saveexec_b32 s2, s1
	s_cbranch_execz .LBB18_6
; %bb.5:
	global_load_dword v14, v[3:4], off offset:8
.LBB18_6:
	s_or_b32 exec_lo, exec_lo, s2
	v_or_b32_e32 v15, 3, v7
	v_cmp_lt_u32_e64 s2, v15, v6
	s_and_saveexec_b32 s3, s2
	s_cbranch_execz .LBB18_8
; %bb.7:
	global_load_dword v13, v[3:4], off offset:12
.LBB18_8:
	s_or_b32 exec_lo, exec_lo, s3
	v_cmp_lt_i32_e64 s3, v11, v6
	v_cmp_lt_i32_e64 s4, v12, v6
	;; [unrolled: 1-line block ×3, first 2 shown]
	s_brev_b32 s6, -2
	s_or_b32 s3, s4, s3
	s_waitcnt vmcnt(0)
	v_cndmask_b32_e64 v14, 0x7fffffff, v14, s4
	v_cndmask_b32_e64 v2, 0x7fffffff, v2, s3
	s_mov_b32 s4, exec_lo
	v_cmpx_ge_i32_e64 v15, v6
; %bb.9:
	v_cmp_lt_i32_e64 s3, v7, v6
	v_mov_b32_e32 v13, s6
	s_andn2_b32 s5, s5, exec_lo
	s_and_b32 s3, s3, exec_lo
	s_or_b32 s5, s5, s3
; %bb.10:
	s_or_b32 exec_lo, exec_lo, s4
	s_and_saveexec_b32 s6, s5
	s_cbranch_execz .LBB18_14
; %bb.11:
	v_cmp_lt_i32_e64 s3, v13, v14
	v_cmp_lt_i32_e64 s4, v2, v10
	v_max_i32_e32 v4, v2, v10
	v_min_i32_e32 v12, v13, v14
	v_cndmask_b32_e64 v11, v13, v14, s3
	v_cndmask_b32_e64 v3, v10, v2, s4
	;; [unrolled: 1-line block ×4, first 2 shown]
	v_min_i32_e32 v2, v2, v10
	v_max_i32_e32 v14, v13, v14
	v_cmp_lt_i32_e64 s3, v12, v4
	v_min_i32_e32 v13, v12, v4
	v_max_i32_e32 v17, v12, v4
	v_cmp_lt_i32_e64 s4, v12, v2
	v_cmp_gt_i32_e64 s5, v4, v14
	v_cndmask_b32_e64 v15, v15, v4, s3
	v_cndmask_b32_e64 v12, v16, v12, s3
	;; [unrolled: 1-line block ×8, first 2 shown]
	s_mov_b32 s4, exec_lo
	v_cmpx_lt_i32_e64 v4, v3
; %bb.12:
	v_mov_b32_e32 v2, v4
	v_mov_b32_e32 v14, v3
; %bb.13:
	s_or_b32 exec_lo, exec_lo, s4
.LBB18_14:
	s_or_b32 exec_lo, exec_lo, s6
	v_and_b32_e32 v3, 56, v8
	v_and_b32_e32 v4, 4, v8
	; wave barrier
	s_mov_b32 s5, 0
	v_min_i32_e32 v15, v6, v3
	v_min_i32_e32 v16, v6, v4
	v_mad_u32_u24 v4, 0x104, v9, v5
	s_mov_b32 s4, exec_lo
	v_add_nc_u32_e32 v3, 4, v15
	v_lshlrev_b32_e32 v20, 2, v15
	ds_write2_b32 v4, v10, v2 offset1:1
	ds_write2_b32 v4, v14, v13 offset0:2 offset1:3
	v_min_i32_e32 v12, v6, v3
	v_mad_u32_u24 v2, 0x104, v9, v20
	; wave barrier
	v_add_nc_u32_e32 v3, 4, v12
	v_sub_nc_u32_e32 v19, v12, v15
	v_min_i32_e32 v11, v6, v3
	v_mul_u32_u24_e32 v3, 0x104, v9
	v_sub_nc_u32_e32 v17, v11, v12
	v_sub_nc_u32_e32 v18, v16, v17
	v_cmp_ge_i32_e64 s3, v16, v17
	v_cndmask_b32_e64 v17, 0, v18, s3
	v_min_i32_e32 v18, v16, v19
	v_cmpx_lt_i32_e64 v17, v18
	s_cbranch_execz .LBB18_18
; %bb.15:
	v_lshlrev_b32_e32 v9, 2, v12
	v_lshlrev_b32_e32 v10, 2, v16
	v_add3_u32 v9, v3, v9, v10
	.p2align	6
.LBB18_16:                              ; =>This Inner Loop Header: Depth=1
	v_sub_nc_u32_e32 v10, v18, v17
	v_lshrrev_b32_e32 v10, 1, v10
	v_add_nc_u32_e32 v10, v10, v17
	v_not_b32_e32 v13, v10
	v_lshl_add_u32 v14, v10, 2, v2
	v_add_nc_u32_e32 v19, 1, v10
	v_lshl_add_u32 v13, v13, 2, v9
	ds_read_b32 v14, v14
	ds_read_b32 v13, v13
	s_waitcnt lgkmcnt(0)
	v_cmp_lt_i32_e64 s3, v13, v14
	v_cndmask_b32_e64 v18, v18, v10, s3
	v_cndmask_b32_e64 v17, v19, v17, s3
	v_cmp_ge_i32_e64 s3, v17, v18
	s_or_b32 s5, s3, s5
	s_andn2_b32 exec_lo, exec_lo, s5
	s_cbranch_execnz .LBB18_16
; %bb.17:
	s_or_b32 exec_lo, exec_lo, s5
.LBB18_18:
	s_or_b32 exec_lo, exec_lo, s4
	v_add_nc_u32_e32 v9, v12, v16
	v_lshl_add_u32 v18, v17, 2, v2
	v_add_nc_u32_e32 v2, v17, v15
                                        ; implicit-def: $vgpr14
	v_sub_nc_u32_e32 v10, v9, v17
	v_cmp_le_i32_e64 s3, v12, v2
	v_lshl_add_u32 v16, v10, 2, v3
	v_cmp_gt_i32_e64 s5, v11, v10
	ds_read_b32 v9, v18
	ds_read_b32 v13, v16
	s_waitcnt lgkmcnt(0)
	v_cmp_lt_i32_e64 s4, v13, v9
	s_or_b32 s3, s3, s4
	s_and_b32 s3, s5, s3
	s_xor_b32 s4, s3, -1
	s_and_saveexec_b32 s5, s4
	s_xor_b32 s4, exec_lo, s5
; %bb.19:
	ds_read_b32 v14, v18 offset:4
                                        ; implicit-def: $vgpr16
; %bb.20:
	s_or_saveexec_b32 s4, s4
	v_mov_b32_e32 v15, v13
	s_xor_b32 exec_lo, exec_lo, s4
	s_cbranch_execz .LBB18_22
; %bb.21:
	ds_read_b32 v15, v16 offset:4
	s_waitcnt lgkmcnt(1)
	v_mov_b32_e32 v14, v9
.LBB18_22:
	s_or_b32 exec_lo, exec_lo, s4
	v_add_nc_u32_e32 v16, 1, v2
	v_add_nc_u32_e32 v17, 1, v10
	s_waitcnt lgkmcnt(0)
	v_cmp_lt_i32_e64 s5, v15, v14
	v_cndmask_b32_e64 v16, v16, v2, s3
	v_cndmask_b32_e64 v2, v10, v17, s3
                                        ; implicit-def: $vgpr10
	v_cmp_ge_i32_e64 s4, v16, v12
	v_cmp_lt_i32_e64 s6, v2, v11
	s_or_b32 s4, s4, s5
	s_and_b32 s4, s6, s4
	s_xor_b32 s5, s4, -1
	s_and_saveexec_b32 s6, s5
	s_xor_b32 s5, exec_lo, s6
; %bb.23:
	v_lshl_add_u32 v10, v16, 2, v3
	ds_read_b32 v10, v10 offset:4
; %bb.24:
	s_or_saveexec_b32 s5, s5
	v_mov_b32_e32 v17, v15
	s_xor_b32 exec_lo, exec_lo, s5
	s_cbranch_execz .LBB18_26
; %bb.25:
	s_waitcnt lgkmcnt(0)
	v_lshl_add_u32 v10, v2, 2, v3
	ds_read_b32 v17, v10 offset:4
	v_mov_b32_e32 v10, v14
.LBB18_26:
	s_or_b32 exec_lo, exec_lo, s5
	v_add_nc_u32_e32 v18, 1, v16
	v_add_nc_u32_e32 v19, 1, v2
	s_waitcnt lgkmcnt(0)
	v_cmp_lt_i32_e64 s6, v17, v10
	v_cndmask_b32_e64 v20, v18, v16, s4
	v_cndmask_b32_e64 v18, v2, v19, s4
                                        ; implicit-def: $vgpr19
	v_cmp_ge_i32_e64 s5, v20, v12
	v_cmp_lt_i32_e64 s7, v18, v11
	s_or_b32 s5, s5, s6
	s_and_b32 s5, s7, s5
	s_xor_b32 s6, s5, -1
	s_and_saveexec_b32 s7, s6
	s_xor_b32 s6, exec_lo, s7
; %bb.27:
	v_lshl_add_u32 v2, v20, 2, v3
	ds_read_b32 v19, v2 offset:4
; %bb.28:
	s_or_saveexec_b32 s6, s6
	v_mov_b32_e32 v21, v17
	s_xor_b32 exec_lo, exec_lo, s6
	s_cbranch_execz .LBB18_30
; %bb.29:
	v_lshl_add_u32 v2, v18, 2, v3
	s_waitcnt lgkmcnt(0)
	v_mov_b32_e32 v19, v10
	ds_read_b32 v21, v2 offset:4
.LBB18_30:
	s_or_b32 exec_lo, exec_lo, s6
	v_and_b32_e32 v2, 48, v8
	v_add_nc_u32_e32 v22, 1, v20
	v_cndmask_b32_e64 v24, v10, v17, s5
	v_add_nc_u32_e32 v17, 1, v18
	v_and_b32_e32 v25, 12, v8
	v_min_i32_e32 v16, v6, v2
	v_cndmask_b32_e64 v20, v22, v20, s5
	s_waitcnt lgkmcnt(0)
	v_cmp_lt_i32_e64 s6, v21, v19
	v_cndmask_b32_e64 v18, v18, v17, s5
	v_cndmask_b32_e64 v14, v14, v15, s4
	v_add_nc_u32_e32 v2, 8, v16
	v_cmp_ge_i32_e64 s5, v20, v12
	v_min_i32_e32 v17, v6, v25
	v_cmp_lt_i32_e64 s4, v18, v11
	v_cndmask_b32_e64 v11, v9, v13, s3
	v_min_i32_e32 v2, v6, v2
	s_or_b32 s3, s5, s6
	s_and_b32 s3, s4, s3
	; wave barrier
	v_add_nc_u32_e32 v23, 8, v2
	v_sub_nc_u32_e32 v13, v2, v16
	v_cndmask_b32_e64 v15, v19, v21, s3
	ds_write2_b32 v4, v11, v14 offset1:1
	v_lshl_add_u32 v11, v16, 2, v3
	v_min_i32_e32 v10, v6, v23
	s_mov_b32 s5, 0
	s_mov_b32 s4, exec_lo
	ds_write2_b32 v4, v24, v15 offset0:2 offset1:3
	v_sub_nc_u32_e32 v12, v10, v2
	; wave barrier
	v_sub_nc_u32_e32 v9, v17, v12
	v_cmp_ge_i32_e64 s3, v17, v12
	v_min_i32_e32 v12, v17, v13
	v_cndmask_b32_e64 v9, 0, v9, s3
	v_cmpx_lt_i32_e64 v9, v12
	s_cbranch_execz .LBB18_34
; %bb.31:
	v_lshlrev_b32_e32 v13, 2, v2
	v_lshlrev_b32_e32 v14, 2, v17
	v_add3_u32 v13, v3, v13, v14
	.p2align	6
.LBB18_32:                              ; =>This Inner Loop Header: Depth=1
	v_sub_nc_u32_e32 v14, v12, v9
	v_lshrrev_b32_e32 v14, 1, v14
	v_add_nc_u32_e32 v14, v14, v9
	v_not_b32_e32 v15, v14
	v_lshl_add_u32 v18, v14, 2, v11
	v_add_nc_u32_e32 v19, 1, v14
	v_lshl_add_u32 v15, v15, 2, v13
	ds_read_b32 v18, v18
	ds_read_b32 v15, v15
	s_waitcnt lgkmcnt(0)
	v_cmp_lt_i32_e64 s3, v15, v18
	v_cndmask_b32_e64 v12, v12, v14, s3
	v_cndmask_b32_e64 v9, v19, v9, s3
	v_cmp_ge_i32_e64 s3, v9, v12
	s_or_b32 s5, s3, s5
	s_andn2_b32 exec_lo, exec_lo, s5
	s_cbranch_execnz .LBB18_32
; %bb.33:
	s_or_b32 exec_lo, exec_lo, s5
.LBB18_34:
	s_or_b32 exec_lo, exec_lo, s4
	v_add_nc_u32_e32 v12, v2, v17
	v_lshl_add_u32 v15, v9, 2, v11
                                        ; implicit-def: $vgpr14
	v_sub_nc_u32_e32 v17, v12, v9
	v_add_nc_u32_e32 v9, v9, v16
	v_lshl_add_u32 v11, v17, 2, v3
	v_cmp_le_i32_e64 s3, v2, v9
	v_cmp_gt_i32_e64 s5, v10, v17
	ds_read_b32 v12, v15
	ds_read_b32 v13, v11
	s_waitcnt lgkmcnt(0)
	v_cmp_lt_i32_e64 s4, v13, v12
	s_or_b32 s3, s3, s4
	s_and_b32 s3, s5, s3
	s_xor_b32 s4, s3, -1
	s_and_saveexec_b32 s5, s4
	s_xor_b32 s4, exec_lo, s5
; %bb.35:
	ds_read_b32 v14, v15 offset:4
                                        ; implicit-def: $vgpr11
; %bb.36:
	s_or_saveexec_b32 s4, s4
	v_mov_b32_e32 v15, v13
	s_xor_b32 exec_lo, exec_lo, s4
	s_cbranch_execz .LBB18_38
; %bb.37:
	ds_read_b32 v15, v11 offset:4
	s_waitcnt lgkmcnt(1)
	v_mov_b32_e32 v14, v12
.LBB18_38:
	s_or_b32 exec_lo, exec_lo, s4
	v_add_nc_u32_e32 v11, 1, v9
	v_add_nc_u32_e32 v18, 1, v17
	s_waitcnt lgkmcnt(0)
	v_cmp_lt_i32_e64 s5, v15, v14
	v_cndmask_b32_e64 v16, v11, v9, s3
	v_cndmask_b32_e64 v9, v17, v18, s3
                                        ; implicit-def: $vgpr11
	v_cmp_ge_i32_e64 s4, v16, v2
	v_cmp_lt_i32_e64 s6, v9, v10
	s_or_b32 s4, s4, s5
	s_and_b32 s4, s6, s4
	s_xor_b32 s5, s4, -1
	s_and_saveexec_b32 s6, s5
	s_xor_b32 s5, exec_lo, s6
; %bb.39:
	v_lshl_add_u32 v11, v16, 2, v3
	ds_read_b32 v11, v11 offset:4
; %bb.40:
	s_or_saveexec_b32 s5, s5
	v_mov_b32_e32 v17, v15
	s_xor_b32 exec_lo, exec_lo, s5
	s_cbranch_execz .LBB18_42
; %bb.41:
	s_waitcnt lgkmcnt(0)
	v_lshl_add_u32 v11, v9, 2, v3
	ds_read_b32 v17, v11 offset:4
	v_mov_b32_e32 v11, v14
.LBB18_42:
	s_or_b32 exec_lo, exec_lo, s5
	v_add_nc_u32_e32 v18, 1, v16
	v_add_nc_u32_e32 v19, 1, v9
	s_waitcnt lgkmcnt(0)
	v_cmp_lt_i32_e64 s6, v17, v11
	v_cndmask_b32_e64 v20, v18, v16, s4
	v_cndmask_b32_e64 v18, v9, v19, s4
                                        ; implicit-def: $vgpr19
	v_cmp_ge_i32_e64 s5, v20, v2
	v_cmp_lt_i32_e64 s7, v18, v10
	s_or_b32 s5, s5, s6
	s_and_b32 s5, s7, s5
	s_xor_b32 s6, s5, -1
	s_and_saveexec_b32 s7, s6
	s_xor_b32 s6, exec_lo, s7
; %bb.43:
	v_lshl_add_u32 v9, v20, 2, v3
	ds_read_b32 v19, v9 offset:4
; %bb.44:
	s_or_saveexec_b32 s6, s6
	v_mov_b32_e32 v21, v17
	s_xor_b32 exec_lo, exec_lo, s6
	s_cbranch_execz .LBB18_46
; %bb.45:
	v_lshl_add_u32 v9, v18, 2, v3
	s_waitcnt lgkmcnt(0)
	v_mov_b32_e32 v19, v11
	ds_read_b32 v21, v9 offset:4
.LBB18_46:
	s_or_b32 exec_lo, exec_lo, s6
	v_and_b32_e32 v9, 32, v8
	v_add_nc_u32_e32 v22, 1, v20
	v_add_nc_u32_e32 v24, 1, v18
	v_cndmask_b32_e64 v17, v11, v17, s5
	v_and_b32_e32 v8, 28, v8
	v_min_i32_e32 v16, v6, v9
	v_cndmask_b32_e64 v20, v22, v20, s5
	v_cndmask_b32_e64 v18, v18, v24, s5
	s_waitcnt lgkmcnt(0)
	v_cmp_lt_i32_e64 s6, v21, v19
	v_cndmask_b32_e64 v14, v14, v15, s4
	v_add_nc_u32_e32 v9, 16, v16
	v_cmp_ge_i32_e64 s5, v20, v2
	v_cmp_lt_i32_e64 s4, v18, v10
	v_min_i32_e32 v8, v6, v8
	v_cndmask_b32_e64 v10, v12, v13, s3
	v_min_i32_e32 v9, v6, v9
	s_or_b32 s3, s5, s6
	s_and_b32 s3, s4, s3
	; wave barrier
	v_add_nc_u32_e32 v23, 16, v9
	v_sub_nc_u32_e32 v13, v9, v16
	v_cndmask_b32_e64 v15, v19, v21, s3
	ds_write2_b32 v4, v10, v14 offset1:1
	v_lshl_add_u32 v10, v16, 2, v3
	v_min_i32_e32 v11, v6, v23
	s_mov_b32 s5, 0
	s_mov_b32 s4, exec_lo
	ds_write2_b32 v4, v17, v15 offset0:2 offset1:3
	v_sub_nc_u32_e32 v2, v11, v9
	; wave barrier
	v_sub_nc_u32_e32 v12, v8, v2
	v_cmp_ge_i32_e64 s3, v8, v2
	v_cndmask_b32_e64 v2, 0, v12, s3
	v_min_i32_e32 v12, v8, v13
	v_cmpx_lt_i32_e64 v2, v12
	s_cbranch_execz .LBB18_50
; %bb.47:
	v_lshlrev_b32_e32 v13, 2, v9
	v_lshlrev_b32_e32 v14, 2, v8
	v_add3_u32 v13, v3, v13, v14
	.p2align	6
.LBB18_48:                              ; =>This Inner Loop Header: Depth=1
	v_sub_nc_u32_e32 v14, v12, v2
	v_lshrrev_b32_e32 v14, 1, v14
	v_add_nc_u32_e32 v14, v14, v2
	v_not_b32_e32 v15, v14
	v_lshl_add_u32 v17, v14, 2, v10
	v_add_nc_u32_e32 v18, 1, v14
	v_lshl_add_u32 v15, v15, 2, v13
	ds_read_b32 v17, v17
	ds_read_b32 v15, v15
	s_waitcnt lgkmcnt(0)
	v_cmp_lt_i32_e64 s3, v15, v17
	v_cndmask_b32_e64 v12, v12, v14, s3
	v_cndmask_b32_e64 v2, v18, v2, s3
	v_cmp_ge_i32_e64 s3, v2, v12
	s_or_b32 s5, s3, s5
	s_andn2_b32 exec_lo, exec_lo, s5
	s_cbranch_execnz .LBB18_48
; %bb.49:
	s_or_b32 exec_lo, exec_lo, s5
.LBB18_50:
	s_or_b32 exec_lo, exec_lo, s4
	v_add_nc_u32_e32 v8, v9, v8
	v_lshl_add_u32 v14, v2, 2, v10
                                        ; implicit-def: $vgpr13
	v_sub_nc_u32_e32 v8, v8, v2
	v_add_nc_u32_e32 v2, v2, v16
	v_lshl_add_u32 v15, v8, 2, v3
	v_cmp_le_i32_e64 s3, v9, v2
	v_cmp_gt_i32_e64 s5, v11, v8
	ds_read_b32 v10, v14
	ds_read_b32 v12, v15
	s_waitcnt lgkmcnt(0)
	v_cmp_lt_i32_e64 s4, v12, v10
	s_or_b32 s3, s3, s4
	s_and_b32 s3, s5, s3
	s_xor_b32 s4, s3, -1
	s_and_saveexec_b32 s5, s4
	s_xor_b32 s4, exec_lo, s5
; %bb.51:
	ds_read_b32 v13, v14 offset:4
                                        ; implicit-def: $vgpr15
; %bb.52:
	s_or_saveexec_b32 s4, s4
	v_mov_b32_e32 v14, v12
	s_xor_b32 exec_lo, exec_lo, s4
	s_cbranch_execz .LBB18_54
; %bb.53:
	ds_read_b32 v14, v15 offset:4
	s_waitcnt lgkmcnt(1)
	v_mov_b32_e32 v13, v10
.LBB18_54:
	s_or_b32 exec_lo, exec_lo, s4
	v_add_nc_u32_e32 v15, 1, v2
	v_add_nc_u32_e32 v16, 1, v8
	s_waitcnt lgkmcnt(0)
	v_cmp_lt_i32_e64 s5, v14, v13
	v_cndmask_b32_e64 v15, v15, v2, s3
	v_cndmask_b32_e64 v2, v8, v16, s3
                                        ; implicit-def: $vgpr8
	v_cmp_ge_i32_e64 s4, v15, v9
	v_cmp_lt_i32_e64 s6, v2, v11
	s_or_b32 s4, s4, s5
	s_and_b32 s4, s6, s4
	s_xor_b32 s5, s4, -1
	s_and_saveexec_b32 s6, s5
	s_xor_b32 s5, exec_lo, s6
; %bb.55:
	v_lshl_add_u32 v8, v15, 2, v3
	ds_read_b32 v8, v8 offset:4
; %bb.56:
	s_or_saveexec_b32 s5, s5
	v_mov_b32_e32 v16, v14
	s_xor_b32 exec_lo, exec_lo, s5
	s_cbranch_execz .LBB18_58
; %bb.57:
	s_waitcnt lgkmcnt(0)
	v_lshl_add_u32 v8, v2, 2, v3
	ds_read_b32 v16, v8 offset:4
	v_mov_b32_e32 v8, v13
.LBB18_58:
	s_or_b32 exec_lo, exec_lo, s5
	v_add_nc_u32_e32 v17, 1, v15
	v_add_nc_u32_e32 v18, 1, v2
	s_waitcnt lgkmcnt(0)
	v_cmp_lt_i32_e64 s6, v16, v8
	v_cndmask_b32_e64 v19, v17, v15, s4
	v_cndmask_b32_e64 v17, v2, v18, s4
                                        ; implicit-def: $vgpr18
	v_cmp_ge_i32_e64 s5, v19, v9
	v_cmp_lt_i32_e64 s7, v17, v11
	s_or_b32 s5, s5, s6
	s_and_b32 s5, s7, s5
	s_xor_b32 s6, s5, -1
	s_and_saveexec_b32 s7, s6
	s_xor_b32 s6, exec_lo, s7
; %bb.59:
	v_lshl_add_u32 v2, v19, 2, v3
	ds_read_b32 v18, v2 offset:4
; %bb.60:
	s_or_saveexec_b32 s6, s6
	v_mov_b32_e32 v20, v16
	s_xor_b32 exec_lo, exec_lo, s6
	s_cbranch_execz .LBB18_62
; %bb.61:
	v_lshl_add_u32 v2, v17, 2, v3
	s_waitcnt lgkmcnt(0)
	v_mov_b32_e32 v18, v8
	ds_read_b32 v20, v2 offset:4
.LBB18_62:
	s_or_b32 exec_lo, exec_lo, s6
	v_min_i32_e32 v15, 0, v6
	v_add_nc_u32_e32 v21, 1, v19
	v_add_nc_u32_e32 v23, 1, v17
	v_cndmask_b32_e64 v16, v8, v16, s5
	s_waitcnt lgkmcnt(0)
	v_cmp_lt_i32_e64 s6, v20, v18
	v_add_nc_u32_e32 v2, 32, v15
	v_cndmask_b32_e64 v19, v21, v19, s5
	v_cndmask_b32_e64 v17, v17, v23, s5
	; wave barrier
	v_min_i32_e32 v2, v6, v2
	v_cmp_ge_i32_e64 s5, v19, v9
	v_cndmask_b32_e64 v9, v13, v14, s4
	v_cmp_lt_i32_e64 s4, v17, v11
	v_cndmask_b32_e64 v11, v10, v12, s3
	v_add_nc_u32_e32 v22, 32, v2
	s_or_b32 s3, s5, s6
	v_sub_nc_u32_e32 v12, v2, v15
	s_and_b32 s3, s4, s3
	ds_write2_b32 v4, v11, v9 offset1:1
	v_min_i32_e32 v8, v6, v22
	v_min_i32_e32 v6, v6, v7
	v_cndmask_b32_e64 v13, v18, v20, s3
	v_lshl_add_u32 v9, v15, 2, v3
	s_mov_b32 s5, 0
	v_sub_nc_u32_e32 v7, v8, v2
	s_mov_b32 s4, exec_lo
	ds_write2_b32 v4, v16, v13 offset0:2 offset1:3
	; wave barrier
	v_sub_nc_u32_e32 v10, v6, v7
	v_cmp_ge_i32_e64 s3, v6, v7
	v_cndmask_b32_e64 v7, 0, v10, s3
	v_min_i32_e32 v10, v6, v12
	v_cmpx_lt_i32_e64 v7, v10
	s_cbranch_execz .LBB18_66
; %bb.63:
	v_lshlrev_b32_e32 v4, 2, v2
	v_lshlrev_b32_e32 v11, 2, v6
	v_add3_u32 v4, v3, v4, v11
	.p2align	6
.LBB18_64:                              ; =>This Inner Loop Header: Depth=1
	v_sub_nc_u32_e32 v11, v10, v7
	v_lshrrev_b32_e32 v11, 1, v11
	v_add_nc_u32_e32 v11, v11, v7
	v_not_b32_e32 v12, v11
	v_lshl_add_u32 v13, v11, 2, v9
	v_add_nc_u32_e32 v14, 1, v11
	v_lshl_add_u32 v12, v12, 2, v4
	ds_read_b32 v13, v13
	ds_read_b32 v12, v12
	s_waitcnt lgkmcnt(0)
	v_cmp_lt_i32_e64 s3, v12, v13
	v_cndmask_b32_e64 v10, v10, v11, s3
	v_cndmask_b32_e64 v7, v14, v7, s3
	v_cmp_ge_i32_e64 s3, v7, v10
	s_or_b32 s5, s3, s5
	s_andn2_b32 exec_lo, exec_lo, s5
	s_cbranch_execnz .LBB18_64
; %bb.65:
	s_or_b32 exec_lo, exec_lo, s5
.LBB18_66:
	s_or_b32 exec_lo, exec_lo, s4
	v_add_nc_u32_e32 v4, v2, v6
	v_lshl_add_u32 v9, v7, 2, v9
	v_add_nc_u32_e32 v11, v7, v15
	v_sub_nc_u32_e32 v10, v4, v7
                                        ; implicit-def: $vgpr7
	v_cmp_le_i32_e64 s3, v2, v11
	v_lshl_add_u32 v12, v10, 2, v3
	v_cmp_gt_i32_e64 s5, v8, v10
	ds_read_b32 v4, v9
	ds_read_b32 v6, v12
	s_waitcnt lgkmcnt(0)
	v_cmp_lt_i32_e64 s4, v6, v4
	s_or_b32 s3, s3, s4
	s_and_b32 s3, s5, s3
	s_xor_b32 s4, s3, -1
	s_and_saveexec_b32 s5, s4
	s_xor_b32 s4, exec_lo, s5
; %bb.67:
	ds_read_b32 v7, v9 offset:4
                                        ; implicit-def: $vgpr12
; %bb.68:
	s_or_saveexec_b32 s4, s4
	v_mov_b32_e32 v9, v6
	s_xor_b32 exec_lo, exec_lo, s4
	s_cbranch_execz .LBB18_70
; %bb.69:
	ds_read_b32 v9, v12 offset:4
	s_waitcnt lgkmcnt(1)
	v_mov_b32_e32 v7, v4
.LBB18_70:
	s_or_b32 exec_lo, exec_lo, s4
	v_add_nc_u32_e32 v12, 1, v11
	v_add_nc_u32_e32 v14, 1, v10
	s_waitcnt lgkmcnt(0)
	v_cmp_lt_i32_e64 s5, v9, v7
	v_cndmask_b32_e64 v13, v12, v11, s3
	v_cndmask_b32_e64 v12, v10, v14, s3
                                        ; implicit-def: $vgpr10
	v_cmp_ge_i32_e64 s4, v13, v2
	v_cmp_lt_i32_e64 s6, v12, v8
	s_or_b32 s4, s4, s5
	s_and_b32 s4, s6, s4
	s_xor_b32 s5, s4, -1
	s_and_saveexec_b32 s6, s5
	s_xor_b32 s5, exec_lo, s6
; %bb.71:
	v_lshl_add_u32 v10, v13, 2, v3
	ds_read_b32 v10, v10 offset:4
; %bb.72:
	s_or_saveexec_b32 s5, s5
	v_mov_b32_e32 v11, v9
	s_xor_b32 exec_lo, exec_lo, s5
	s_cbranch_execz .LBB18_74
; %bb.73:
	s_waitcnt lgkmcnt(0)
	v_lshl_add_u32 v10, v12, 2, v3
	ds_read_b32 v11, v10 offset:4
	v_mov_b32_e32 v10, v7
.LBB18_74:
	s_or_b32 exec_lo, exec_lo, s5
	v_add_nc_u32_e32 v14, 1, v13
	v_add_nc_u32_e32 v15, 1, v12
	s_waitcnt lgkmcnt(0)
	v_cmp_lt_i32_e64 s6, v11, v10
	v_cndmask_b32_e64 v16, v14, v13, s4
	v_cndmask_b32_e64 v12, v12, v15, s4
                                        ; implicit-def: $vgpr13
                                        ; implicit-def: $vgpr14
	v_cmp_ge_i32_e64 s5, v16, v2
	v_cmp_lt_i32_e64 s7, v12, v8
	s_or_b32 s5, s5, s6
	s_and_b32 s5, s7, s5
	s_xor_b32 s6, s5, -1
	s_and_saveexec_b32 s7, s6
	s_xor_b32 s6, exec_lo, s7
; %bb.75:
	v_lshl_add_u32 v3, v16, 2, v3
	v_add_nc_u32_e32 v14, 1, v16
                                        ; implicit-def: $vgpr16
	ds_read_b32 v13, v3 offset:4
                                        ; implicit-def: $vgpr3
; %bb.76:
	s_or_saveexec_b32 s6, s6
	v_mov_b32_e32 v15, v11
	s_xor_b32 exec_lo, exec_lo, s6
	s_cbranch_execz .LBB18_78
; %bb.77:
	v_lshl_add_u32 v3, v12, 2, v3
	v_add_nc_u32_e32 v12, 1, v12
	v_mov_b32_e32 v14, v16
	s_waitcnt lgkmcnt(0)
	v_mov_b32_e32 v13, v10
	ds_read_b32 v15, v3 offset:4
.LBB18_78:
	s_or_b32 exec_lo, exec_lo, s6
	v_add_co_u32 v0, s6, s10, v0
	v_add_co_ci_u32_e64 v1, null, s11, v1, s6
	v_add_co_u32 v0, s6, v0, v5
	v_add_co_ci_u32_e64 v1, null, 0, v1, s6
	s_and_saveexec_b32 s6, vcc_lo
	s_cbranch_execnz .LBB18_83
; %bb.79:
	s_or_b32 exec_lo, exec_lo, s6
	s_and_saveexec_b32 s3, s0
	s_cbranch_execnz .LBB18_84
.LBB18_80:
	s_or_b32 exec_lo, exec_lo, s3
	s_and_saveexec_b32 s0, s1
	s_cbranch_execnz .LBB18_85
.LBB18_81:
	s_or_b32 exec_lo, exec_lo, s0
	s_and_saveexec_b32 s0, s2
	s_cbranch_execnz .LBB18_86
.LBB18_82:
	s_endpgm
.LBB18_83:
	v_cndmask_b32_e64 v3, v4, v6, s3
	global_store_dword v[0:1], v3, off
	s_or_b32 exec_lo, exec_lo, s6
	s_and_saveexec_b32 s3, s0
	s_cbranch_execz .LBB18_80
.LBB18_84:
	v_cndmask_b32_e64 v3, v7, v9, s4
	global_store_dword v[0:1], v3, off offset:4
	s_or_b32 exec_lo, exec_lo, s3
	s_and_saveexec_b32 s0, s1
	s_cbranch_execz .LBB18_81
.LBB18_85:
	v_cndmask_b32_e64 v3, v10, v11, s5
	global_store_dword v[0:1], v3, off offset:8
	s_or_b32 exec_lo, exec_lo, s0
	s_and_saveexec_b32 s0, s2
	s_cbranch_execz .LBB18_82
.LBB18_86:
	v_cmp_ge_i32_e32 vcc_lo, v14, v2
	s_waitcnt lgkmcnt(0)
	v_cmp_lt_i32_e64 s0, v15, v13
	v_cmp_lt_i32_e64 s1, v12, v8
	s_or_b32 s0, vcc_lo, s0
	s_and_b32 vcc_lo, s1, s0
	v_cndmask_b32_e32 v2, v13, v15, vcc_lo
	global_store_dword v[0:1], v2, off offset:12
	s_endpgm
	.section	.rodata,"a",@progbits
	.p2align	6, 0x0
	.amdhsa_kernel _Z19sort_keys_segmentedILj256ELj16ELj4EiN10test_utils4lessEEvPKT2_PS2_PKjT3_
		.amdhsa_group_segment_fixed_size 4160
		.amdhsa_private_segment_fixed_size 0
		.amdhsa_kernarg_size 28
		.amdhsa_user_sgpr_count 6
		.amdhsa_user_sgpr_private_segment_buffer 1
		.amdhsa_user_sgpr_dispatch_ptr 0
		.amdhsa_user_sgpr_queue_ptr 0
		.amdhsa_user_sgpr_kernarg_segment_ptr 1
		.amdhsa_user_sgpr_dispatch_id 0
		.amdhsa_user_sgpr_flat_scratch_init 0
		.amdhsa_user_sgpr_private_segment_size 0
		.amdhsa_wavefront_size32 1
		.amdhsa_uses_dynamic_stack 0
		.amdhsa_system_sgpr_private_segment_wavefront_offset 0
		.amdhsa_system_sgpr_workgroup_id_x 1
		.amdhsa_system_sgpr_workgroup_id_y 0
		.amdhsa_system_sgpr_workgroup_id_z 0
		.amdhsa_system_sgpr_workgroup_info 0
		.amdhsa_system_vgpr_workitem_id 0
		.amdhsa_next_free_vgpr 26
		.amdhsa_next_free_sgpr 12
		.amdhsa_reserve_vcc 1
		.amdhsa_reserve_flat_scratch 0
		.amdhsa_float_round_mode_32 0
		.amdhsa_float_round_mode_16_64 0
		.amdhsa_float_denorm_mode_32 3
		.amdhsa_float_denorm_mode_16_64 3
		.amdhsa_dx10_clamp 1
		.amdhsa_ieee_mode 1
		.amdhsa_fp16_overflow 0
		.amdhsa_workgroup_processor_mode 1
		.amdhsa_memory_ordered 1
		.amdhsa_forward_progress 1
		.amdhsa_shared_vgpr_count 0
		.amdhsa_exception_fp_ieee_invalid_op 0
		.amdhsa_exception_fp_denorm_src 0
		.amdhsa_exception_fp_ieee_div_zero 0
		.amdhsa_exception_fp_ieee_overflow 0
		.amdhsa_exception_fp_ieee_underflow 0
		.amdhsa_exception_fp_ieee_inexact 0
		.amdhsa_exception_int_div_zero 0
	.end_amdhsa_kernel
	.section	.text._Z19sort_keys_segmentedILj256ELj16ELj4EiN10test_utils4lessEEvPKT2_PS2_PKjT3_,"axG",@progbits,_Z19sort_keys_segmentedILj256ELj16ELj4EiN10test_utils4lessEEvPKT2_PS2_PKjT3_,comdat
.Lfunc_end18:
	.size	_Z19sort_keys_segmentedILj256ELj16ELj4EiN10test_utils4lessEEvPKT2_PS2_PKjT3_, .Lfunc_end18-_Z19sort_keys_segmentedILj256ELj16ELj4EiN10test_utils4lessEEvPKT2_PS2_PKjT3_
                                        ; -- End function
	.set _Z19sort_keys_segmentedILj256ELj16ELj4EiN10test_utils4lessEEvPKT2_PS2_PKjT3_.num_vgpr, 26
	.set _Z19sort_keys_segmentedILj256ELj16ELj4EiN10test_utils4lessEEvPKT2_PS2_PKjT3_.num_agpr, 0
	.set _Z19sort_keys_segmentedILj256ELj16ELj4EiN10test_utils4lessEEvPKT2_PS2_PKjT3_.numbered_sgpr, 12
	.set _Z19sort_keys_segmentedILj256ELj16ELj4EiN10test_utils4lessEEvPKT2_PS2_PKjT3_.num_named_barrier, 0
	.set _Z19sort_keys_segmentedILj256ELj16ELj4EiN10test_utils4lessEEvPKT2_PS2_PKjT3_.private_seg_size, 0
	.set _Z19sort_keys_segmentedILj256ELj16ELj4EiN10test_utils4lessEEvPKT2_PS2_PKjT3_.uses_vcc, 1
	.set _Z19sort_keys_segmentedILj256ELj16ELj4EiN10test_utils4lessEEvPKT2_PS2_PKjT3_.uses_flat_scratch, 0
	.set _Z19sort_keys_segmentedILj256ELj16ELj4EiN10test_utils4lessEEvPKT2_PS2_PKjT3_.has_dyn_sized_stack, 0
	.set _Z19sort_keys_segmentedILj256ELj16ELj4EiN10test_utils4lessEEvPKT2_PS2_PKjT3_.has_recursion, 0
	.set _Z19sort_keys_segmentedILj256ELj16ELj4EiN10test_utils4lessEEvPKT2_PS2_PKjT3_.has_indirect_call, 0
	.section	.AMDGPU.csdata,"",@progbits
; Kernel info:
; codeLenInByte = 3804
; TotalNumSgprs: 14
; NumVgprs: 26
; ScratchSize: 0
; MemoryBound: 0
; FloatMode: 240
; IeeeMode: 1
; LDSByteSize: 4160 bytes/workgroup (compile time only)
; SGPRBlocks: 0
; VGPRBlocks: 3
; NumSGPRsForWavesPerEU: 14
; NumVGPRsForWavesPerEU: 26
; Occupancy: 16
; WaveLimiterHint : 0
; COMPUTE_PGM_RSRC2:SCRATCH_EN: 0
; COMPUTE_PGM_RSRC2:USER_SGPR: 6
; COMPUTE_PGM_RSRC2:TRAP_HANDLER: 0
; COMPUTE_PGM_RSRC2:TGID_X_EN: 1
; COMPUTE_PGM_RSRC2:TGID_Y_EN: 0
; COMPUTE_PGM_RSRC2:TGID_Z_EN: 0
; COMPUTE_PGM_RSRC2:TIDIG_COMP_CNT: 0
	.section	.text._Z20sort_pairs_segmentedILj256ELj16ELj4EiN10test_utils4lessEEvPKT2_PS2_PKjT3_,"axG",@progbits,_Z20sort_pairs_segmentedILj256ELj16ELj4EiN10test_utils4lessEEvPKT2_PS2_PKjT3_,comdat
	.protected	_Z20sort_pairs_segmentedILj256ELj16ELj4EiN10test_utils4lessEEvPKT2_PS2_PKjT3_ ; -- Begin function _Z20sort_pairs_segmentedILj256ELj16ELj4EiN10test_utils4lessEEvPKT2_PS2_PKjT3_
	.globl	_Z20sort_pairs_segmentedILj256ELj16ELj4EiN10test_utils4lessEEvPKT2_PS2_PKjT3_
	.p2align	8
	.type	_Z20sort_pairs_segmentedILj256ELj16ELj4EiN10test_utils4lessEEvPKT2_PS2_PKjT3_,@function
_Z20sort_pairs_segmentedILj256ELj16ELj4EiN10test_utils4lessEEvPKT2_PS2_PKjT3_: ; @_Z20sort_pairs_segmentedILj256ELj16ELj4EiN10test_utils4lessEEvPKT2_PS2_PKjT3_
; %bb.0:
	s_clause 0x1
	s_load_dwordx2 s[0:1], s[4:5], 0x10
	s_load_dwordx4 s[8:11], s[4:5], 0x0
	v_lshrrev_b32_e32 v13, 4, v0
	v_mov_b32_e32 v2, 0
	v_mbcnt_lo_u32_b32 v0, -1, 0
	v_lshl_or_b32 v1, s6, 4, v13
	v_mov_b32_e32 v14, v2
	v_lshlrev_b32_e32 v8, 2, v0
	v_mov_b32_e32 v15, v2
	v_mov_b32_e32 v16, v2
	v_lshlrev_b64 v[3:4], 2, v[1:2]
	v_lshlrev_b32_e32 v1, 6, v1
	v_and_b32_e32 v7, 60, v8
	v_lshlrev_b64 v[0:1], 2, v[1:2]
	v_lshlrev_b32_e32 v5, 2, v7
	s_waitcnt lgkmcnt(0)
	v_add_co_u32 v3, vcc_lo, s0, v3
	v_add_co_ci_u32_e64 v4, null, s1, v4, vcc_lo
	global_load_dword v6, v[3:4], off
	v_add_co_u32 v3, vcc_lo, s8, v0
	v_add_co_ci_u32_e64 v4, null, s9, v1, vcc_lo
	v_add_co_u32 v3, vcc_lo, v3, v5
	v_add_co_ci_u32_e64 v4, null, 0, v4, vcc_lo
	s_waitcnt vmcnt(0)
	v_cmp_lt_u32_e32 vcc_lo, v7, v6
	s_and_saveexec_b32 s0, vcc_lo
	s_cbranch_execz .LBB19_2
; %bb.1:
	global_load_dword v14, v[3:4], off
	v_mov_b32_e32 v15, v2
	v_mov_b32_e32 v16, v2
.LBB19_2:
	s_or_b32 exec_lo, exec_lo, s0
	v_or_b32_e32 v9, 1, v7
	v_cmp_lt_u32_e64 s0, v9, v6
	s_and_saveexec_b32 s1, s0
	s_cbranch_execz .LBB19_4
; %bb.3:
	global_load_dword v2, v[3:4], off offset:4
.LBB19_4:
	s_or_b32 exec_lo, exec_lo, s1
	v_or_b32_e32 v10, 2, v7
	v_cmp_lt_u32_e64 s1, v10, v6
	s_and_saveexec_b32 s2, s1
	s_cbranch_execz .LBB19_6
; %bb.5:
	global_load_dword v15, v[3:4], off offset:8
.LBB19_6:
	;; [unrolled: 8-line block ×3, first 2 shown]
	s_or_b32 exec_lo, exec_lo, s3
	v_cmp_lt_i32_e64 s3, v9, v6
	v_cmp_lt_i32_e64 s4, v10, v6
	s_waitcnt vmcnt(0)
	v_add_nc_u32_e32 v3, 1, v14
	v_add_nc_u32_e32 v4, 1, v2
	;; [unrolled: 1-line block ×4, first 2 shown]
	s_or_b32 s3, s4, s3
	v_cndmask_b32_e32 v9, 0, v3, vcc_lo
	v_cndmask_b32_e64 v10, 0, v4, s0
	v_cndmask_b32_e64 v12, 0, v11, s1
	;; [unrolled: 1-line block ×5, first 2 shown]
	s_mov_b32 s4, 0
	s_brev_b32 s6, -2
	s_mov_b32 s5, exec_lo
	v_cmpx_ge_i32_e64 v17, v6
	s_xor_b32 s5, exec_lo, s5
	s_cbranch_execnz .LBB19_11
; %bb.9:
	s_andn2_saveexec_b32 s3, s5
	s_cbranch_execnz .LBB19_12
.LBB19_10:
	s_or_b32 exec_lo, exec_lo, s3
	v_bfrev_b32_e32 v18, -2
	s_and_saveexec_b32 s5, s4
	s_cbranch_execnz .LBB19_13
	s_branch .LBB19_16
.LBB19_11:
	v_cmp_lt_i32_e64 s3, v7, v6
	v_mov_b32_e32 v16, s6
	s_and_b32 s4, s3, exec_lo
	s_andn2_saveexec_b32 s3, s5
	s_cbranch_execz .LBB19_10
.LBB19_12:
	s_or_b32 s4, s4, exec_lo
	s_or_b32 exec_lo, exec_lo, s3
	v_bfrev_b32_e32 v18, -2
	s_and_saveexec_b32 s5, s4
	s_cbranch_execz .LBB19_16
.LBB19_13:
	v_cmp_lt_i32_e64 s3, v2, v14
	v_cmp_lt_i32_e64 s4, v16, v15
	v_min_i32_e32 v4, v16, v15
	v_cndmask_b32_e64 v17, v2, v14, s3
	v_cndmask_b32_e64 v3, v9, v10, s3
	;; [unrolled: 1-line block ×5, first 2 shown]
	v_cmp_lt_i32_e64 s3, v4, v17
	v_cndmask_b32_e64 v18, v11, v12, s4
	v_cndmask_b32_e64 v2, v12, v11, s4
	v_min_i32_e32 v11, v4, v17
	v_cndmask_b32_e64 v15, v16, v15, s4
	v_cndmask_b32_e64 v16, v10, v17, s3
	;; [unrolled: 1-line block ×5, first 2 shown]
	v_cmp_lt_i32_e64 s4, v11, v14
	v_cmp_lt_i32_e64 s3, v15, v16
	v_cndmask_b32_e64 v10, v2, v3, s4
	v_cndmask_b32_e64 v9, v3, v2, s4
	;; [unrolled: 1-line block ×4, first 2 shown]
	v_min_i32_e32 v3, v15, v16
	v_cndmask_b32_e64 v11, v18, v12, s3
	v_cndmask_b32_e64 v12, v12, v18, s3
	;; [unrolled: 1-line block ×4, first 2 shown]
	s_mov_b32 s4, exec_lo
	v_cmpx_lt_i32_e64 v3, v2
; %bb.14:
	v_mov_b32_e32 v4, v12
	v_swap_b32 v12, v10
	v_mov_b32_e32 v15, v2
	v_mov_b32_e32 v2, v3
; %bb.15:
	s_or_b32 exec_lo, exec_lo, s4
.LBB19_16:
	s_or_b32 exec_lo, exec_lo, s5
	v_and_b32_e32 v3, 56, v8
	v_and_b32_e32 v4, 4, v8
	s_mov_b32 s5, 0
	s_mov_b32 s4, exec_lo
	v_min_i32_e32 v19, v6, v3
	v_min_i32_e32 v20, v6, v4
	v_mad_u32_u24 v4, 0x104, v13, v5
	; wave barrier
	v_add_nc_u32_e32 v3, 4, v19
	v_lshlrev_b32_e32 v24, 2, v19
	ds_write2_b32 v4, v14, v2 offset1:1
	ds_write2_b32 v4, v15, v18 offset0:2 offset1:3
	v_min_i32_e32 v16, v6, v3
	; wave barrier
	v_add_nc_u32_e32 v3, 4, v16
	v_sub_nc_u32_e32 v23, v16, v19
	v_min_i32_e32 v17, v6, v3
	v_mul_u32_u24_e32 v3, 0x104, v13
	v_mad_u32_u24 v13, 0x104, v13, v24
	v_sub_nc_u32_e32 v21, v17, v16
	v_sub_nc_u32_e32 v22, v20, v21
	v_cmp_ge_i32_e64 s3, v20, v21
	v_cndmask_b32_e64 v21, 0, v22, s3
	v_min_i32_e32 v22, v20, v23
	v_cmpx_lt_i32_e64 v21, v22
	s_cbranch_execz .LBB19_20
; %bb.17:
	v_lshlrev_b32_e32 v2, 2, v16
	v_lshlrev_b32_e32 v14, 2, v20
	v_add3_u32 v2, v3, v2, v14
	.p2align	6
.LBB19_18:                              ; =>This Inner Loop Header: Depth=1
	v_sub_nc_u32_e32 v14, v22, v21
	v_lshrrev_b32_e32 v14, 1, v14
	v_add_nc_u32_e32 v14, v14, v21
	v_not_b32_e32 v15, v14
	v_lshl_add_u32 v18, v14, 2, v13
	v_add_nc_u32_e32 v23, 1, v14
	v_lshl_add_u32 v15, v15, 2, v2
	ds_read_b32 v18, v18
	ds_read_b32 v15, v15
	s_waitcnt lgkmcnt(0)
	v_cmp_lt_i32_e64 s3, v15, v18
	v_cndmask_b32_e64 v22, v22, v14, s3
	v_cndmask_b32_e64 v21, v23, v21, s3
	v_cmp_ge_i32_e64 s3, v21, v22
	s_or_b32 s5, s3, s5
	s_andn2_b32 exec_lo, exec_lo, s5
	s_cbranch_execnz .LBB19_18
; %bb.19:
	s_or_b32 exec_lo, exec_lo, s5
.LBB19_20:
	s_or_b32 exec_lo, exec_lo, s4
	v_add_nc_u32_e32 v2, v16, v20
	v_lshl_add_u32 v22, v21, 2, v13
	v_add_nc_u32_e32 v13, v21, v19
                                        ; implicit-def: $vgpr18
	v_sub_nc_u32_e32 v2, v2, v21
	v_cmp_le_i32_e64 s3, v16, v13
	v_lshl_add_u32 v20, v2, 2, v3
	v_cmp_gt_i32_e64 s5, v17, v2
	ds_read_b32 v14, v22
	ds_read_b32 v15, v20
	s_waitcnt lgkmcnt(0)
	v_cmp_lt_i32_e64 s4, v15, v14
	s_or_b32 s3, s3, s4
	s_and_b32 s3, s5, s3
	s_xor_b32 s4, s3, -1
	s_and_saveexec_b32 s5, s4
	s_xor_b32 s4, exec_lo, s5
; %bb.21:
	ds_read_b32 v18, v22 offset:4
                                        ; implicit-def: $vgpr20
; %bb.22:
	s_or_saveexec_b32 s4, s4
	v_mov_b32_e32 v19, v15
	s_xor_b32 exec_lo, exec_lo, s4
	s_cbranch_execz .LBB19_24
; %bb.23:
	ds_read_b32 v19, v20 offset:4
	s_waitcnt lgkmcnt(1)
	v_mov_b32_e32 v18, v14
.LBB19_24:
	s_or_b32 exec_lo, exec_lo, s4
	v_add_nc_u32_e32 v20, 1, v13
	v_add_nc_u32_e32 v21, 1, v2
	s_waitcnt lgkmcnt(0)
	v_cmp_lt_i32_e64 s5, v19, v18
	v_cndmask_b32_e64 v22, v20, v13, s3
	v_cndmask_b32_e64 v23, v2, v21, s3
                                        ; implicit-def: $vgpr20
	v_cmp_ge_i32_e64 s4, v22, v16
	v_cmp_lt_i32_e64 s6, v23, v17
	s_or_b32 s4, s4, s5
	s_and_b32 s4, s6, s4
	s_xor_b32 s5, s4, -1
	s_and_saveexec_b32 s6, s5
	s_xor_b32 s5, exec_lo, s6
; %bb.25:
	v_lshl_add_u32 v20, v22, 2, v3
	ds_read_b32 v20, v20 offset:4
; %bb.26:
	s_or_saveexec_b32 s5, s5
	v_mov_b32_e32 v21, v19
	s_xor_b32 exec_lo, exec_lo, s5
	s_cbranch_execz .LBB19_28
; %bb.27:
	s_waitcnt lgkmcnt(0)
	v_lshl_add_u32 v20, v23, 2, v3
	ds_read_b32 v21, v20 offset:4
	v_mov_b32_e32 v20, v18
.LBB19_28:
	s_or_b32 exec_lo, exec_lo, s5
	v_add_nc_u32_e32 v24, 1, v22
	v_add_nc_u32_e32 v25, 1, v23
	s_waitcnt lgkmcnt(0)
	v_cmp_lt_i32_e64 s6, v21, v20
	v_cndmask_b32_e64 v26, v24, v22, s4
	v_cndmask_b32_e64 v24, v23, v25, s4
                                        ; implicit-def: $vgpr25
	v_cmp_ge_i32_e64 s5, v26, v16
	v_cmp_lt_i32_e64 s7, v24, v17
	s_or_b32 s5, s5, s6
	s_and_b32 s5, s7, s5
	s_xor_b32 s6, s5, -1
	s_and_saveexec_b32 s7, s6
	s_xor_b32 s6, exec_lo, s7
; %bb.29:
	v_lshl_add_u32 v25, v26, 2, v3
	ds_read_b32 v25, v25 offset:4
; %bb.30:
	s_or_saveexec_b32 s6, s6
	v_mov_b32_e32 v27, v21
	s_xor_b32 exec_lo, exec_lo, s6
	s_cbranch_execz .LBB19_32
; %bb.31:
	s_waitcnt lgkmcnt(0)
	v_lshl_add_u32 v25, v24, 2, v3
	ds_read_b32 v27, v25 offset:4
	v_mov_b32_e32 v25, v20
.LBB19_32:
	s_or_b32 exec_lo, exec_lo, s6
	v_add_nc_u32_e32 v28, 1, v26
	v_and_b32_e32 v29, 48, v8
	v_add_nc_u32_e32 v30, 1, v24
	v_cndmask_b32_e64 v31, v26, v24, s5
	v_cndmask_b32_e64 v23, v22, v23, s4
	;; [unrolled: 1-line block ×3, first 2 shown]
	v_min_i32_e32 v22, v6, v29
	v_cndmask_b32_e64 v24, v24, v30, s5
	s_waitcnt lgkmcnt(0)
	v_cmp_lt_i32_e64 s6, v27, v25
	v_cndmask_b32_e64 v13, v13, v2, s3
	v_cmp_ge_i32_e64 s7, v26, v16
	v_add_nc_u32_e32 v2, 8, v22
	v_cmp_lt_i32_e64 s8, v24, v17
	; wave barrier
	s_or_b32 s6, s7, s6
	v_min_i32_e32 v2, v6, v2
	s_and_b32 s6, s8, s6
	ds_write2_b32 v4, v9, v10 offset1:1
	ds_write2_b32 v4, v12, v11 offset0:2 offset1:3
	v_cndmask_b32_e64 v16, v26, v24, s6
	v_lshl_add_u32 v10, v13, 2, v3
	v_add_nc_u32_e32 v9, 8, v2
	v_and_b32_e32 v11, 12, v8
	v_lshl_add_u32 v12, v23, 2, v3
	v_lshl_add_u32 v17, v31, 2, v3
	;; [unrolled: 1-line block ×3, first 2 shown]
	; wave barrier
	v_min_i32_e32 v13, v6, v9
	v_min_i32_e32 v16, v6, v11
	ds_read_b32 v9, v10
	ds_read_b32 v10, v12
	;; [unrolled: 1-line block ×4, first 2 shown]
	v_cndmask_b32_e64 v20, v20, v21, s5
	v_sub_nc_u32_e32 v21, v2, v22
	v_sub_nc_u32_e32 v24, v13, v2
	v_cndmask_b32_e64 v18, v18, v19, s4
	v_cndmask_b32_e64 v14, v14, v15, s3
	;; [unrolled: 1-line block ×3, first 2 shown]
	v_min_i32_e32 v15, v16, v21
	v_sub_nc_u32_e32 v17, v16, v24
	v_cmp_ge_i32_e64 s3, v16, v24
	; wave barrier
	ds_write2_b32 v4, v14, v18 offset1:1
	v_lshl_add_u32 v14, v22, 2, v3
	v_cndmask_b32_e64 v17, 0, v17, s3
	s_mov_b32 s5, 0
	s_mov_b32 s4, exec_lo
	ds_write2_b32 v4, v20, v25 offset0:2 offset1:3
	; wave barrier
	v_cmpx_lt_i32_e64 v17, v15
	s_cbranch_execz .LBB19_36
; %bb.33:
	v_lshlrev_b32_e32 v18, 2, v2
	v_lshlrev_b32_e32 v19, 2, v16
	v_add3_u32 v18, v3, v18, v19
	.p2align	6
.LBB19_34:                              ; =>This Inner Loop Header: Depth=1
	v_sub_nc_u32_e32 v19, v15, v17
	v_lshrrev_b32_e32 v19, 1, v19
	v_add_nc_u32_e32 v19, v19, v17
	v_not_b32_e32 v20, v19
	v_lshl_add_u32 v21, v19, 2, v14
	v_add_nc_u32_e32 v23, 1, v19
	v_lshl_add_u32 v20, v20, 2, v18
	ds_read_b32 v21, v21
	ds_read_b32 v20, v20
	s_waitcnt lgkmcnt(0)
	v_cmp_lt_i32_e64 s3, v20, v21
	v_cndmask_b32_e64 v15, v15, v19, s3
	v_cndmask_b32_e64 v17, v23, v17, s3
	v_cmp_ge_i32_e64 s3, v17, v15
	s_or_b32 s5, s3, s5
	s_andn2_b32 exec_lo, exec_lo, s5
	s_cbranch_execnz .LBB19_34
; %bb.35:
	s_or_b32 exec_lo, exec_lo, s5
.LBB19_36:
	s_or_b32 exec_lo, exec_lo, s4
	v_add_nc_u32_e32 v15, v2, v16
	v_lshl_add_u32 v21, v17, 2, v14
	v_add_nc_u32_e32 v19, v17, v22
                                        ; implicit-def: $vgpr16
	v_sub_nc_u32_e32 v18, v15, v17
	v_cmp_le_i32_e64 s3, v2, v19
	v_lshl_add_u32 v20, v18, 2, v3
	v_cmp_gt_i32_e64 s5, v13, v18
	ds_read_b32 v14, v21
	ds_read_b32 v15, v20
	s_waitcnt lgkmcnt(0)
	v_cmp_lt_i32_e64 s4, v15, v14
	s_or_b32 s3, s3, s4
	s_and_b32 s3, s5, s3
	s_xor_b32 s4, s3, -1
	s_and_saveexec_b32 s5, s4
	s_xor_b32 s4, exec_lo, s5
; %bb.37:
	ds_read_b32 v16, v21 offset:4
                                        ; implicit-def: $vgpr20
; %bb.38:
	s_or_saveexec_b32 s4, s4
	v_mov_b32_e32 v17, v15
	s_xor_b32 exec_lo, exec_lo, s4
	s_cbranch_execz .LBB19_40
; %bb.39:
	ds_read_b32 v17, v20 offset:4
	s_waitcnt lgkmcnt(1)
	v_mov_b32_e32 v16, v14
.LBB19_40:
	s_or_b32 exec_lo, exec_lo, s4
	v_add_nc_u32_e32 v20, 1, v19
	v_add_nc_u32_e32 v21, 1, v18
	s_waitcnt lgkmcnt(0)
	v_cmp_lt_i32_e64 s5, v17, v16
	v_cndmask_b32_e64 v22, v20, v19, s3
	v_cndmask_b32_e64 v23, v18, v21, s3
                                        ; implicit-def: $vgpr20
	v_cmp_ge_i32_e64 s4, v22, v2
	v_cmp_lt_i32_e64 s6, v23, v13
	s_or_b32 s4, s4, s5
	s_and_b32 s4, s6, s4
	s_xor_b32 s5, s4, -1
	s_and_saveexec_b32 s6, s5
	s_xor_b32 s5, exec_lo, s6
; %bb.41:
	v_lshl_add_u32 v20, v22, 2, v3
	ds_read_b32 v20, v20 offset:4
; %bb.42:
	s_or_saveexec_b32 s5, s5
	v_mov_b32_e32 v21, v17
	s_xor_b32 exec_lo, exec_lo, s5
	s_cbranch_execz .LBB19_44
; %bb.43:
	s_waitcnt lgkmcnt(0)
	v_lshl_add_u32 v20, v23, 2, v3
	ds_read_b32 v21, v20 offset:4
	v_mov_b32_e32 v20, v16
.LBB19_44:
	s_or_b32 exec_lo, exec_lo, s5
	v_add_nc_u32_e32 v24, 1, v22
	v_add_nc_u32_e32 v25, 1, v23
	s_waitcnt lgkmcnt(0)
	v_cmp_lt_i32_e64 s6, v21, v20
	v_cndmask_b32_e64 v26, v24, v22, s4
	v_cndmask_b32_e64 v24, v23, v25, s4
                                        ; implicit-def: $vgpr25
	v_cmp_ge_i32_e64 s5, v26, v2
	v_cmp_lt_i32_e64 s7, v24, v13
	s_or_b32 s5, s5, s6
	s_and_b32 s5, s7, s5
	s_xor_b32 s6, s5, -1
	s_and_saveexec_b32 s7, s6
	s_xor_b32 s6, exec_lo, s7
; %bb.45:
	v_lshl_add_u32 v25, v26, 2, v3
	ds_read_b32 v25, v25 offset:4
; %bb.46:
	s_or_saveexec_b32 s6, s6
	v_mov_b32_e32 v27, v21
	s_xor_b32 exec_lo, exec_lo, s6
	s_cbranch_execz .LBB19_48
; %bb.47:
	s_waitcnt lgkmcnt(0)
	v_lshl_add_u32 v25, v24, 2, v3
	ds_read_b32 v27, v25 offset:4
	v_mov_b32_e32 v25, v20
.LBB19_48:
	s_or_b32 exec_lo, exec_lo, s6
	v_add_nc_u32_e32 v28, 1, v26
	v_add_nc_u32_e32 v30, 1, v24
	v_and_b32_e32 v29, 32, v8
	v_cndmask_b32_e64 v31, v26, v24, s5
	v_cndmask_b32_e64 v23, v22, v23, s4
	;; [unrolled: 1-line block ×4, first 2 shown]
	v_min_i32_e32 v22, v6, v29
	s_waitcnt lgkmcnt(0)
	v_cmp_lt_i32_e64 s6, v27, v25
	v_cndmask_b32_e64 v18, v19, v18, s3
	v_cmp_ge_i32_e64 s7, v26, v2
	v_cmp_lt_i32_e64 s8, v24, v13
	v_add_nc_u32_e32 v2, 16, v22
	; wave barrier
	s_or_b32 s6, s7, s6
	ds_write2_b32 v4, v9, v10 offset1:1
	ds_write2_b32 v4, v11, v12 offset0:2 offset1:3
	s_and_b32 s6, s8, s6
	v_min_i32_e32 v2, v6, v2
	v_cndmask_b32_e64 v13, v26, v24, s6
	v_lshl_add_u32 v10, v18, 2, v3
	v_and_b32_e32 v8, 28, v8
	v_lshl_add_u32 v12, v23, 2, v3
	v_add_nc_u32_e32 v9, 16, v2
	v_lshl_add_u32 v18, v31, 2, v3
	v_lshl_add_u32 v23, v13, 2, v3
	; wave barrier
	v_min_i32_e32 v13, v6, v8
	ds_read_b32 v11, v10
	ds_read_b32 v12, v12
	;; [unrolled: 1-line block ×4, first 2 shown]
	v_min_i32_e32 v9, v6, v9
	v_cndmask_b32_e64 v18, v20, v21, s5
	v_sub_nc_u32_e32 v21, v2, v22
	v_cndmask_b32_e64 v17, v16, v17, s4
	v_cndmask_b32_e64 v14, v14, v15, s3
	v_sub_nc_u32_e32 v24, v9, v2
	v_cndmask_b32_e64 v19, v25, v27, s6
	v_min_i32_e32 v16, v13, v21
	; wave barrier
	v_sub_nc_u32_e32 v20, v13, v24
	v_cmp_ge_i32_e64 s3, v13, v24
	ds_write2_b32 v4, v14, v17 offset1:1
	v_lshl_add_u32 v14, v22, 2, v3
	s_mov_b32 s5, 0
	s_mov_b32 s4, exec_lo
	v_cndmask_b32_e64 v15, 0, v20, s3
	ds_write2_b32 v4, v18, v19 offset0:2 offset1:3
	; wave barrier
	v_cmpx_lt_i32_e64 v15, v16
	s_cbranch_execz .LBB19_52
; %bb.49:
	v_lshlrev_b32_e32 v17, 2, v2
	v_lshlrev_b32_e32 v18, 2, v13
	v_add3_u32 v17, v3, v17, v18
	.p2align	6
.LBB19_50:                              ; =>This Inner Loop Header: Depth=1
	v_sub_nc_u32_e32 v18, v16, v15
	v_lshrrev_b32_e32 v18, 1, v18
	v_add_nc_u32_e32 v18, v18, v15
	v_not_b32_e32 v19, v18
	v_lshl_add_u32 v20, v18, 2, v14
	v_add_nc_u32_e32 v21, 1, v18
	v_lshl_add_u32 v19, v19, 2, v17
	ds_read_b32 v20, v20
	ds_read_b32 v19, v19
	s_waitcnt lgkmcnt(0)
	v_cmp_lt_i32_e64 s3, v19, v20
	v_cndmask_b32_e64 v16, v16, v18, s3
	v_cndmask_b32_e64 v15, v21, v15, s3
	v_cmp_ge_i32_e64 s3, v15, v16
	s_or_b32 s5, s3, s5
	s_andn2_b32 exec_lo, exec_lo, s5
	s_cbranch_execnz .LBB19_50
; %bb.51:
	s_or_b32 exec_lo, exec_lo, s5
.LBB19_52:
	s_or_b32 exec_lo, exec_lo, s4
	v_add_nc_u32_e32 v13, v2, v13
	v_lshl_add_u32 v16, v15, 2, v14
	v_add_nc_u32_e32 v18, v15, v22
	v_sub_nc_u32_e32 v17, v13, v15
                                        ; implicit-def: $vgpr15
	v_cmp_le_i32_e64 s3, v2, v18
	v_lshl_add_u32 v19, v17, 2, v3
	v_cmp_gt_i32_e64 s5, v9, v17
	ds_read_b32 v13, v16
	ds_read_b32 v14, v19
	s_waitcnt lgkmcnt(0)
	v_cmp_lt_i32_e64 s4, v14, v13
	s_or_b32 s3, s3, s4
	s_and_b32 s3, s5, s3
	s_xor_b32 s4, s3, -1
	s_and_saveexec_b32 s5, s4
	s_xor_b32 s4, exec_lo, s5
; %bb.53:
	ds_read_b32 v15, v16 offset:4
                                        ; implicit-def: $vgpr19
; %bb.54:
	s_or_saveexec_b32 s4, s4
	v_mov_b32_e32 v16, v14
	s_xor_b32 exec_lo, exec_lo, s4
	s_cbranch_execz .LBB19_56
; %bb.55:
	ds_read_b32 v16, v19 offset:4
	s_waitcnt lgkmcnt(1)
	v_mov_b32_e32 v15, v13
.LBB19_56:
	s_or_b32 exec_lo, exec_lo, s4
	v_add_nc_u32_e32 v19, 1, v18
	v_add_nc_u32_e32 v20, 1, v17
	s_waitcnt lgkmcnt(0)
	v_cmp_lt_i32_e64 s5, v16, v15
	v_cndmask_b32_e64 v21, v19, v18, s3
	v_cndmask_b32_e64 v22, v17, v20, s3
                                        ; implicit-def: $vgpr19
	v_cmp_ge_i32_e64 s4, v21, v2
	v_cmp_lt_i32_e64 s6, v22, v9
	s_or_b32 s4, s4, s5
	s_and_b32 s4, s6, s4
	s_xor_b32 s5, s4, -1
	s_and_saveexec_b32 s6, s5
	s_xor_b32 s5, exec_lo, s6
; %bb.57:
	v_lshl_add_u32 v19, v21, 2, v3
	ds_read_b32 v19, v19 offset:4
; %bb.58:
	s_or_saveexec_b32 s5, s5
	v_mov_b32_e32 v20, v16
	s_xor_b32 exec_lo, exec_lo, s5
	s_cbranch_execz .LBB19_60
; %bb.59:
	s_waitcnt lgkmcnt(0)
	v_lshl_add_u32 v19, v22, 2, v3
	ds_read_b32 v20, v19 offset:4
	v_mov_b32_e32 v19, v15
.LBB19_60:
	s_or_b32 exec_lo, exec_lo, s5
	v_add_nc_u32_e32 v23, 1, v21
	v_add_nc_u32_e32 v25, 1, v22
	s_waitcnt lgkmcnt(0)
	v_cmp_lt_i32_e64 s6, v20, v19
	v_cndmask_b32_e64 v24, v23, v21, s4
	v_cndmask_b32_e64 v23, v22, v25, s4
                                        ; implicit-def: $vgpr25
	v_cmp_ge_i32_e64 s5, v24, v2
	v_cmp_lt_i32_e64 s7, v23, v9
	s_or_b32 s5, s5, s6
	s_and_b32 s5, s7, s5
	s_xor_b32 s6, s5, -1
	s_and_saveexec_b32 s7, s6
	s_xor_b32 s6, exec_lo, s7
; %bb.61:
	v_lshl_add_u32 v25, v24, 2, v3
	ds_read_b32 v25, v25 offset:4
; %bb.62:
	s_or_saveexec_b32 s6, s6
	v_mov_b32_e32 v26, v20
	s_xor_b32 exec_lo, exec_lo, s6
	s_cbranch_execz .LBB19_64
; %bb.63:
	s_waitcnt lgkmcnt(0)
	v_lshl_add_u32 v25, v23, 2, v3
	ds_read_b32 v26, v25 offset:4
	v_mov_b32_e32 v25, v19
.LBB19_64:
	s_or_b32 exec_lo, exec_lo, s6
	v_add_nc_u32_e32 v27, 1, v24
	v_add_nc_u32_e32 v28, 1, v23
	v_cndmask_b32_e64 v29, v24, v23, s5
	v_cndmask_b32_e64 v22, v21, v22, s4
	v_min_i32_e32 v21, 0, v6
	v_cndmask_b32_e64 v24, v27, v24, s5
	v_cndmask_b32_e64 v17, v18, v17, s3
	;; [unrolled: 1-line block ×3, first 2 shown]
	s_waitcnt lgkmcnt(0)
	v_cmp_lt_i32_e64 s6, v26, v25
	v_add_nc_u32_e32 v23, 32, v21
	v_cmp_ge_i32_e64 s7, v24, v2
	v_cmp_lt_i32_e64 s8, v18, v9
	; wave barrier
	v_min_i32_e32 v2, v6, v23
	s_or_b32 s6, s7, s6
	ds_write2_b32 v4, v11, v12 offset1:1
	s_and_b32 s6, s8, s6
	ds_write2_b32 v4, v8, v10 offset0:2 offset1:3
	v_cndmask_b32_e64 v9, v24, v18, s6
	v_add_nc_u32_e32 v11, 32, v2
	v_lshl_add_u32 v8, v17, 2, v3
	v_lshl_add_u32 v12, v22, 2, v3
	;; [unrolled: 1-line block ×4, first 2 shown]
	; wave barrier
	v_min_i32_e32 v10, v6, v11
	v_min_i32_e32 v11, v6, v7
	ds_read_b32 v6, v8
	ds_read_b32 v7, v12
	;; [unrolled: 1-line block ×4, first 2 shown]
	v_cndmask_b32_e64 v17, v19, v20, s5
	v_sub_nc_u32_e32 v19, v2, v21
	v_sub_nc_u32_e32 v18, v10, v2
	v_cndmask_b32_e64 v15, v15, v16, s4
	v_cndmask_b32_e64 v16, v13, v14, s3
	;; [unrolled: 1-line block ×3, first 2 shown]
	v_min_i32_e32 v14, v11, v19
	v_sub_nc_u32_e32 v12, v11, v18
	v_cmp_ge_i32_e64 s3, v11, v18
	s_mov_b32 s5, 0
	s_mov_b32 s4, exec_lo
	; wave barrier
	v_cndmask_b32_e64 v13, 0, v12, s3
	v_lshl_add_u32 v12, v21, 2, v3
	ds_write2_b32 v4, v16, v15 offset1:1
	ds_write2_b32 v4, v17, v23 offset0:2 offset1:3
	; wave barrier
	v_cmpx_lt_i32_e64 v13, v14
	s_cbranch_execz .LBB19_68
; %bb.65:
	v_lshlrev_b32_e32 v15, 2, v2
	v_lshlrev_b32_e32 v16, 2, v11
	v_add3_u32 v15, v3, v15, v16
	.p2align	6
.LBB19_66:                              ; =>This Inner Loop Header: Depth=1
	v_sub_nc_u32_e32 v16, v14, v13
	v_lshrrev_b32_e32 v16, 1, v16
	v_add_nc_u32_e32 v16, v16, v13
	v_not_b32_e32 v17, v16
	v_lshl_add_u32 v18, v16, 2, v12
	v_add_nc_u32_e32 v19, 1, v16
	v_lshl_add_u32 v17, v17, 2, v15
	ds_read_b32 v18, v18
	ds_read_b32 v17, v17
	s_waitcnt lgkmcnt(0)
	v_cmp_lt_i32_e64 s3, v17, v18
	v_cndmask_b32_e64 v14, v14, v16, s3
	v_cndmask_b32_e64 v13, v19, v13, s3
	v_cmp_ge_i32_e64 s3, v13, v14
	s_or_b32 s5, s3, s5
	s_andn2_b32 exec_lo, exec_lo, s5
	s_cbranch_execnz .LBB19_66
; %bb.67:
	s_or_b32 exec_lo, exec_lo, s5
.LBB19_68:
	s_or_b32 exec_lo, exec_lo, s4
	v_add_nc_u32_e32 v11, v2, v11
	v_lshl_add_u32 v15, v13, 2, v12
	v_add_nc_u32_e32 v16, v13, v21
	v_sub_nc_u32_e32 v14, v11, v13
                                        ; implicit-def: $vgpr13
	v_cmp_le_i32_e64 s3, v2, v16
	v_lshl_add_u32 v17, v14, 2, v3
	v_cmp_gt_i32_e64 s5, v10, v14
	ds_read_b32 v11, v15
	ds_read_b32 v12, v17
	s_waitcnt lgkmcnt(0)
	v_cmp_lt_i32_e64 s4, v12, v11
	s_or_b32 s3, s3, s4
	s_and_b32 s3, s5, s3
	s_xor_b32 s4, s3, -1
	s_and_saveexec_b32 s5, s4
	s_xor_b32 s4, exec_lo, s5
; %bb.69:
	ds_read_b32 v13, v15 offset:4
                                        ; implicit-def: $vgpr17
; %bb.70:
	s_or_saveexec_b32 s4, s4
	v_mov_b32_e32 v15, v12
	s_xor_b32 exec_lo, exec_lo, s4
	s_cbranch_execz .LBB19_72
; %bb.71:
	ds_read_b32 v15, v17 offset:4
	s_waitcnt lgkmcnt(1)
	v_mov_b32_e32 v13, v11
.LBB19_72:
	s_or_b32 exec_lo, exec_lo, s4
	v_add_nc_u32_e32 v17, 1, v16
	v_add_nc_u32_e32 v18, 1, v14
	s_waitcnt lgkmcnt(0)
	v_cmp_lt_i32_e64 s5, v15, v13
	v_cndmask_b32_e64 v19, v17, v16, s3
	v_cndmask_b32_e64 v20, v14, v18, s3
                                        ; implicit-def: $vgpr17
	v_cmp_ge_i32_e64 s4, v19, v2
	v_cmp_lt_i32_e64 s6, v20, v10
	s_or_b32 s4, s4, s5
	s_and_b32 s4, s6, s4
	s_xor_b32 s5, s4, -1
	s_and_saveexec_b32 s6, s5
	s_xor_b32 s5, exec_lo, s6
; %bb.73:
	v_lshl_add_u32 v17, v19, 2, v3
	ds_read_b32 v17, v17 offset:4
; %bb.74:
	s_or_saveexec_b32 s5, s5
	v_mov_b32_e32 v18, v15
	s_xor_b32 exec_lo, exec_lo, s5
	s_cbranch_execz .LBB19_76
; %bb.75:
	s_waitcnt lgkmcnt(0)
	v_lshl_add_u32 v17, v20, 2, v3
	ds_read_b32 v18, v17 offset:4
	v_mov_b32_e32 v17, v13
.LBB19_76:
	s_or_b32 exec_lo, exec_lo, s5
	v_add_nc_u32_e32 v21, 1, v19
	v_add_nc_u32_e32 v22, 1, v20
	s_waitcnt lgkmcnt(0)
	v_cmp_lt_i32_e64 s6, v18, v17
                                        ; implicit-def: $vgpr23
	v_cndmask_b32_e64 v25, v21, v19, s4
	v_cndmask_b32_e64 v21, v20, v22, s4
                                        ; implicit-def: $vgpr22
	v_cmp_ge_i32_e64 s5, v25, v2
	v_cmp_lt_i32_e64 s7, v21, v10
	s_or_b32 s5, s5, s6
	s_and_b32 s5, s7, s5
	s_xor_b32 s6, s5, -1
	s_and_saveexec_b32 s7, s6
	s_xor_b32 s6, exec_lo, s7
; %bb.77:
	v_lshl_add_u32 v22, v25, 2, v3
	ds_read_b32 v23, v22 offset:4
	v_add_nc_u32_e32 v22, 1, v25
; %bb.78:
	s_or_saveexec_b32 s6, s6
	v_mov_b32_e32 v24, v25
	v_mov_b32_e32 v26, v18
	s_xor_b32 exec_lo, exec_lo, s6
	s_cbranch_execz .LBB19_80
; %bb.79:
	v_lshl_add_u32 v22, v21, 2, v3
	s_waitcnt lgkmcnt(0)
	v_add_nc_u32_e32 v23, 1, v21
	v_mov_b32_e32 v24, v21
	ds_read_b32 v26, v22 offset:4
	v_mov_b32_e32 v22, v25
	v_mov_b32_e32 v21, v23
	;; [unrolled: 1-line block ×3, first 2 shown]
.LBB19_80:
	s_or_b32 exec_lo, exec_lo, s6
	v_cmp_ge_i32_e64 s6, v22, v2
	s_waitcnt lgkmcnt(0)
	v_cmp_lt_i32_e64 s7, v26, v23
	v_cmp_lt_i32_e64 s8, v21, v10
	v_cndmask_b32_e64 v10, v16, v14, s3
	v_cndmask_b32_e64 v2, v19, v20, s4
	s_or_b32 s6, s6, s7
	; wave barrier
	s_and_b32 s6, s8, s6
	ds_write2_b32 v4, v6, v7 offset1:1
	ds_write2_b32 v4, v8, v9 offset0:2 offset1:3
	v_cndmask_b32_e64 v16, v22, v21, s6
	v_lshl_add_u32 v4, v10, 2, v3
	v_lshl_add_u32 v2, v2, 2, v3
	;; [unrolled: 1-line block ×4, first 2 shown]
	; wave barrier
	ds_read_b32 v4, v4
	ds_read_b32 v2, v2
	;; [unrolled: 1-line block ×4, first 2 shown]
	v_cndmask_b32_e64 v14, v23, v26, s6
	v_cndmask_b32_e64 v7, v11, v12, s3
	v_cndmask_b32_e64 v8, v13, v15, s4
	v_cndmask_b32_e64 v9, v17, v18, s5
	v_add_co_u32 v0, s3, s10, v0
	v_add_co_ci_u32_e64 v1, null, s11, v1, s3
	v_add_co_u32 v0, s3, v0, v5
	v_add_co_ci_u32_e64 v1, null, 0, v1, s3
	s_waitcnt lgkmcnt(3)
	v_add_nc_u32_e32 v4, v4, v7
	s_waitcnt lgkmcnt(2)
	v_add_nc_u32_e32 v2, v8, v2
	;; [unrolled: 2-line block ×4, first 2 shown]
	v_cndmask_b32_e32 v6, v7, v4, vcc_lo
	v_cndmask_b32_e64 v4, v8, v2, s0
	v_cndmask_b32_e64 v3, v9, v10, s1
	v_cndmask_b32_e64 v2, v14, v11, s2
	s_and_saveexec_b32 s3, vcc_lo
	s_cbranch_execnz .LBB19_85
; %bb.81:
	s_or_b32 exec_lo, exec_lo, s3
	s_and_saveexec_b32 s3, s0
	s_cbranch_execnz .LBB19_86
.LBB19_82:
	s_or_b32 exec_lo, exec_lo, s3
	s_and_saveexec_b32 s0, s1
	s_cbranch_execnz .LBB19_87
.LBB19_83:
	s_or_b32 exec_lo, exec_lo, s0
	s_and_saveexec_b32 s0, s2
	s_cbranch_execnz .LBB19_88
.LBB19_84:
	s_endpgm
.LBB19_85:
	global_store_dword v[0:1], v6, off
	s_or_b32 exec_lo, exec_lo, s3
	s_and_saveexec_b32 s3, s0
	s_cbranch_execz .LBB19_82
.LBB19_86:
	global_store_dword v[0:1], v4, off offset:4
	s_or_b32 exec_lo, exec_lo, s3
	s_and_saveexec_b32 s0, s1
	s_cbranch_execz .LBB19_83
.LBB19_87:
	global_store_dword v[0:1], v3, off offset:8
	s_or_b32 exec_lo, exec_lo, s0
	s_and_saveexec_b32 s0, s2
	s_cbranch_execz .LBB19_84
.LBB19_88:
	global_store_dword v[0:1], v2, off offset:12
	s_endpgm
	.section	.rodata,"a",@progbits
	.p2align	6, 0x0
	.amdhsa_kernel _Z20sort_pairs_segmentedILj256ELj16ELj4EiN10test_utils4lessEEvPKT2_PS2_PKjT3_
		.amdhsa_group_segment_fixed_size 4160
		.amdhsa_private_segment_fixed_size 0
		.amdhsa_kernarg_size 28
		.amdhsa_user_sgpr_count 6
		.amdhsa_user_sgpr_private_segment_buffer 1
		.amdhsa_user_sgpr_dispatch_ptr 0
		.amdhsa_user_sgpr_queue_ptr 0
		.amdhsa_user_sgpr_kernarg_segment_ptr 1
		.amdhsa_user_sgpr_dispatch_id 0
		.amdhsa_user_sgpr_flat_scratch_init 0
		.amdhsa_user_sgpr_private_segment_size 0
		.amdhsa_wavefront_size32 1
		.amdhsa_uses_dynamic_stack 0
		.amdhsa_system_sgpr_private_segment_wavefront_offset 0
		.amdhsa_system_sgpr_workgroup_id_x 1
		.amdhsa_system_sgpr_workgroup_id_y 0
		.amdhsa_system_sgpr_workgroup_id_z 0
		.amdhsa_system_sgpr_workgroup_info 0
		.amdhsa_system_vgpr_workitem_id 0
		.amdhsa_next_free_vgpr 32
		.amdhsa_next_free_sgpr 12
		.amdhsa_reserve_vcc 1
		.amdhsa_reserve_flat_scratch 0
		.amdhsa_float_round_mode_32 0
		.amdhsa_float_round_mode_16_64 0
		.amdhsa_float_denorm_mode_32 3
		.amdhsa_float_denorm_mode_16_64 3
		.amdhsa_dx10_clamp 1
		.amdhsa_ieee_mode 1
		.amdhsa_fp16_overflow 0
		.amdhsa_workgroup_processor_mode 1
		.amdhsa_memory_ordered 1
		.amdhsa_forward_progress 1
		.amdhsa_shared_vgpr_count 0
		.amdhsa_exception_fp_ieee_invalid_op 0
		.amdhsa_exception_fp_denorm_src 0
		.amdhsa_exception_fp_ieee_div_zero 0
		.amdhsa_exception_fp_ieee_overflow 0
		.amdhsa_exception_fp_ieee_underflow 0
		.amdhsa_exception_fp_ieee_inexact 0
		.amdhsa_exception_int_div_zero 0
	.end_amdhsa_kernel
	.section	.text._Z20sort_pairs_segmentedILj256ELj16ELj4EiN10test_utils4lessEEvPKT2_PS2_PKjT3_,"axG",@progbits,_Z20sort_pairs_segmentedILj256ELj16ELj4EiN10test_utils4lessEEvPKT2_PS2_PKjT3_,comdat
.Lfunc_end19:
	.size	_Z20sort_pairs_segmentedILj256ELj16ELj4EiN10test_utils4lessEEvPKT2_PS2_PKjT3_, .Lfunc_end19-_Z20sort_pairs_segmentedILj256ELj16ELj4EiN10test_utils4lessEEvPKT2_PS2_PKjT3_
                                        ; -- End function
	.set _Z20sort_pairs_segmentedILj256ELj16ELj4EiN10test_utils4lessEEvPKT2_PS2_PKjT3_.num_vgpr, 32
	.set _Z20sort_pairs_segmentedILj256ELj16ELj4EiN10test_utils4lessEEvPKT2_PS2_PKjT3_.num_agpr, 0
	.set _Z20sort_pairs_segmentedILj256ELj16ELj4EiN10test_utils4lessEEvPKT2_PS2_PKjT3_.numbered_sgpr, 12
	.set _Z20sort_pairs_segmentedILj256ELj16ELj4EiN10test_utils4lessEEvPKT2_PS2_PKjT3_.num_named_barrier, 0
	.set _Z20sort_pairs_segmentedILj256ELj16ELj4EiN10test_utils4lessEEvPKT2_PS2_PKjT3_.private_seg_size, 0
	.set _Z20sort_pairs_segmentedILj256ELj16ELj4EiN10test_utils4lessEEvPKT2_PS2_PKjT3_.uses_vcc, 1
	.set _Z20sort_pairs_segmentedILj256ELj16ELj4EiN10test_utils4lessEEvPKT2_PS2_PKjT3_.uses_flat_scratch, 0
	.set _Z20sort_pairs_segmentedILj256ELj16ELj4EiN10test_utils4lessEEvPKT2_PS2_PKjT3_.has_dyn_sized_stack, 0
	.set _Z20sort_pairs_segmentedILj256ELj16ELj4EiN10test_utils4lessEEvPKT2_PS2_PKjT3_.has_recursion, 0
	.set _Z20sort_pairs_segmentedILj256ELj16ELj4EiN10test_utils4lessEEvPKT2_PS2_PKjT3_.has_indirect_call, 0
	.section	.AMDGPU.csdata,"",@progbits
; Kernel info:
; codeLenInByte = 4436
; TotalNumSgprs: 14
; NumVgprs: 32
; ScratchSize: 0
; MemoryBound: 0
; FloatMode: 240
; IeeeMode: 1
; LDSByteSize: 4160 bytes/workgroup (compile time only)
; SGPRBlocks: 0
; VGPRBlocks: 3
; NumSGPRsForWavesPerEU: 14
; NumVGPRsForWavesPerEU: 32
; Occupancy: 16
; WaveLimiterHint : 0
; COMPUTE_PGM_RSRC2:SCRATCH_EN: 0
; COMPUTE_PGM_RSRC2:USER_SGPR: 6
; COMPUTE_PGM_RSRC2:TRAP_HANDLER: 0
; COMPUTE_PGM_RSRC2:TGID_X_EN: 1
; COMPUTE_PGM_RSRC2:TGID_Y_EN: 0
; COMPUTE_PGM_RSRC2:TGID_Z_EN: 0
; COMPUTE_PGM_RSRC2:TIDIG_COMP_CNT: 0
	.section	.text._Z9sort_keysILj256ELj16ELj8EiN10test_utils4lessEEvPKT2_PS2_T3_,"axG",@progbits,_Z9sort_keysILj256ELj16ELj8EiN10test_utils4lessEEvPKT2_PS2_T3_,comdat
	.protected	_Z9sort_keysILj256ELj16ELj8EiN10test_utils4lessEEvPKT2_PS2_T3_ ; -- Begin function _Z9sort_keysILj256ELj16ELj8EiN10test_utils4lessEEvPKT2_PS2_T3_
	.globl	_Z9sort_keysILj256ELj16ELj8EiN10test_utils4lessEEvPKT2_PS2_T3_
	.p2align	8
	.type	_Z9sort_keysILj256ELj16ELj8EiN10test_utils4lessEEvPKT2_PS2_T3_,@function
_Z9sort_keysILj256ELj16ELj8EiN10test_utils4lessEEvPKT2_PS2_T3_: ; @_Z9sort_keysILj256ELj16ELj8EiN10test_utils4lessEEvPKT2_PS2_T3_
; %bb.0:
	s_load_dwordx4 s[8:11], s[4:5], 0x0
	s_mov_b32 s5, 0
	s_lshl_b32 s4, s6, 11
	v_lshlrev_b32_e32 v1, 5, v0
	s_lshl_b64 s[12:13], s[4:5], 2
	v_lshrrev_b32_e32 v7, 4, v0
	v_lshlrev_b32_e32 v3, 3, v0
	v_mov_b32_e32 v12, 0
	s_waitcnt lgkmcnt(0)
	s_add_u32 s0, s8, s12
	s_addc_u32 s1, s9, s13
	s_clause 0x1
	global_load_dwordx4 v[13:16], v1, s[0:1]
	global_load_dwordx4 v[17:20], v1, s[0:1] offset:16
	v_mbcnt_lo_u32_b32 v1, -1, 0
	; wave barrier
	v_lshlrev_b32_e32 v4, 3, v1
	v_and_b32_e32 v11, 0x70, v4
	v_and_b32_e32 v8, 8, v4
	;; [unrolled: 1-line block ×3, first 2 shown]
	v_or_b32_e32 v5, 8, v11
	v_lshlrev_b32_e32 v6, 2, v11
	v_lshlrev_b32_e32 v2, 2, v1
	v_sub_nc_u32_e32 v9, v5, v11
	v_mad_u32_u24 v6, 0x204, v7, v6
	v_mad_u32_u24 v2, 0x204, v7, v2
	v_min_i32_e32 v0, v8, v9
	s_waitcnt vmcnt(1)
	v_cmp_lt_i32_e32 vcc_lo, v14, v13
	v_min_i32_e32 v10, v14, v13
	v_max_i32_e32 v21, v14, v13
	v_cmp_lt_i32_e64 s0, v16, v15
	v_max_i32_e32 v23, v16, v15
	v_min_i32_e32 v24, v16, v15
	s_waitcnt vmcnt(0)
	v_cmp_lt_i32_e64 s1, v18, v17
	v_max_i32_e32 v26, v18, v17
	v_min_i32_e32 v27, v18, v17
	v_cmp_lt_i32_e64 s2, v20, v19
	v_min_i32_e32 v30, v20, v19
	v_max_i32_e32 v29, v20, v19
	v_cndmask_b32_e32 v9, v13, v14, vcc_lo
	v_cndmask_b32_e64 v22, v16, v15, s0
	v_cndmask_b32_e64 v25, v18, v17, s1
	;; [unrolled: 1-line block ×3, first 2 shown]
	v_cndmask_b32_e32 v13, v14, v13, vcc_lo
	v_cndmask_b32_e64 v14, v15, v16, s0
	v_cndmask_b32_e64 v15, v17, v18, s1
	;; [unrolled: 1-line block ×3, first 2 shown]
	v_cmp_lt_i32_e32 vcc_lo, v24, v21
	v_max_i32_e32 v17, v24, v21
	v_min_i32_e32 v18, v24, v21
	v_cmp_lt_i32_e64 s0, v27, v23
	v_min_i32_e32 v20, v27, v23
	v_cmp_lt_i32_e64 s1, v30, v26
	v_cmp_lt_i32_e64 s2, v24, v10
	v_max_i32_e32 v19, v27, v23
	v_max_i32_e32 v31, v30, v26
	v_min_i32_e32 v32, v30, v26
	v_cmp_gt_i32_e64 s3, v26, v29
	v_cndmask_b32_e32 v14, v14, v21, vcc_lo
	v_cndmask_b32_e32 v13, v13, v24, vcc_lo
	v_cndmask_b32_e64 v15, v15, v23, s0
	v_cndmask_b32_e64 v21, v22, v27, s0
	;; [unrolled: 1-line block ×6, first 2 shown]
	v_cmp_lt_i32_e32 vcc_lo, v20, v17
	v_min_i32_e32 v25, v20, v17
	v_cndmask_b32_e64 v16, v16, v26, s1
	v_max_i32_e32 v26, v32, v19
	v_cndmask_b32_e64 v28, v28, v31, s3
	v_cndmask_b32_e64 v30, v29, v31, s3
	;; [unrolled: 1-line block ×3, first 2 shown]
	v_max_i32_e32 v24, v20, v17
	v_cmp_lt_i32_e64 s0, v32, v19
	v_min_i32_e32 v27, v32, v19
	v_cndmask_b32_e64 v10, v13, v10, s2
	v_cndmask_b32_e32 v13, v21, v17, vcc_lo
	v_cndmask_b32_e32 v14, v14, v20, vcc_lo
	v_cmp_lt_i32_e32 vcc_lo, v25, v18
	v_min_i32_e32 v20, v25, v18
	v_cndmask_b32_e64 v16, v16, v29, s3
	v_max_i32_e32 v29, v31, v26
	v_cndmask_b32_e64 v17, v22, v19, s0
	v_cndmask_b32_e64 v15, v15, v32, s0
	v_max_i32_e32 v19, v25, v18
	v_cmp_lt_i32_e64 s0, v27, v24
	v_max_i32_e32 v21, v27, v24
	v_min_i32_e32 v22, v27, v24
	v_cmp_lt_i32_e64 s1, v31, v26
	v_min_i32_e32 v32, v31, v26
	v_cndmask_b32_e32 v14, v14, v18, vcc_lo
	v_cndmask_b32_e32 v10, v10, v25, vcc_lo
	v_cmp_lt_i32_e32 vcc_lo, v20, v23
	v_cmp_lt_i32_e64 s2, v30, v29
	v_cndmask_b32_e64 v15, v15, v24, s0
	v_cndmask_b32_e64 v13, v13, v27, s0
	;; [unrolled: 1-line block ×4, first 2 shown]
	v_cndmask_b32_e32 v9, v9, v20, vcc_lo
	v_min_i32_e32 v18, v20, v23
	v_max_i32_e32 v20, v20, v23
	v_cmp_lt_i32_e64 s0, v22, v19
	v_max_i32_e32 v24, v22, v19
	v_min_i32_e32 v25, v22, v19
	v_cmp_lt_i32_e64 s1, v32, v21
	v_min_i32_e32 v27, v32, v21
	v_max_i32_e32 v26, v32, v21
	v_cndmask_b32_e64 v28, v28, v29, s2
	v_max_i32_e32 v31, v30, v29
	v_min_i32_e32 v29, v30, v29
	v_cndmask_b32_e32 v10, v10, v23, vcc_lo
	v_cndmask_b32_e64 v13, v13, v19, s0
	v_cndmask_b32_e64 v14, v14, v22, s0
	;; [unrolled: 1-line block ×5, first 2 shown]
	v_cmp_lt_i32_e32 vcc_lo, v25, v20
	v_max_i32_e32 v19, v25, v20
	v_min_i32_e32 v21, v25, v20
	v_cmp_lt_i32_e64 s0, v27, v24
	v_min_i32_e32 v23, v27, v24
	v_cmp_lt_i32_e64 s2, v25, v18
	v_max_i32_e32 v22, v27, v24
	v_cmp_lt_i32_e64 s1, v29, v26
	v_min_i32_e32 v32, v29, v26
	v_max_i32_e32 v30, v29, v26
	v_cmp_gt_i32_e64 s3, v26, v31
	v_cndmask_b32_e32 v10, v10, v25, vcc_lo
	v_cndmask_b32_e32 v14, v14, v20, vcc_lo
	v_cndmask_b32_e64 v15, v15, v24, s0
	v_cndmask_b32_e64 v13, v13, v27, s0
	;; [unrolled: 1-line block ×3, first 2 shown]
	v_cmp_lt_i32_e32 vcc_lo, v23, v19
	v_min_i32_e32 v24, v23, v19
	v_cndmask_b32_e64 v16, v16, v26, s1
	v_cndmask_b32_e64 v17, v17, v29, s1
	;; [unrolled: 1-line block ×3, first 2 shown]
	v_max_i32_e32 v21, v23, v19
	v_cmp_lt_i32_e64 s0, v32, v22
	v_min_i32_e32 v26, v32, v22
	v_max_i32_e32 v25, v32, v22
	v_cndmask_b32_e64 v27, v28, v30, s3
	v_cndmask_b32_e64 v28, v30, v31, s3
	;; [unrolled: 1-line block ×3, first 2 shown]
	v_cndmask_b32_e32 v14, v14, v23, vcc_lo
	v_cndmask_b32_e32 v13, v13, v19, vcc_lo
	v_cmp_lt_i32_e32 vcc_lo, v24, v20
	v_cndmask_b32_e64 v17, v17, v22, s0
	v_cndmask_b32_e64 v15, v15, v32, s0
	v_cmp_lt_i32_e64 s0, v26, v21
	v_cmp_lt_i32_e64 s1, v28, v25
	v_cndmask_b32_e64 v16, v16, v31, s3
	v_cndmask_b32_e32 v10, v10, v24, vcc_lo
	v_cndmask_b32_e32 v14, v14, v20, vcc_lo
	v_cndmask_b32_e64 v13, v13, v26, s0
	v_cndmask_b32_e64 v15, v15, v21, s0
	;; [unrolled: 1-line block ×4, first 2 shown]
	s_mov_b32 s0, exec_lo
	ds_write2_b32 v2, v9, v10 offset1:1
	ds_write2_b32 v2, v14, v13 offset0:2 offset1:3
	ds_write2_b32 v2, v15, v17 offset0:4 offset1:5
	;; [unrolled: 1-line block ×3, first 2 shown]
	; wave barrier
	v_cmpx_lt_i32_e32 0, v0
	s_cbranch_execz .LBB20_4
; %bb.1:
	v_lshl_add_u32 v9, v8, 2, v6
	v_mov_b32_e32 v12, 0
	.p2align	6
.LBB20_2:                               ; =>This Inner Loop Header: Depth=1
	v_sub_nc_u32_e32 v10, v0, v12
	v_lshrrev_b32_e32 v10, 1, v10
	v_add_nc_u32_e32 v10, v10, v12
	v_not_b32_e32 v13, v10
	v_lshl_add_u32 v14, v10, 2, v6
	v_add_nc_u32_e32 v15, 1, v10
	v_lshl_add_u32 v13, v13, 2, v9
	ds_read_b32 v14, v14
	ds_read_b32 v13, v13 offset:32
	s_waitcnt lgkmcnt(0)
	v_cmp_lt_i32_e32 vcc_lo, v13, v14
	v_cndmask_b32_e32 v0, v0, v10, vcc_lo
	v_cndmask_b32_e32 v12, v15, v12, vcc_lo
	v_cmp_ge_i32_e32 vcc_lo, v12, v0
	s_or_b32 s5, vcc_lo, s5
	s_andn2_b32 exec_lo, exec_lo, s5
	s_cbranch_execnz .LBB20_2
; %bb.3:
	s_or_b32 exec_lo, exec_lo, s5
.LBB20_4:
	s_or_b32 exec_lo, exec_lo, s0
	v_mul_u32_u24_e32 v0, 0x204, v7
	v_add_nc_u32_e32 v7, v11, v8
	v_lshl_add_u32 v10, v12, 2, v6
	v_add_nc_u32_e32 v9, v5, v8
	v_add_nc_u32_e32 v8, 16, v11
	v_cmp_lt_i32_e32 vcc_lo, 7, v12
	v_sub_nc_u32_e32 v7, v7, v12
	v_sub_nc_u32_e32 v13, v9, v12
                                        ; implicit-def: $vgpr9
	v_lshl_add_u32 v14, v7, 2, v0
	ds_read_b32 v6, v10
	ds_read_b32 v7, v14 offset:32
	v_cmp_gt_i32_e64 s1, v8, v13
	s_waitcnt lgkmcnt(0)
	v_cmp_lt_i32_e64 s0, v7, v6
	s_or_b32 s0, vcc_lo, s0
	s_and_b32 vcc_lo, s1, s0
	s_xor_b32 s0, vcc_lo, -1
	s_and_saveexec_b32 s1, s0
	s_xor_b32 s0, exec_lo, s1
; %bb.5:
	ds_read_b32 v9, v10 offset:4
                                        ; implicit-def: $vgpr14
; %bb.6:
	s_or_saveexec_b32 s0, s0
	v_mov_b32_e32 v10, v7
	s_xor_b32 exec_lo, exec_lo, s0
	s_cbranch_execz .LBB20_8
; %bb.7:
	ds_read_b32 v10, v14 offset:36
	s_waitcnt lgkmcnt(1)
	v_mov_b32_e32 v9, v6
.LBB20_8:
	s_or_b32 exec_lo, exec_lo, s0
	v_add_nc_u32_e32 v11, v12, v11
	v_add_nc_u32_e32 v15, 1, v13
	s_waitcnt lgkmcnt(0)
	v_cmp_lt_i32_e64 s1, v10, v9
	v_add_nc_u32_e32 v12, 1, v11
	v_cndmask_b32_e32 v13, v13, v15, vcc_lo
	v_cndmask_b32_e32 v14, v12, v11, vcc_lo
	v_cmp_lt_i32_e64 s2, v13, v8
                                        ; implicit-def: $vgpr11
	v_cmp_ge_i32_e64 s0, v14, v5
	s_or_b32 s0, s0, s1
	s_and_b32 s0, s2, s0
	s_xor_b32 s1, s0, -1
	s_and_saveexec_b32 s2, s1
	s_xor_b32 s1, exec_lo, s2
; %bb.9:
	v_lshl_add_u32 v11, v14, 2, v0
	ds_read_b32 v11, v11 offset:4
; %bb.10:
	s_or_saveexec_b32 s1, s1
	v_mov_b32_e32 v12, v10
	s_xor_b32 exec_lo, exec_lo, s1
	s_cbranch_execz .LBB20_12
; %bb.11:
	s_waitcnt lgkmcnt(0)
	v_lshl_add_u32 v11, v13, 2, v0
	ds_read_b32 v12, v11 offset:4
	v_mov_b32_e32 v11, v9
.LBB20_12:
	s_or_b32 exec_lo, exec_lo, s1
	v_add_nc_u32_e32 v15, 1, v14
	v_add_nc_u32_e32 v17, 1, v13
	s_waitcnt lgkmcnt(0)
	v_cmp_lt_i32_e64 s2, v12, v11
	v_cndmask_b32_e64 v16, v15, v14, s0
	v_cndmask_b32_e64 v15, v13, v17, s0
                                        ; implicit-def: $vgpr13
	v_cmp_ge_i32_e64 s1, v16, v5
	v_cmp_lt_i32_e64 s3, v15, v8
	s_or_b32 s1, s1, s2
	s_and_b32 s1, s3, s1
	s_xor_b32 s2, s1, -1
	s_and_saveexec_b32 s3, s2
	s_xor_b32 s2, exec_lo, s3
; %bb.13:
	v_lshl_add_u32 v13, v16, 2, v0
	ds_read_b32 v13, v13 offset:4
; %bb.14:
	s_or_saveexec_b32 s2, s2
	v_mov_b32_e32 v14, v12
	s_xor_b32 exec_lo, exec_lo, s2
	s_cbranch_execz .LBB20_16
; %bb.15:
	s_waitcnt lgkmcnt(0)
	v_lshl_add_u32 v13, v15, 2, v0
	ds_read_b32 v14, v13 offset:4
	v_mov_b32_e32 v13, v11
.LBB20_16:
	s_or_b32 exec_lo, exec_lo, s2
	v_add_nc_u32_e32 v17, 1, v16
	v_add_nc_u32_e32 v19, 1, v15
	s_waitcnt lgkmcnt(0)
	v_cmp_lt_i32_e64 s3, v14, v13
	v_cndmask_b32_e64 v18, v17, v16, s1
	v_cndmask_b32_e64 v17, v15, v19, s1
                                        ; implicit-def: $vgpr15
	v_cmp_ge_i32_e64 s2, v18, v5
	v_cmp_lt_i32_e64 s4, v17, v8
	s_or_b32 s2, s2, s3
	s_and_b32 s2, s4, s2
	s_xor_b32 s3, s2, -1
	s_and_saveexec_b32 s4, s3
	s_xor_b32 s3, exec_lo, s4
; %bb.17:
	v_lshl_add_u32 v15, v18, 2, v0
	ds_read_b32 v15, v15 offset:4
; %bb.18:
	s_or_saveexec_b32 s3, s3
	v_mov_b32_e32 v16, v14
	s_xor_b32 exec_lo, exec_lo, s3
	s_cbranch_execz .LBB20_20
; %bb.19:
	s_waitcnt lgkmcnt(0)
	v_lshl_add_u32 v15, v17, 2, v0
	ds_read_b32 v16, v15 offset:4
	v_mov_b32_e32 v15, v13
.LBB20_20:
	s_or_b32 exec_lo, exec_lo, s3
	v_add_nc_u32_e32 v19, 1, v18
	v_add_nc_u32_e32 v21, 1, v17
	s_waitcnt lgkmcnt(0)
	v_cmp_lt_i32_e64 s4, v16, v15
	v_cndmask_b32_e64 v20, v19, v18, s2
	v_cndmask_b32_e64 v19, v17, v21, s2
                                        ; implicit-def: $vgpr17
	v_cmp_ge_i32_e64 s3, v20, v5
	v_cmp_lt_i32_e64 s5, v19, v8
	s_or_b32 s3, s3, s4
	s_and_b32 s3, s5, s3
	s_xor_b32 s4, s3, -1
	s_and_saveexec_b32 s5, s4
	s_xor_b32 s4, exec_lo, s5
; %bb.21:
	v_lshl_add_u32 v17, v20, 2, v0
	ds_read_b32 v17, v17 offset:4
; %bb.22:
	s_or_saveexec_b32 s4, s4
	v_mov_b32_e32 v18, v16
	s_xor_b32 exec_lo, exec_lo, s4
	s_cbranch_execz .LBB20_24
; %bb.23:
	s_waitcnt lgkmcnt(0)
	v_lshl_add_u32 v17, v19, 2, v0
	ds_read_b32 v18, v17 offset:4
	v_mov_b32_e32 v17, v15
.LBB20_24:
	s_or_b32 exec_lo, exec_lo, s4
	v_add_nc_u32_e32 v21, 1, v20
	v_add_nc_u32_e32 v22, 1, v19
	s_waitcnt lgkmcnt(0)
	v_cmp_lt_i32_e64 s5, v18, v17
	v_cndmask_b32_e64 v21, v21, v20, s3
	v_cndmask_b32_e64 v20, v19, v22, s3
                                        ; implicit-def: $vgpr19
	v_cmp_ge_i32_e64 s4, v21, v5
	v_cmp_lt_i32_e64 s6, v20, v8
	s_or_b32 s4, s4, s5
	s_and_b32 s4, s6, s4
	s_xor_b32 s5, s4, -1
	s_and_saveexec_b32 s6, s5
	s_xor_b32 s5, exec_lo, s6
; %bb.25:
	v_lshl_add_u32 v19, v21, 2, v0
	ds_read_b32 v19, v19 offset:4
; %bb.26:
	s_or_saveexec_b32 s5, s5
	v_mov_b32_e32 v22, v18
	s_xor_b32 exec_lo, exec_lo, s5
	s_cbranch_execz .LBB20_28
; %bb.27:
	s_waitcnt lgkmcnt(0)
	v_lshl_add_u32 v19, v20, 2, v0
	ds_read_b32 v22, v19 offset:4
	v_mov_b32_e32 v19, v17
.LBB20_28:
	s_or_b32 exec_lo, exec_lo, s5
	v_add_nc_u32_e32 v23, 1, v21
	v_add_nc_u32_e32 v25, 1, v20
	s_waitcnt lgkmcnt(0)
	v_cmp_lt_i32_e64 s6, v22, v19
	v_cndmask_b32_e64 v24, v23, v21, s4
	v_cndmask_b32_e64 v20, v20, v25, s4
                                        ; implicit-def: $vgpr21
	v_cmp_ge_i32_e64 s5, v24, v5
	v_cmp_lt_i32_e64 s7, v20, v8
	s_or_b32 s5, s5, s6
	s_and_b32 s5, s7, s5
	s_xor_b32 s6, s5, -1
	s_and_saveexec_b32 s7, s6
	s_xor_b32 s6, exec_lo, s7
; %bb.29:
	v_lshl_add_u32 v21, v24, 2, v0
	ds_read_b32 v21, v21 offset:4
; %bb.30:
	s_or_saveexec_b32 s6, s6
	v_mov_b32_e32 v23, v22
	s_xor_b32 exec_lo, exec_lo, s6
	s_cbranch_execz .LBB20_32
; %bb.31:
	s_waitcnt lgkmcnt(0)
	v_lshl_add_u32 v21, v20, 2, v0
	ds_read_b32 v23, v21 offset:4
	v_mov_b32_e32 v21, v19
.LBB20_32:
	s_or_b32 exec_lo, exec_lo, s6
	v_add_nc_u32_e32 v25, 1, v24
	v_cndmask_b32_e64 v19, v19, v22, s5
	v_add_nc_u32_e32 v22, 1, v20
	v_cndmask_b32_e64 v15, v15, v16, s3
	v_cndmask_b32_e64 v13, v13, v14, s2
	;; [unrolled: 1-line block ×4, first 2 shown]
	v_and_b32_e32 v11, 0x60, v4
	v_cndmask_b32_e64 v12, v20, v22, s5
	s_waitcnt lgkmcnt(0)
	v_cmp_lt_i32_e64 s2, v23, v21
	v_cmp_ge_i32_e64 s1, v16, v5
	v_cndmask_b32_e64 v9, v9, v10, s0
	v_or_b32_e32 v5, 16, v11
	v_cmp_lt_i32_e64 s0, v12, v8
	v_cndmask_b32_e32 v6, v6, v7, vcc_lo
	v_and_b32_e32 v8, 24, v4
	s_or_b32 s1, s1, s2
	v_sub_nc_u32_e32 v7, v5, v11
	s_and_b32 vcc_lo, s0, s1
	v_cndmask_b32_e64 v17, v17, v18, s4
	; wave barrier
	v_sub_nc_u32_e64 v12, v8, 16 clamp
	v_min_i32_e32 v7, v8, v7
	ds_write2_b32 v2, v6, v9 offset1:1
	ds_write2_b32 v2, v14, v13 offset0:2 offset1:3
	v_lshl_add_u32 v6, v11, 2, v0
	v_cndmask_b32_e32 v10, v21, v23, vcc_lo
	s_mov_b32 s0, exec_lo
	ds_write2_b32 v2, v15, v17 offset0:4 offset1:5
	ds_write2_b32 v2, v19, v10 offset0:6 offset1:7
	; wave barrier
	v_cmpx_lt_i32_e64 v12, v7
	s_cbranch_execz .LBB20_36
; %bb.33:
	v_lshl_add_u32 v9, v8, 2, v6
	s_mov_b32 s1, 0
	.p2align	6
.LBB20_34:                              ; =>This Inner Loop Header: Depth=1
	v_sub_nc_u32_e32 v10, v7, v12
	v_lshrrev_b32_e32 v10, 1, v10
	v_add_nc_u32_e32 v10, v10, v12
	v_not_b32_e32 v13, v10
	v_lshl_add_u32 v14, v10, 2, v6
	v_add_nc_u32_e32 v15, 1, v10
	v_lshl_add_u32 v13, v13, 2, v9
	ds_read_b32 v14, v14
	ds_read_b32 v13, v13 offset:64
	s_waitcnt lgkmcnt(0)
	v_cmp_lt_i32_e32 vcc_lo, v13, v14
	v_cndmask_b32_e32 v7, v7, v10, vcc_lo
	v_cndmask_b32_e32 v12, v15, v12, vcc_lo
	v_cmp_ge_i32_e32 vcc_lo, v12, v7
	s_or_b32 s1, vcc_lo, s1
	s_andn2_b32 exec_lo, exec_lo, s1
	s_cbranch_execnz .LBB20_34
; %bb.35:
	s_or_b32 exec_lo, exec_lo, s1
.LBB20_36:
	s_or_b32 exec_lo, exec_lo, s0
	v_add_nc_u32_e32 v7, v11, v8
	v_lshl_add_u32 v10, v12, 2, v6
	v_add_nc_u32_e32 v9, v5, v8
	v_add_nc_u32_e32 v8, 32, v11
	v_cmp_lt_i32_e32 vcc_lo, 15, v12
	v_sub_nc_u32_e32 v7, v7, v12
	v_sub_nc_u32_e32 v13, v9, v12
                                        ; implicit-def: $vgpr9
	v_lshl_add_u32 v14, v7, 2, v0
	ds_read_b32 v6, v10
	ds_read_b32 v7, v14 offset:64
	v_cmp_gt_i32_e64 s1, v8, v13
	s_waitcnt lgkmcnt(0)
	v_cmp_lt_i32_e64 s0, v7, v6
	s_or_b32 s0, vcc_lo, s0
	s_and_b32 vcc_lo, s1, s0
	s_xor_b32 s0, vcc_lo, -1
	s_and_saveexec_b32 s1, s0
	s_xor_b32 s0, exec_lo, s1
; %bb.37:
	ds_read_b32 v9, v10 offset:4
                                        ; implicit-def: $vgpr14
; %bb.38:
	s_or_saveexec_b32 s0, s0
	v_mov_b32_e32 v10, v7
	s_xor_b32 exec_lo, exec_lo, s0
	s_cbranch_execz .LBB20_40
; %bb.39:
	ds_read_b32 v10, v14 offset:68
	s_waitcnt lgkmcnt(1)
	v_mov_b32_e32 v9, v6
.LBB20_40:
	s_or_b32 exec_lo, exec_lo, s0
	v_add_nc_u32_e32 v11, v12, v11
	v_add_nc_u32_e32 v15, 1, v13
	s_waitcnt lgkmcnt(0)
	v_cmp_lt_i32_e64 s1, v10, v9
	v_add_nc_u32_e32 v12, 1, v11
	v_cndmask_b32_e32 v13, v13, v15, vcc_lo
	v_cndmask_b32_e32 v14, v12, v11, vcc_lo
	v_cmp_lt_i32_e64 s2, v13, v8
                                        ; implicit-def: $vgpr11
	v_cmp_ge_i32_e64 s0, v14, v5
	s_or_b32 s0, s0, s1
	s_and_b32 s0, s2, s0
	s_xor_b32 s1, s0, -1
	s_and_saveexec_b32 s2, s1
	s_xor_b32 s1, exec_lo, s2
; %bb.41:
	v_lshl_add_u32 v11, v14, 2, v0
	ds_read_b32 v11, v11 offset:4
; %bb.42:
	s_or_saveexec_b32 s1, s1
	v_mov_b32_e32 v12, v10
	s_xor_b32 exec_lo, exec_lo, s1
	s_cbranch_execz .LBB20_44
; %bb.43:
	s_waitcnt lgkmcnt(0)
	v_lshl_add_u32 v11, v13, 2, v0
	ds_read_b32 v12, v11 offset:4
	v_mov_b32_e32 v11, v9
.LBB20_44:
	s_or_b32 exec_lo, exec_lo, s1
	v_add_nc_u32_e32 v15, 1, v14
	v_add_nc_u32_e32 v17, 1, v13
	s_waitcnt lgkmcnt(0)
	v_cmp_lt_i32_e64 s2, v12, v11
	v_cndmask_b32_e64 v16, v15, v14, s0
	v_cndmask_b32_e64 v15, v13, v17, s0
                                        ; implicit-def: $vgpr13
	v_cmp_ge_i32_e64 s1, v16, v5
	v_cmp_lt_i32_e64 s3, v15, v8
	s_or_b32 s1, s1, s2
	s_and_b32 s1, s3, s1
	s_xor_b32 s2, s1, -1
	s_and_saveexec_b32 s3, s2
	s_xor_b32 s2, exec_lo, s3
; %bb.45:
	v_lshl_add_u32 v13, v16, 2, v0
	ds_read_b32 v13, v13 offset:4
; %bb.46:
	s_or_saveexec_b32 s2, s2
	v_mov_b32_e32 v14, v12
	s_xor_b32 exec_lo, exec_lo, s2
	s_cbranch_execz .LBB20_48
; %bb.47:
	s_waitcnt lgkmcnt(0)
	v_lshl_add_u32 v13, v15, 2, v0
	ds_read_b32 v14, v13 offset:4
	v_mov_b32_e32 v13, v11
.LBB20_48:
	s_or_b32 exec_lo, exec_lo, s2
	v_add_nc_u32_e32 v17, 1, v16
	v_add_nc_u32_e32 v19, 1, v15
	s_waitcnt lgkmcnt(0)
	v_cmp_lt_i32_e64 s3, v14, v13
	v_cndmask_b32_e64 v18, v17, v16, s1
	v_cndmask_b32_e64 v17, v15, v19, s1
                                        ; implicit-def: $vgpr15
	v_cmp_ge_i32_e64 s2, v18, v5
	v_cmp_lt_i32_e64 s4, v17, v8
	s_or_b32 s2, s2, s3
	s_and_b32 s2, s4, s2
	s_xor_b32 s3, s2, -1
	s_and_saveexec_b32 s4, s3
	s_xor_b32 s3, exec_lo, s4
; %bb.49:
	v_lshl_add_u32 v15, v18, 2, v0
	ds_read_b32 v15, v15 offset:4
; %bb.50:
	s_or_saveexec_b32 s3, s3
	v_mov_b32_e32 v16, v14
	s_xor_b32 exec_lo, exec_lo, s3
	s_cbranch_execz .LBB20_52
; %bb.51:
	s_waitcnt lgkmcnt(0)
	v_lshl_add_u32 v15, v17, 2, v0
	ds_read_b32 v16, v15 offset:4
	v_mov_b32_e32 v15, v13
.LBB20_52:
	s_or_b32 exec_lo, exec_lo, s3
	v_add_nc_u32_e32 v19, 1, v18
	v_add_nc_u32_e32 v21, 1, v17
	s_waitcnt lgkmcnt(0)
	v_cmp_lt_i32_e64 s4, v16, v15
	v_cndmask_b32_e64 v20, v19, v18, s2
	v_cndmask_b32_e64 v19, v17, v21, s2
                                        ; implicit-def: $vgpr17
	v_cmp_ge_i32_e64 s3, v20, v5
	v_cmp_lt_i32_e64 s5, v19, v8
	s_or_b32 s3, s3, s4
	s_and_b32 s3, s5, s3
	s_xor_b32 s4, s3, -1
	s_and_saveexec_b32 s5, s4
	s_xor_b32 s4, exec_lo, s5
; %bb.53:
	v_lshl_add_u32 v17, v20, 2, v0
	ds_read_b32 v17, v17 offset:4
; %bb.54:
	s_or_saveexec_b32 s4, s4
	v_mov_b32_e32 v18, v16
	s_xor_b32 exec_lo, exec_lo, s4
	s_cbranch_execz .LBB20_56
; %bb.55:
	s_waitcnt lgkmcnt(0)
	v_lshl_add_u32 v17, v19, 2, v0
	ds_read_b32 v18, v17 offset:4
	v_mov_b32_e32 v17, v15
.LBB20_56:
	s_or_b32 exec_lo, exec_lo, s4
	v_add_nc_u32_e32 v21, 1, v20
	v_add_nc_u32_e32 v22, 1, v19
	s_waitcnt lgkmcnt(0)
	v_cmp_lt_i32_e64 s5, v18, v17
	v_cndmask_b32_e64 v21, v21, v20, s3
	v_cndmask_b32_e64 v20, v19, v22, s3
                                        ; implicit-def: $vgpr19
	v_cmp_ge_i32_e64 s4, v21, v5
	v_cmp_lt_i32_e64 s6, v20, v8
	s_or_b32 s4, s4, s5
	s_and_b32 s4, s6, s4
	s_xor_b32 s5, s4, -1
	s_and_saveexec_b32 s6, s5
	s_xor_b32 s5, exec_lo, s6
; %bb.57:
	v_lshl_add_u32 v19, v21, 2, v0
	ds_read_b32 v19, v19 offset:4
; %bb.58:
	s_or_saveexec_b32 s5, s5
	v_mov_b32_e32 v22, v18
	s_xor_b32 exec_lo, exec_lo, s5
	s_cbranch_execz .LBB20_60
; %bb.59:
	s_waitcnt lgkmcnt(0)
	v_lshl_add_u32 v19, v20, 2, v0
	ds_read_b32 v22, v19 offset:4
	v_mov_b32_e32 v19, v17
.LBB20_60:
	s_or_b32 exec_lo, exec_lo, s5
	v_add_nc_u32_e32 v23, 1, v21
	v_add_nc_u32_e32 v25, 1, v20
	s_waitcnt lgkmcnt(0)
	v_cmp_lt_i32_e64 s6, v22, v19
	v_cndmask_b32_e64 v24, v23, v21, s4
	v_cndmask_b32_e64 v20, v20, v25, s4
                                        ; implicit-def: $vgpr21
	v_cmp_ge_i32_e64 s5, v24, v5
	v_cmp_lt_i32_e64 s7, v20, v8
	s_or_b32 s5, s5, s6
	s_and_b32 s5, s7, s5
	s_xor_b32 s6, s5, -1
	s_and_saveexec_b32 s7, s6
	s_xor_b32 s6, exec_lo, s7
; %bb.61:
	v_lshl_add_u32 v21, v24, 2, v0
	ds_read_b32 v21, v21 offset:4
; %bb.62:
	s_or_saveexec_b32 s6, s6
	v_mov_b32_e32 v23, v22
	s_xor_b32 exec_lo, exec_lo, s6
	s_cbranch_execz .LBB20_64
; %bb.63:
	s_waitcnt lgkmcnt(0)
	v_lshl_add_u32 v21, v20, 2, v0
	ds_read_b32 v23, v21 offset:4
	v_mov_b32_e32 v21, v19
.LBB20_64:
	s_or_b32 exec_lo, exec_lo, s6
	v_add_nc_u32_e32 v25, 1, v24
	v_cndmask_b32_e64 v19, v19, v22, s5
	v_add_nc_u32_e32 v22, 1, v20
	v_cndmask_b32_e64 v15, v15, v16, s3
	v_cndmask_b32_e64 v12, v11, v12, s1
	v_cndmask_b32_e64 v16, v25, v24, s5
	v_and_b32_e32 v11, 64, v4
	v_cndmask_b32_e64 v13, v13, v14, s2
	v_cndmask_b32_e64 v14, v20, v22, s5
	s_waitcnt lgkmcnt(0)
	v_cmp_lt_i32_e64 s2, v23, v21
	v_cmp_ge_i32_e64 s1, v16, v5
	v_or_b32_e32 v5, 32, v11
	v_cndmask_b32_e64 v9, v9, v10, s0
	v_cmp_lt_i32_e64 s0, v14, v8
	v_cndmask_b32_e32 v8, v6, v7, vcc_lo
	v_and_b32_e32 v7, 56, v4
	v_sub_nc_u32_e32 v4, v5, v11
	s_or_b32 s1, s1, s2
	v_cndmask_b32_e64 v17, v17, v18, s4
	s_and_b32 vcc_lo, s0, s1
	v_sub_nc_u32_e64 v10, v7, 32 clamp
	v_min_i32_e32 v6, v7, v4
	v_lshl_add_u32 v4, v11, 2, v0
	v_cndmask_b32_e32 v14, v21, v23, vcc_lo
	s_mov_b32 s0, exec_lo
	; wave barrier
	ds_write2_b32 v2, v8, v9 offset1:1
	ds_write2_b32 v2, v12, v13 offset0:2 offset1:3
	ds_write2_b32 v2, v15, v17 offset0:4 offset1:5
	;; [unrolled: 1-line block ×3, first 2 shown]
	; wave barrier
	v_cmpx_lt_i32_e64 v10, v6
	s_cbranch_execz .LBB20_68
; %bb.65:
	v_lshl_add_u32 v8, v7, 2, v4
	s_mov_b32 s1, 0
	.p2align	6
.LBB20_66:                              ; =>This Inner Loop Header: Depth=1
	v_sub_nc_u32_e32 v9, v6, v10
	v_lshrrev_b32_e32 v9, 1, v9
	v_add_nc_u32_e32 v9, v9, v10
	v_not_b32_e32 v12, v9
	v_lshl_add_u32 v13, v9, 2, v4
	v_add_nc_u32_e32 v14, 1, v9
	v_lshl_add_u32 v12, v12, 2, v8
	ds_read_b32 v13, v13
	ds_read_b32 v12, v12 offset:128
	s_waitcnt lgkmcnt(0)
	v_cmp_lt_i32_e32 vcc_lo, v12, v13
	v_cndmask_b32_e32 v6, v6, v9, vcc_lo
	v_cndmask_b32_e32 v10, v14, v10, vcc_lo
	v_cmp_ge_i32_e32 vcc_lo, v10, v6
	s_or_b32 s1, vcc_lo, s1
	s_andn2_b32 exec_lo, exec_lo, s1
	s_cbranch_execnz .LBB20_66
; %bb.67:
	s_or_b32 exec_lo, exec_lo, s1
.LBB20_68:
	s_or_b32 exec_lo, exec_lo, s0
	v_add_nc_u32_e32 v6, v11, v7
	v_lshl_add_u32 v9, v10, 2, v4
	v_add_nc_u32_e32 v8, v5, v7
	v_add_nc_u32_e32 v7, 64, v11
	v_cmp_lt_i32_e32 vcc_lo, 31, v10
	v_sub_nc_u32_e32 v6, v6, v10
	v_sub_nc_u32_e32 v12, v8, v10
                                        ; implicit-def: $vgpr8
	v_lshl_add_u32 v13, v6, 2, v0
	ds_read_b32 v4, v9
	ds_read_b32 v6, v13 offset:128
	v_cmp_gt_i32_e64 s1, v7, v12
	s_waitcnt lgkmcnt(0)
	v_cmp_lt_i32_e64 s0, v6, v4
	s_or_b32 s0, vcc_lo, s0
	s_and_b32 vcc_lo, s1, s0
	s_xor_b32 s0, vcc_lo, -1
	s_and_saveexec_b32 s1, s0
	s_xor_b32 s0, exec_lo, s1
; %bb.69:
	ds_read_b32 v8, v9 offset:4
                                        ; implicit-def: $vgpr13
; %bb.70:
	s_or_saveexec_b32 s0, s0
	v_mov_b32_e32 v9, v6
	s_xor_b32 exec_lo, exec_lo, s0
	s_cbranch_execz .LBB20_72
; %bb.71:
	ds_read_b32 v9, v13 offset:132
	s_waitcnt lgkmcnt(1)
	v_mov_b32_e32 v8, v4
.LBB20_72:
	s_or_b32 exec_lo, exec_lo, s0
	v_add_nc_u32_e32 v10, v10, v11
	v_add_nc_u32_e32 v14, 1, v12
	s_waitcnt lgkmcnt(0)
	v_cmp_lt_i32_e64 s1, v9, v8
	v_add_nc_u32_e32 v11, 1, v10
	v_cndmask_b32_e32 v12, v12, v14, vcc_lo
	v_cndmask_b32_e32 v13, v11, v10, vcc_lo
	v_cmp_lt_i32_e64 s2, v12, v7
                                        ; implicit-def: $vgpr10
	v_cmp_ge_i32_e64 s0, v13, v5
	s_or_b32 s0, s0, s1
	s_and_b32 s0, s2, s0
	s_xor_b32 s1, s0, -1
	s_and_saveexec_b32 s2, s1
	s_xor_b32 s1, exec_lo, s2
; %bb.73:
	v_lshl_add_u32 v10, v13, 2, v0
	ds_read_b32 v10, v10 offset:4
; %bb.74:
	s_or_saveexec_b32 s1, s1
	v_mov_b32_e32 v11, v9
	s_xor_b32 exec_lo, exec_lo, s1
	s_cbranch_execz .LBB20_76
; %bb.75:
	s_waitcnt lgkmcnt(0)
	v_lshl_add_u32 v10, v12, 2, v0
	ds_read_b32 v11, v10 offset:4
	v_mov_b32_e32 v10, v8
.LBB20_76:
	s_or_b32 exec_lo, exec_lo, s1
	v_add_nc_u32_e32 v14, 1, v13
	v_add_nc_u32_e32 v16, 1, v12
	s_waitcnt lgkmcnt(0)
	v_cmp_lt_i32_e64 s2, v11, v10
	v_cndmask_b32_e64 v15, v14, v13, s0
	v_cndmask_b32_e64 v14, v12, v16, s0
                                        ; implicit-def: $vgpr12
	v_cmp_ge_i32_e64 s1, v15, v5
	v_cmp_lt_i32_e64 s3, v14, v7
	s_or_b32 s1, s1, s2
	s_and_b32 s1, s3, s1
	s_xor_b32 s2, s1, -1
	s_and_saveexec_b32 s3, s2
	s_xor_b32 s2, exec_lo, s3
; %bb.77:
	v_lshl_add_u32 v12, v15, 2, v0
	ds_read_b32 v12, v12 offset:4
; %bb.78:
	s_or_saveexec_b32 s2, s2
	v_mov_b32_e32 v13, v11
	s_xor_b32 exec_lo, exec_lo, s2
	s_cbranch_execz .LBB20_80
; %bb.79:
	s_waitcnt lgkmcnt(0)
	v_lshl_add_u32 v12, v14, 2, v0
	ds_read_b32 v13, v12 offset:4
	v_mov_b32_e32 v12, v10
.LBB20_80:
	s_or_b32 exec_lo, exec_lo, s2
	v_add_nc_u32_e32 v16, 1, v15
	v_add_nc_u32_e32 v18, 1, v14
	s_waitcnt lgkmcnt(0)
	v_cmp_lt_i32_e64 s3, v13, v12
	v_cndmask_b32_e64 v17, v16, v15, s1
	v_cndmask_b32_e64 v16, v14, v18, s1
                                        ; implicit-def: $vgpr14
	v_cmp_ge_i32_e64 s2, v17, v5
	v_cmp_lt_i32_e64 s4, v16, v7
	s_or_b32 s2, s2, s3
	s_and_b32 s2, s4, s2
	s_xor_b32 s3, s2, -1
	s_and_saveexec_b32 s4, s3
	s_xor_b32 s3, exec_lo, s4
; %bb.81:
	v_lshl_add_u32 v14, v17, 2, v0
	ds_read_b32 v14, v14 offset:4
; %bb.82:
	s_or_saveexec_b32 s3, s3
	v_mov_b32_e32 v15, v13
	s_xor_b32 exec_lo, exec_lo, s3
	s_cbranch_execz .LBB20_84
; %bb.83:
	s_waitcnt lgkmcnt(0)
	v_lshl_add_u32 v14, v16, 2, v0
	ds_read_b32 v15, v14 offset:4
	v_mov_b32_e32 v14, v12
.LBB20_84:
	s_or_b32 exec_lo, exec_lo, s3
	v_add_nc_u32_e32 v18, 1, v17
	v_add_nc_u32_e32 v20, 1, v16
	s_waitcnt lgkmcnt(0)
	v_cmp_lt_i32_e64 s4, v15, v14
	v_cndmask_b32_e64 v19, v18, v17, s2
	v_cndmask_b32_e64 v18, v16, v20, s2
                                        ; implicit-def: $vgpr16
	v_cmp_ge_i32_e64 s3, v19, v5
	v_cmp_lt_i32_e64 s5, v18, v7
	s_or_b32 s3, s3, s4
	s_and_b32 s3, s5, s3
	s_xor_b32 s4, s3, -1
	s_and_saveexec_b32 s5, s4
	s_xor_b32 s4, exec_lo, s5
; %bb.85:
	v_lshl_add_u32 v16, v19, 2, v0
	ds_read_b32 v16, v16 offset:4
; %bb.86:
	s_or_saveexec_b32 s4, s4
	v_mov_b32_e32 v17, v15
	s_xor_b32 exec_lo, exec_lo, s4
	s_cbranch_execz .LBB20_88
; %bb.87:
	s_waitcnt lgkmcnt(0)
	v_lshl_add_u32 v16, v18, 2, v0
	ds_read_b32 v17, v16 offset:4
	v_mov_b32_e32 v16, v14
.LBB20_88:
	s_or_b32 exec_lo, exec_lo, s4
	v_add_nc_u32_e32 v20, 1, v19
	v_add_nc_u32_e32 v22, 1, v18
	s_waitcnt lgkmcnt(0)
	v_cmp_lt_i32_e64 s5, v17, v16
	v_cndmask_b32_e64 v21, v20, v19, s3
	v_cndmask_b32_e64 v19, v18, v22, s3
                                        ; implicit-def: $vgpr18
	v_cmp_ge_i32_e64 s4, v21, v5
	v_cmp_lt_i32_e64 s6, v19, v7
	s_or_b32 s4, s4, s5
	s_and_b32 s4, s6, s4
	s_xor_b32 s5, s4, -1
	s_and_saveexec_b32 s6, s5
	s_xor_b32 s5, exec_lo, s6
; %bb.89:
	v_lshl_add_u32 v18, v21, 2, v0
	ds_read_b32 v18, v18 offset:4
; %bb.90:
	s_or_saveexec_b32 s5, s5
	v_mov_b32_e32 v20, v17
	s_xor_b32 exec_lo, exec_lo, s5
	s_cbranch_execz .LBB20_92
; %bb.91:
	s_waitcnt lgkmcnt(0)
	v_lshl_add_u32 v18, v19, 2, v0
	ds_read_b32 v20, v18 offset:4
	v_mov_b32_e32 v18, v16
.LBB20_92:
	s_or_b32 exec_lo, exec_lo, s5
	v_add_nc_u32_e32 v22, 1, v21
	v_add_nc_u32_e32 v24, 1, v19
	s_waitcnt lgkmcnt(0)
	v_cmp_lt_i32_e64 s6, v20, v18
	v_cndmask_b32_e64 v23, v22, v21, s4
	v_cndmask_b32_e64 v22, v19, v24, s4
                                        ; implicit-def: $vgpr19
	v_cmp_ge_i32_e64 s5, v23, v5
	v_cmp_lt_i32_e64 s7, v22, v7
	s_or_b32 s5, s5, s6
	s_and_b32 s5, s7, s5
	s_xor_b32 s6, s5, -1
	s_and_saveexec_b32 s7, s6
	s_xor_b32 s6, exec_lo, s7
; %bb.93:
	v_lshl_add_u32 v19, v23, 2, v0
	ds_read_b32 v19, v19 offset:4
; %bb.94:
	s_or_saveexec_b32 s6, s6
	v_mov_b32_e32 v21, v20
	s_xor_b32 exec_lo, exec_lo, s6
	s_cbranch_execz .LBB20_96
; %bb.95:
	s_waitcnt lgkmcnt(0)
	v_lshl_add_u32 v19, v22, 2, v0
	ds_read_b32 v21, v19 offset:4
	v_mov_b32_e32 v19, v18
.LBB20_96:
	s_or_b32 exec_lo, exec_lo, s6
	v_add_nc_u32_e32 v24, 1, v23
	v_add_nc_u32_e32 v25, 1, v22
	v_cndmask_b32_e64 v16, v16, v17, s4
	v_cndmask_b32_e64 v14, v14, v15, s3
	;; [unrolled: 1-line block ×5, first 2 shown]
	s_waitcnt lgkmcnt(0)
	v_cmp_lt_i32_e64 s2, v21, v19
	v_cndmask_b32_e32 v6, v4, v6, vcc_lo
	v_min_u32_e32 v4, 64, v1
	v_cmp_ge_i32_e64 s3, v17, v5
	v_cndmask_b32_e64 v5, v10, v11, s1
	v_cmp_lt_i32_e64 s1, v15, v7
	v_cndmask_b32_e64 v7, v8, v9, s0
	v_sub_nc_u32_e64 v8, v1, 64 clamp
	s_or_b32 s0, s3, s2
	v_cndmask_b32_e64 v18, v18, v20, s5
	s_and_b32 vcc_lo, s1, s0
	s_mov_b32 s0, exec_lo
	v_cndmask_b32_e32 v9, v19, v21, vcc_lo
	; wave barrier
	ds_write2_b32 v2, v6, v7 offset1:1
	ds_write2_b32 v2, v5, v12 offset0:2 offset1:3
	ds_write2_b32 v2, v14, v16 offset0:4 offset1:5
	;; [unrolled: 1-line block ×3, first 2 shown]
	; wave barrier
	v_cmpx_lt_u32_e64 v8, v4
	s_cbranch_execz .LBB20_100
; %bb.97:
	s_mov_b32 s1, 0
	.p2align	6
.LBB20_98:                              ; =>This Inner Loop Header: Depth=1
	v_sub_nc_u32_e32 v5, v4, v8
	v_lshrrev_b32_e32 v5, 1, v5
	v_add_nc_u32_e32 v5, v5, v8
	v_not_b32_e32 v6, v5
	v_lshl_add_u32 v7, v5, 2, v0
	v_add_nc_u32_e32 v9, 1, v5
	v_lshl_add_u32 v6, v6, 2, v2
	ds_read_b32 v7, v7
	ds_read_b32 v6, v6 offset:256
	s_waitcnt lgkmcnt(0)
	v_cmp_lt_i32_e32 vcc_lo, v6, v7
	v_cndmask_b32_e32 v4, v4, v5, vcc_lo
	v_cndmask_b32_e32 v8, v9, v8, vcc_lo
	v_cmp_ge_i32_e32 vcc_lo, v8, v4
	s_or_b32 s1, vcc_lo, s1
	s_andn2_b32 exec_lo, exec_lo, s1
	s_cbranch_execnz .LBB20_98
; %bb.99:
	s_or_b32 exec_lo, exec_lo, s1
.LBB20_100:
	s_or_b32 exec_lo, exec_lo, s0
	v_sub_nc_u32_e32 v1, v1, v8
	v_lshl_add_u32 v7, v8, 2, v0
	v_cmp_lt_i32_e32 vcc_lo, 63, v8
                                        ; implicit-def: $vgpr6
	v_lshl_add_u32 v2, v1, 2, v0
	v_add_nc_u32_e32 v1, 64, v1
	ds_read_b32 v4, v7
	ds_read_b32 v5, v2 offset:256
	v_cmp_gt_i32_e64 s1, 0x80, v1
	s_waitcnt lgkmcnt(0)
	v_cmp_lt_i32_e64 s0, v5, v4
	s_or_b32 s0, vcc_lo, s0
	s_and_b32 vcc_lo, s1, s0
	s_xor_b32 s0, vcc_lo, -1
	s_and_saveexec_b32 s1, s0
	s_xor_b32 s0, exec_lo, s1
; %bb.101:
	ds_read_b32 v6, v7 offset:4
                                        ; implicit-def: $vgpr2
; %bb.102:
	s_or_saveexec_b32 s0, s0
	v_mov_b32_e32 v7, v5
	s_xor_b32 exec_lo, exec_lo, s0
	s_cbranch_execz .LBB20_104
; %bb.103:
	ds_read_b32 v7, v2 offset:260
	s_waitcnt lgkmcnt(1)
	v_mov_b32_e32 v6, v4
.LBB20_104:
	s_or_b32 exec_lo, exec_lo, s0
	v_add_nc_u32_e32 v2, 1, v8
	v_add_nc_u32_e32 v9, 1, v1
	s_waitcnt lgkmcnt(0)
	v_cmp_lt_i32_e64 s1, v7, v6
	v_cndmask_b32_e32 v2, v2, v8, vcc_lo
	v_cndmask_b32_e32 v1, v1, v9, vcc_lo
                                        ; implicit-def: $vgpr8
	v_cmp_lt_i32_e64 s0, 63, v2
	v_cmp_gt_i32_e64 s2, 0x80, v1
	s_or_b32 s0, s0, s1
	s_and_b32 s0, s2, s0
	s_xor_b32 s1, s0, -1
	s_and_saveexec_b32 s2, s1
	s_xor_b32 s1, exec_lo, s2
; %bb.105:
	v_lshl_add_u32 v8, v2, 2, v0
	ds_read_b32 v8, v8 offset:4
; %bb.106:
	s_or_saveexec_b32 s1, s1
	v_mov_b32_e32 v9, v7
	s_xor_b32 exec_lo, exec_lo, s1
	s_cbranch_execz .LBB20_108
; %bb.107:
	s_waitcnt lgkmcnt(0)
	v_lshl_add_u32 v8, v1, 2, v0
	ds_read_b32 v9, v8 offset:4
	v_mov_b32_e32 v8, v6
.LBB20_108:
	s_or_b32 exec_lo, exec_lo, s1
	v_add_nc_u32_e32 v10, 1, v2
	v_add_nc_u32_e32 v11, 1, v1
	s_waitcnt lgkmcnt(0)
	v_cmp_lt_i32_e64 s2, v9, v8
	v_cndmask_b32_e64 v2, v10, v2, s0
	v_cndmask_b32_e64 v1, v1, v11, s0
                                        ; implicit-def: $vgpr10
	v_cmp_lt_i32_e64 s1, 63, v2
	v_cmp_gt_i32_e64 s3, 0x80, v1
	s_or_b32 s1, s1, s2
	s_and_b32 s1, s3, s1
	s_xor_b32 s2, s1, -1
	s_and_saveexec_b32 s3, s2
	s_xor_b32 s2, exec_lo, s3
; %bb.109:
	v_lshl_add_u32 v10, v2, 2, v0
	ds_read_b32 v10, v10 offset:4
; %bb.110:
	s_or_saveexec_b32 s2, s2
	v_mov_b32_e32 v11, v9
	s_xor_b32 exec_lo, exec_lo, s2
	s_cbranch_execz .LBB20_112
; %bb.111:
	s_waitcnt lgkmcnt(0)
	v_lshl_add_u32 v10, v1, 2, v0
	ds_read_b32 v11, v10 offset:4
	v_mov_b32_e32 v10, v8
.LBB20_112:
	s_or_b32 exec_lo, exec_lo, s2
	v_add_nc_u32_e32 v12, 1, v2
	v_add_nc_u32_e32 v13, 1, v1
	s_waitcnt lgkmcnt(0)
	v_cmp_lt_i32_e64 s3, v11, v10
	v_cndmask_b32_e64 v2, v12, v2, s1
	v_cndmask_b32_e64 v1, v1, v13, s1
                                        ; implicit-def: $vgpr12
	v_cmp_lt_i32_e64 s2, 63, v2
	v_cmp_gt_i32_e64 s4, 0x80, v1
	s_or_b32 s2, s2, s3
	s_and_b32 s2, s4, s2
	s_xor_b32 s3, s2, -1
	s_and_saveexec_b32 s4, s3
	s_xor_b32 s3, exec_lo, s4
; %bb.113:
	v_lshl_add_u32 v12, v2, 2, v0
	ds_read_b32 v12, v12 offset:4
; %bb.114:
	s_or_saveexec_b32 s3, s3
	v_mov_b32_e32 v13, v11
	s_xor_b32 exec_lo, exec_lo, s3
	s_cbranch_execz .LBB20_116
; %bb.115:
	s_waitcnt lgkmcnt(0)
	v_lshl_add_u32 v12, v1, 2, v0
	ds_read_b32 v13, v12 offset:4
	v_mov_b32_e32 v12, v10
.LBB20_116:
	s_or_b32 exec_lo, exec_lo, s3
	v_add_nc_u32_e32 v14, 1, v2
	v_add_nc_u32_e32 v16, 1, v1
	s_waitcnt lgkmcnt(0)
	v_cmp_lt_i32_e64 s4, v13, v12
	v_cndmask_b32_e64 v15, v14, v2, s2
	v_cndmask_b32_e64 v2, v1, v16, s2
                                        ; implicit-def: $vgpr1
	v_cmp_lt_i32_e64 s3, 63, v15
	v_cmp_gt_i32_e64 s5, 0x80, v2
	s_or_b32 s3, s3, s4
	s_and_b32 s3, s5, s3
	s_xor_b32 s4, s3, -1
	s_and_saveexec_b32 s5, s4
	s_xor_b32 s4, exec_lo, s5
; %bb.117:
	v_lshl_add_u32 v1, v15, 2, v0
	ds_read_b32 v1, v1 offset:4
; %bb.118:
	s_or_saveexec_b32 s4, s4
	v_mov_b32_e32 v14, v13
	s_xor_b32 exec_lo, exec_lo, s4
	s_cbranch_execz .LBB20_120
; %bb.119:
	s_waitcnt lgkmcnt(0)
	v_lshl_add_u32 v1, v2, 2, v0
	ds_read_b32 v14, v1 offset:4
	v_mov_b32_e32 v1, v12
.LBB20_120:
	s_or_b32 exec_lo, exec_lo, s4
	v_add_nc_u32_e32 v16, 1, v15
	v_add_nc_u32_e32 v18, 1, v2
	s_waitcnt lgkmcnt(0)
	v_cmp_lt_i32_e64 s5, v14, v1
	v_cndmask_b32_e64 v17, v16, v15, s3
	v_cndmask_b32_e64 v2, v2, v18, s3
                                        ; implicit-def: $vgpr16
	v_cmp_lt_i32_e64 s4, 63, v17
	v_cmp_gt_i32_e64 s6, 0x80, v2
	s_or_b32 s4, s4, s5
	s_and_b32 s4, s6, s4
	s_xor_b32 s5, s4, -1
	s_and_saveexec_b32 s6, s5
	s_xor_b32 s5, exec_lo, s6
; %bb.121:
	v_lshl_add_u32 v15, v17, 2, v0
	ds_read_b32 v16, v15 offset:4
; %bb.122:
	s_or_saveexec_b32 s5, s5
	v_mov_b32_e32 v15, v14
	s_xor_b32 exec_lo, exec_lo, s5
	s_cbranch_execz .LBB20_124
; %bb.123:
	v_lshl_add_u32 v15, v2, 2, v0
	s_waitcnt lgkmcnt(0)
	v_mov_b32_e32 v16, v1
	ds_read_b32 v15, v15 offset:4
.LBB20_124:
	s_or_b32 exec_lo, exec_lo, s5
	v_add_nc_u32_e32 v18, 1, v17
	v_add_nc_u32_e32 v19, 1, v2
	s_waitcnt lgkmcnt(0)
	v_cmp_ge_i32_e64 s6, v15, v16
	v_cndmask_b32_e64 v20, v18, v17, s4
	v_cndmask_b32_e64 v17, v2, v19, s4
                                        ; implicit-def: $vgpr18
                                        ; implicit-def: $vgpr19
	v_cmp_gt_i32_e64 s5, 64, v20
	v_cmp_lt_i32_e64 s7, 0x7f, v17
	s_and_b32 s5, s5, s6
	s_or_b32 s5, s7, s5
	s_and_saveexec_b32 s6, s5
	s_xor_b32 s5, exec_lo, s6
; %bb.125:
	v_lshl_add_u32 v0, v20, 2, v0
	v_add_nc_u32_e32 v19, 1, v20
                                        ; implicit-def: $vgpr20
	ds_read_b32 v18, v0 offset:4
                                        ; implicit-def: $vgpr0
; %bb.126:
	s_or_saveexec_b32 s5, s5
	v_mov_b32_e32 v2, v16
	s_xor_b32 exec_lo, exec_lo, s5
	s_cbranch_execz .LBB20_128
; %bb.127:
	v_lshl_add_u32 v0, v17, 2, v0
	v_add_nc_u32_e32 v17, 1, v17
	v_mov_b32_e32 v2, v15
	v_mov_b32_e32 v19, v20
	s_waitcnt lgkmcnt(0)
	v_mov_b32_e32 v18, v16
	ds_read_b32 v0, v0 offset:4
	s_waitcnt lgkmcnt(0)
	v_mov_b32_e32 v15, v0
.LBB20_128:
	s_or_b32 exec_lo, exec_lo, s5
	v_cndmask_b32_e64 v0, v12, v13, s3
	v_cndmask_b32_e64 v10, v10, v11, s2
	v_cmp_lt_i32_e64 s2, 63, v19
	s_waitcnt lgkmcnt(0)
	v_cmp_lt_i32_e64 s3, v15, v18
	v_cndmask_b32_e64 v9, v8, v9, s1
	v_cmp_gt_i32_e64 s1, 0x80, v17
	v_cndmask_b32_e64 v8, v6, v7, s0
	v_cndmask_b32_e32 v7, v4, v5, vcc_lo
	s_or_b32 s0, s2, s3
	v_lshlrev_b32_e32 v4, 2, v3
	s_and_b32 vcc_lo, s1, s0
	v_cndmask_b32_e64 v1, v1, v14, s4
	v_cndmask_b32_e32 v3, v18, v15, vcc_lo
	s_add_u32 s0, s10, s12
	s_addc_u32 s1, s11, s13
	global_store_dwordx4 v4, v[7:10], s[0:1]
	global_store_dwordx4 v4, v[0:3], s[0:1] offset:16
	s_endpgm
	.section	.rodata,"a",@progbits
	.p2align	6, 0x0
	.amdhsa_kernel _Z9sort_keysILj256ELj16ELj8EiN10test_utils4lessEEvPKT2_PS2_T3_
		.amdhsa_group_segment_fixed_size 8256
		.amdhsa_private_segment_fixed_size 0
		.amdhsa_kernarg_size 20
		.amdhsa_user_sgpr_count 6
		.amdhsa_user_sgpr_private_segment_buffer 1
		.amdhsa_user_sgpr_dispatch_ptr 0
		.amdhsa_user_sgpr_queue_ptr 0
		.amdhsa_user_sgpr_kernarg_segment_ptr 1
		.amdhsa_user_sgpr_dispatch_id 0
		.amdhsa_user_sgpr_flat_scratch_init 0
		.amdhsa_user_sgpr_private_segment_size 0
		.amdhsa_wavefront_size32 1
		.amdhsa_uses_dynamic_stack 0
		.amdhsa_system_sgpr_private_segment_wavefront_offset 0
		.amdhsa_system_sgpr_workgroup_id_x 1
		.amdhsa_system_sgpr_workgroup_id_y 0
		.amdhsa_system_sgpr_workgroup_id_z 0
		.amdhsa_system_sgpr_workgroup_info 0
		.amdhsa_system_vgpr_workitem_id 0
		.amdhsa_next_free_vgpr 33
		.amdhsa_next_free_sgpr 14
		.amdhsa_reserve_vcc 1
		.amdhsa_reserve_flat_scratch 0
		.amdhsa_float_round_mode_32 0
		.amdhsa_float_round_mode_16_64 0
		.amdhsa_float_denorm_mode_32 3
		.amdhsa_float_denorm_mode_16_64 3
		.amdhsa_dx10_clamp 1
		.amdhsa_ieee_mode 1
		.amdhsa_fp16_overflow 0
		.amdhsa_workgroup_processor_mode 1
		.amdhsa_memory_ordered 1
		.amdhsa_forward_progress 1
		.amdhsa_shared_vgpr_count 0
		.amdhsa_exception_fp_ieee_invalid_op 0
		.amdhsa_exception_fp_denorm_src 0
		.amdhsa_exception_fp_ieee_div_zero 0
		.amdhsa_exception_fp_ieee_overflow 0
		.amdhsa_exception_fp_ieee_underflow 0
		.amdhsa_exception_fp_ieee_inexact 0
		.amdhsa_exception_int_div_zero 0
	.end_amdhsa_kernel
	.section	.text._Z9sort_keysILj256ELj16ELj8EiN10test_utils4lessEEvPKT2_PS2_T3_,"axG",@progbits,_Z9sort_keysILj256ELj16ELj8EiN10test_utils4lessEEvPKT2_PS2_T3_,comdat
.Lfunc_end20:
	.size	_Z9sort_keysILj256ELj16ELj8EiN10test_utils4lessEEvPKT2_PS2_T3_, .Lfunc_end20-_Z9sort_keysILj256ELj16ELj8EiN10test_utils4lessEEvPKT2_PS2_T3_
                                        ; -- End function
	.set _Z9sort_keysILj256ELj16ELj8EiN10test_utils4lessEEvPKT2_PS2_T3_.num_vgpr, 33
	.set _Z9sort_keysILj256ELj16ELj8EiN10test_utils4lessEEvPKT2_PS2_T3_.num_agpr, 0
	.set _Z9sort_keysILj256ELj16ELj8EiN10test_utils4lessEEvPKT2_PS2_T3_.numbered_sgpr, 14
	.set _Z9sort_keysILj256ELj16ELj8EiN10test_utils4lessEEvPKT2_PS2_T3_.num_named_barrier, 0
	.set _Z9sort_keysILj256ELj16ELj8EiN10test_utils4lessEEvPKT2_PS2_T3_.private_seg_size, 0
	.set _Z9sort_keysILj256ELj16ELj8EiN10test_utils4lessEEvPKT2_PS2_T3_.uses_vcc, 1
	.set _Z9sort_keysILj256ELj16ELj8EiN10test_utils4lessEEvPKT2_PS2_T3_.uses_flat_scratch, 0
	.set _Z9sort_keysILj256ELj16ELj8EiN10test_utils4lessEEvPKT2_PS2_T3_.has_dyn_sized_stack, 0
	.set _Z9sort_keysILj256ELj16ELj8EiN10test_utils4lessEEvPKT2_PS2_T3_.has_recursion, 0
	.set _Z9sort_keysILj256ELj16ELj8EiN10test_utils4lessEEvPKT2_PS2_T3_.has_indirect_call, 0
	.section	.AMDGPU.csdata,"",@progbits
; Kernel info:
; codeLenInByte = 5972
; TotalNumSgprs: 16
; NumVgprs: 33
; ScratchSize: 0
; MemoryBound: 0
; FloatMode: 240
; IeeeMode: 1
; LDSByteSize: 8256 bytes/workgroup (compile time only)
; SGPRBlocks: 0
; VGPRBlocks: 4
; NumSGPRsForWavesPerEU: 16
; NumVGPRsForWavesPerEU: 33
; Occupancy: 16
; WaveLimiterHint : 0
; COMPUTE_PGM_RSRC2:SCRATCH_EN: 0
; COMPUTE_PGM_RSRC2:USER_SGPR: 6
; COMPUTE_PGM_RSRC2:TRAP_HANDLER: 0
; COMPUTE_PGM_RSRC2:TGID_X_EN: 1
; COMPUTE_PGM_RSRC2:TGID_Y_EN: 0
; COMPUTE_PGM_RSRC2:TGID_Z_EN: 0
; COMPUTE_PGM_RSRC2:TIDIG_COMP_CNT: 0
	.section	.text._Z10sort_pairsILj256ELj16ELj8EiN10test_utils4lessEEvPKT2_PS2_T3_,"axG",@progbits,_Z10sort_pairsILj256ELj16ELj8EiN10test_utils4lessEEvPKT2_PS2_T3_,comdat
	.protected	_Z10sort_pairsILj256ELj16ELj8EiN10test_utils4lessEEvPKT2_PS2_T3_ ; -- Begin function _Z10sort_pairsILj256ELj16ELj8EiN10test_utils4lessEEvPKT2_PS2_T3_
	.globl	_Z10sort_pairsILj256ELj16ELj8EiN10test_utils4lessEEvPKT2_PS2_T3_
	.p2align	8
	.type	_Z10sort_pairsILj256ELj16ELj8EiN10test_utils4lessEEvPKT2_PS2_T3_,@function
_Z10sort_pairsILj256ELj16ELj8EiN10test_utils4lessEEvPKT2_PS2_T3_: ; @_Z10sort_pairsILj256ELj16ELj8EiN10test_utils4lessEEvPKT2_PS2_T3_
; %bb.0:
	s_load_dwordx4 s[20:23], s[4:5], 0x0
	s_mov_b32 s1, 0
	s_lshl_b32 s0, s6, 11
	v_lshlrev_b32_e32 v5, 5, v0
	s_lshl_b64 s[24:25], s[0:1], 2
	v_mov_b32_e32 v24, 0
	s_mov_b32 s12, exec_lo
	s_waitcnt lgkmcnt(0)
	s_add_u32 s0, s20, s24
	s_addc_u32 s1, s21, s25
	s_clause 0x1
	global_load_dwordx4 v[1:4], v5, s[0:1]
	global_load_dwordx4 v[6:9], v5, s[0:1] offset:16
	s_waitcnt vmcnt(1)
	v_add_nc_u32_e32 v5, 1, v1
	v_add_nc_u32_e32 v10, 1, v2
	v_add_nc_u32_e32 v11, 1, v3
	v_add_nc_u32_e32 v12, 1, v4
	s_waitcnt vmcnt(0)
	v_add_nc_u32_e32 v13, 1, v6
	v_add_nc_u32_e32 v14, 1, v7
	;; [unrolled: 1-line block ×4, first 2 shown]
	v_cmp_lt_i32_e32 vcc_lo, v2, v1
	v_cmp_lt_i32_e64 s0, v4, v3
	v_cmp_lt_i32_e64 s1, v7, v6
	;; [unrolled: 1-line block ×3, first 2 shown]
	v_cndmask_b32_e32 v17, v10, v5, vcc_lo
	v_cndmask_b32_e32 v5, v5, v10, vcc_lo
	;; [unrolled: 1-line block ×4, first 2 shown]
	v_cndmask_b32_e64 v2, v12, v11, s0
	v_cndmask_b32_e64 v11, v11, v12, s0
	;; [unrolled: 1-line block ×12, first 2 shown]
	v_cmp_lt_i32_e32 vcc_lo, v3, v1
	v_cmp_lt_i32_e64 s0, v7, v12
	v_cmp_lt_i32_e64 s1, v8, v14
	v_cndmask_b32_e32 v9, v11, v17, vcc_lo
	v_cndmask_b32_e64 v19, v13, v2, s0
	v_cndmask_b32_e32 v6, v17, v11, vcc_lo
	v_cndmask_b32_e32 v11, v3, v1, vcc_lo
	;; [unrolled: 1-line block ×3, first 2 shown]
	v_cndmask_b32_e64 v2, v2, v13, s0
	v_cndmask_b32_e64 v3, v7, v12, s0
	;; [unrolled: 1-line block ×7, first 2 shown]
	v_cmp_lt_i32_e32 vcc_lo, v1, v10
	v_cmp_lt_i32_e64 s0, v12, v11
	v_cmp_lt_i32_e64 s1, v14, v3
	;; [unrolled: 1-line block ×3, first 2 shown]
	v_cndmask_b32_e32 v22, v10, v1, vcc_lo
	v_cndmask_b32_e64 v15, v2, v9, s0
	v_cndmask_b32_e32 v1, v1, v10, vcc_lo
	v_cndmask_b32_e64 v21, v18, v20, s2
	v_cndmask_b32_e64 v8, v9, v2, s0
	;; [unrolled: 1-line block ×11, first 2 shown]
	v_cmp_lt_i32_e64 s0, v10, v1
	v_cmp_lt_i32_e64 s1, v3, v2
	;; [unrolled: 1-line block ×3, first 2 shown]
	v_cndmask_b32_e32 v7, v6, v5, vcc_lo
	v_cndmask_b32_e64 v19, v10, v1, s0
	v_cndmask_b32_e64 v14, v4, v15, s1
	;; [unrolled: 1-line block ×10, first 2 shown]
	v_cmp_lt_i32_e64 s1, v1, v22
	v_cmp_lt_i32_e64 s2, v2, v19
	;; [unrolled: 1-line block ×4, first 2 shown]
	v_cndmask_b32_e64 v9, v8, v7, s0
	v_cndmask_b32_e64 v20, v22, v1, s1
	;; [unrolled: 1-line block ×13, first 2 shown]
	v_cmp_lt_i32_e64 s3, v2, v1
	v_cmp_lt_i32_e64 s4, v4, v22
	;; [unrolled: 1-line block ×3, first 2 shown]
	v_cndmask_b32_e64 v11, v10, v9, s2
	v_cndmask_b32_e64 v21, v2, v1, s3
	v_cndmask_b32_e64 v23, v1, v2, s3
	v_cndmask_b32_e64 v25, v4, v22, s4
	v_cndmask_b32_e64 v4, v22, v4, s4
	v_cndmask_b32_e64 v22, v18, v3, s5
	v_cndmask_b32_e64 v3, v3, v18, s5
	v_cndmask_b32_e64 v16, v13, v17, s5
	v_cndmask_b32_e64 v17, v17, v13, s5
	v_cmp_lt_i32_e64 s5, v23, v20
	v_cmp_lt_i32_e64 s6, v4, v21
	;; [unrolled: 1-line block ×4, first 2 shown]
	v_cndmask_b32_e64 v15, v14, v11, s4
	v_cndmask_b32_e64 v2, v20, v23, s5
	;; [unrolled: 1-line block ×9, first 2 shown]
	v_cmp_lt_i32_e64 s8, v4, v26
	v_cndmask_b32_e64 v13, v17, v15, s7
	v_cmp_lt_i32_e64 s9, v25, v18
	v_cndmask_b32_e64 v21, v19, v22, s10
	v_mov_b32_e32 v29, v3
	v_cndmask_b32_e64 v22, v4, v26, s8
	v_cndmask_b32_e64 v26, v26, v4, s8
	;; [unrolled: 1-line block ×4, first 2 shown]
	v_mov_b32_e32 v18, v1
	v_cmpx_lt_i32_e64 v3, v20
; %bb.1:
	v_mov_b32_e32 v29, v20
	v_mov_b32_e32 v20, v3
	;; [unrolled: 1-line block ×4, first 2 shown]
; %bb.2:
	s_or_b32 exec_lo, exec_lo, s12
	v_mbcnt_lo_u32_b32 v1, -1, 0
	v_lshrrev_b32_e32 v30, 4, v0
	v_lshlrev_b32_e32 v0, 3, v0
	; wave barrier
	v_lshlrev_b32_e32 v4, 3, v1
	s_mov_b32 s12, exec_lo
	v_and_b32_e32 v27, 0x70, v4
	v_and_b32_e32 v3, 0x78, v4
	;; [unrolled: 1-line block ×3, first 2 shown]
	v_or_b32_e32 v19, 8, v27
	v_lshlrev_b32_e32 v1, 2, v3
	v_lshlrev_b32_e32 v32, 2, v27
	v_sub_nc_u32_e32 v31, v19, v27
	v_mad_u32_u24 v1, 0x204, v30, v1
	ds_write2_b32 v1, v2, v26 offset1:1
	ds_write2_b32 v1, v22, v28 offset0:2 offset1:3
	v_min_i32_e32 v31, v25, v31
	v_mad_u32_u24 v22, 0x204, v30, v32
	ds_write2_b32 v1, v23, v20 offset0:4 offset1:5
	ds_write2_b32 v1, v29, v21 offset0:6 offset1:7
	; wave barrier
	v_cmpx_lt_i32_e32 0, v31
	s_cbranch_execz .LBB21_6
; %bb.3:
	v_lshl_add_u32 v2, v25, 2, v22
	v_mov_b32_e32 v24, 0
	s_mov_b32 s13, 0
	.p2align	6
.LBB21_4:                               ; =>This Inner Loop Header: Depth=1
	v_sub_nc_u32_e32 v20, v31, v24
	v_lshrrev_b32_e32 v20, 1, v20
	v_add_nc_u32_e32 v20, v20, v24
	v_not_b32_e32 v21, v20
	v_lshl_add_u32 v23, v20, 2, v22
	v_add_nc_u32_e32 v26, 1, v20
	v_lshl_add_u32 v21, v21, 2, v2
	ds_read_b32 v23, v23
	ds_read_b32 v21, v21 offset:32
	s_waitcnt lgkmcnt(0)
	v_cmp_lt_i32_e64 s11, v21, v23
	v_cndmask_b32_e64 v31, v31, v20, s11
	v_cndmask_b32_e64 v24, v26, v24, s11
	v_cmp_ge_i32_e64 s11, v24, v31
	s_or_b32 s13, s11, s13
	s_andn2_b32 exec_lo, exec_lo, s13
	s_cbranch_execnz .LBB21_4
; %bb.5:
	s_or_b32 exec_lo, exec_lo, s13
.LBB21_6:
	s_or_b32 exec_lo, exec_lo, s12
	v_add_nc_u32_e32 v20, v27, v25
	v_mul_u32_u24_e32 v2, 0x204, v30
	v_lshl_add_u32 v23, v24, 2, v22
	v_add_nc_u32_e32 v22, v19, v25
	v_add_nc_u32_e32 v25, 16, v27
	v_sub_nc_u32_e32 v20, v20, v24
	v_cmp_lt_i32_e64 s11, 7, v24
	v_sub_nc_u32_e32 v26, v22, v24
                                        ; implicit-def: $vgpr22
	v_lshl_add_u32 v28, v20, 2, v2
	ds_read_b32 v20, v23
	ds_read_b32 v21, v28 offset:32
	v_cmp_gt_i32_e64 s13, v25, v26
	s_waitcnt lgkmcnt(0)
	v_cmp_lt_i32_e64 s12, v21, v20
	s_or_b32 s11, s11, s12
	s_and_b32 s11, s13, s11
	s_xor_b32 s12, s11, -1
	s_and_saveexec_b32 s13, s12
	s_xor_b32 s12, exec_lo, s13
; %bb.7:
	ds_read_b32 v22, v23 offset:4
                                        ; implicit-def: $vgpr28
; %bb.8:
	s_or_saveexec_b32 s12, s12
	v_mov_b32_e32 v23, v21
	s_xor_b32 exec_lo, exec_lo, s12
	s_cbranch_execz .LBB21_10
; %bb.9:
	ds_read_b32 v23, v28 offset:36
	s_waitcnt lgkmcnt(1)
	v_mov_b32_e32 v22, v20
.LBB21_10:
	s_or_b32 exec_lo, exec_lo, s12
	v_add_nc_u32_e32 v29, v24, v27
	v_add_nc_u32_e32 v27, 1, v26
	s_waitcnt lgkmcnt(0)
	v_cmp_lt_i32_e64 s13, v23, v22
	v_add_nc_u32_e32 v24, 1, v29
	v_cndmask_b32_e64 v32, v26, v27, s11
	v_cndmask_b32_e64 v31, v24, v29, s11
	v_cmp_lt_i32_e64 s14, v32, v25
                                        ; implicit-def: $vgpr24
	v_cmp_ge_i32_e64 s12, v31, v19
	s_or_b32 s12, s12, s13
	s_and_b32 s12, s14, s12
	s_xor_b32 s13, s12, -1
	s_and_saveexec_b32 s14, s13
	s_xor_b32 s13, exec_lo, s14
; %bb.11:
	v_lshl_add_u32 v24, v31, 2, v2
	ds_read_b32 v24, v24 offset:4
; %bb.12:
	s_or_saveexec_b32 s13, s13
	v_mov_b32_e32 v27, v23
	s_xor_b32 exec_lo, exec_lo, s13
	s_cbranch_execz .LBB21_14
; %bb.13:
	s_waitcnt lgkmcnt(0)
	v_lshl_add_u32 v24, v32, 2, v2
	ds_read_b32 v27, v24 offset:4
	v_mov_b32_e32 v24, v22
.LBB21_14:
	s_or_b32 exec_lo, exec_lo, s13
	v_add_nc_u32_e32 v28, 1, v31
	v_add_nc_u32_e32 v30, 1, v32
	s_waitcnt lgkmcnt(0)
	v_cmp_lt_i32_e64 s14, v27, v24
	v_cndmask_b32_e64 v35, v28, v31, s12
	v_cndmask_b32_e64 v36, v32, v30, s12
                                        ; implicit-def: $vgpr28
	v_cmp_ge_i32_e64 s13, v35, v19
	v_cmp_lt_i32_e64 s15, v36, v25
	s_or_b32 s13, s13, s14
	s_and_b32 s13, s15, s13
	s_xor_b32 s14, s13, -1
	s_and_saveexec_b32 s15, s14
	s_xor_b32 s14, exec_lo, s15
; %bb.15:
	v_lshl_add_u32 v28, v35, 2, v2
	ds_read_b32 v28, v28 offset:4
; %bb.16:
	s_or_saveexec_b32 s14, s14
	v_mov_b32_e32 v30, v27
	s_xor_b32 exec_lo, exec_lo, s14
	s_cbranch_execz .LBB21_18
; %bb.17:
	s_waitcnt lgkmcnt(0)
	v_lshl_add_u32 v28, v36, 2, v2
	ds_read_b32 v30, v28 offset:4
	v_mov_b32_e32 v28, v24
.LBB21_18:
	s_or_b32 exec_lo, exec_lo, s14
	v_add_nc_u32_e32 v33, 1, v35
	v_add_nc_u32_e32 v34, 1, v36
	s_waitcnt lgkmcnt(0)
	v_cmp_lt_i32_e64 s15, v30, v28
	v_cndmask_b32_e64 v37, v33, v35, s13
	v_cndmask_b32_e64 v38, v36, v34, s13
                                        ; implicit-def: $vgpr33
	v_cmp_ge_i32_e64 s14, v37, v19
	v_cmp_lt_i32_e64 s16, v38, v25
	s_or_b32 s14, s14, s15
	s_and_b32 s14, s16, s14
	s_xor_b32 s15, s14, -1
	s_and_saveexec_b32 s16, s15
	s_xor_b32 s15, exec_lo, s16
; %bb.19:
	v_lshl_add_u32 v33, v37, 2, v2
	ds_read_b32 v33, v33 offset:4
; %bb.20:
	s_or_saveexec_b32 s15, s15
	v_mov_b32_e32 v34, v30
	s_xor_b32 exec_lo, exec_lo, s15
	s_cbranch_execz .LBB21_22
; %bb.21:
	s_waitcnt lgkmcnt(0)
	v_lshl_add_u32 v33, v38, 2, v2
	ds_read_b32 v34, v33 offset:4
	v_mov_b32_e32 v33, v28
.LBB21_22:
	s_or_b32 exec_lo, exec_lo, s15
	v_add_nc_u32_e32 v39, 1, v37
	v_add_nc_u32_e32 v40, 1, v38
	s_waitcnt lgkmcnt(0)
	v_cmp_lt_i32_e64 s16, v34, v33
                                        ; implicit-def: $vgpr41
	v_cndmask_b32_e64 v39, v39, v37, s14
	v_cndmask_b32_e64 v40, v38, v40, s14
	v_cmp_ge_i32_e64 s15, v39, v19
	v_cmp_lt_i32_e64 s17, v40, v25
	s_or_b32 s15, s15, s16
	s_and_b32 s15, s17, s15
	s_xor_b32 s16, s15, -1
	s_and_saveexec_b32 s17, s16
	s_xor_b32 s16, exec_lo, s17
; %bb.23:
	v_lshl_add_u32 v41, v39, 2, v2
	ds_read_b32 v41, v41 offset:4
; %bb.24:
	s_or_saveexec_b32 s16, s16
	v_mov_b32_e32 v42, v34
	s_xor_b32 exec_lo, exec_lo, s16
	s_cbranch_execz .LBB21_26
; %bb.25:
	s_waitcnt lgkmcnt(0)
	v_lshl_add_u32 v41, v40, 2, v2
	ds_read_b32 v42, v41 offset:4
	v_mov_b32_e32 v41, v33
.LBB21_26:
	s_or_b32 exec_lo, exec_lo, s16
	v_add_nc_u32_e32 v43, 1, v39
	v_add_nc_u32_e32 v44, 1, v40
	s_waitcnt lgkmcnt(0)
	v_cmp_lt_i32_e64 s17, v42, v41
                                        ; implicit-def: $vgpr47
	v_cndmask_b32_e64 v43, v43, v39, s15
	v_cndmask_b32_e64 v44, v40, v44, s15
	v_cmp_ge_i32_e64 s16, v43, v19
	v_cmp_lt_i32_e64 s18, v44, v25
	s_or_b32 s16, s16, s17
	s_and_b32 s16, s18, s16
	s_xor_b32 s17, s16, -1
	s_and_saveexec_b32 s18, s17
	s_xor_b32 s17, exec_lo, s18
; %bb.27:
	v_lshl_add_u32 v45, v43, 2, v2
	ds_read_b32 v47, v45 offset:4
; %bb.28:
	s_or_saveexec_b32 s17, s17
	v_mov_b32_e32 v50, v42
	s_xor_b32 exec_lo, exec_lo, s17
	s_cbranch_execz .LBB21_30
; %bb.29:
	v_lshl_add_u32 v45, v44, 2, v2
	s_waitcnt lgkmcnt(0)
	v_mov_b32_e32 v47, v41
	ds_read_b32 v50, v45 offset:4
.LBB21_30:
	s_or_b32 exec_lo, exec_lo, s17
	v_add_nc_u32_e32 v45, 1, v43
	v_add_nc_u32_e32 v46, 1, v44
	s_waitcnt lgkmcnt(0)
	v_cmp_lt_i32_e64 s18, v50, v47
	v_cndmask_b32_e64 v48, v45, v43, s16
	v_cndmask_b32_e64 v49, v44, v46, s16
                                        ; implicit-def: $vgpr45
	v_cmp_ge_i32_e64 s17, v48, v19
	v_cmp_lt_i32_e64 s19, v49, v25
	s_or_b32 s17, s17, s18
	s_and_b32 s17, s19, s17
	s_xor_b32 s18, s17, -1
	s_and_saveexec_b32 s19, s18
	s_xor_b32 s18, exec_lo, s19
; %bb.31:
	v_lshl_add_u32 v45, v48, 2, v2
	ds_read_b32 v45, v45 offset:4
; %bb.32:
	s_or_saveexec_b32 s18, s18
	v_mov_b32_e32 v46, v50
	s_xor_b32 exec_lo, exec_lo, s18
	s_cbranch_execz .LBB21_34
; %bb.33:
	s_waitcnt lgkmcnt(0)
	v_lshl_add_u32 v45, v49, 2, v2
	ds_read_b32 v46, v45 offset:4
	v_mov_b32_e32 v45, v47
.LBB21_34:
	s_or_b32 exec_lo, exec_lo, s18
	v_cndmask_b32_e32 v5, v5, v6, vcc_lo
	v_cndmask_b32_e64 v6, v7, v8, s0
	v_cndmask_b32_e64 v41, v41, v42, s16
	;; [unrolled: 1-line block ×4, first 2 shown]
	v_add_nc_u32_e32 v52, 1, v48
	v_cndmask_b32_e64 v43, v6, v5, s1
	v_add_nc_u32_e32 v51, 1, v49
	v_cndmask_b32_e64 v5, v5, v6, s1
	v_cndmask_b32_e64 v11, v11, v14, s4
	;; [unrolled: 1-line block ×7, first 2 shown]
	v_cmp_ge_i32_e32 vcc_lo, v8, v19
	v_cndmask_b32_e64 v29, v6, v5, s5
	v_cndmask_b32_e64 v5, v5, v6, s5
	;; [unrolled: 1-line block ×5, first 2 shown]
	s_waitcnt lgkmcnt(0)
	v_cmp_lt_i32_e64 s0, v46, v45
	v_cmp_lt_i32_e64 s1, v7, v25
	v_cndmask_b32_e64 v14, v31, v32, s12
	v_cndmask_b32_e64 v15, v9, v29, s8
	;; [unrolled: 1-line block ×5, first 2 shown]
	s_or_b32 s0, vcc_lo, s0
	v_cndmask_b32_e64 v6, v6, v11, s9
	v_cndmask_b32_e64 v35, v35, v36, s13
	;; [unrolled: 1-line block ×3, first 2 shown]
	s_and_b32 vcc_lo, s1, s0
	v_cndmask_b32_e64 v48, v48, v49, s17
	v_cndmask_b32_e64 v10, v39, v40, s15
	v_cndmask_b32_e32 v7, v8, v7, vcc_lo
	; wave barrier
	ds_write2_b32 v1, v5, v9 offset1:1
	ds_write2_b32 v1, v15, v6 offset0:2 offset1:3
	ds_write2_b32 v1, v16, v13 offset0:4 offset1:5
	;; [unrolled: 1-line block ×3, first 2 shown]
	v_lshl_add_u32 v5, v26, 2, v2
	v_lshl_add_u32 v6, v14, 2, v2
	;; [unrolled: 1-line block ×7, first 2 shown]
	; wave barrier
	v_lshl_add_u32 v13, v7, 2, v2
	ds_read_b32 v5, v5
	ds_read_b32 v6, v6
	;; [unrolled: 1-line block ×8, first 2 shown]
	v_and_b32_e32 v25, 0x60, v4
	v_and_b32_e32 v16, 24, v4
	v_cndmask_b32_e64 v22, v22, v23, s12
	v_cndmask_b32_e64 v21, v20, v21, s11
	;; [unrolled: 1-line block ×3, first 2 shown]
	v_or_b32_e32 v13, 16, v25
	v_cndmask_b32_e64 v19, v24, v27, s13
	v_cndmask_b32_e64 v18, v33, v34, s15
	; wave barrier
	v_sub_nc_u32_e64 v20, v16, 16 clamp
	v_sub_nc_u32_e32 v15, v13, v25
	ds_write2_b32 v1, v21, v22 offset1:1
	ds_write2_b32 v1, v19, v14 offset0:2 offset1:3
	v_lshl_add_u32 v14, v25, 2, v2
	v_cndmask_b32_e64 v47, v47, v50, s17
	v_min_i32_e32 v15, v16, v15
	v_cndmask_b32_e32 v17, v45, v46, vcc_lo
	s_mov_b32 s0, exec_lo
	ds_write2_b32 v1, v18, v41 offset0:4 offset1:5
	ds_write2_b32 v1, v47, v17 offset0:6 offset1:7
	; wave barrier
	v_cmpx_lt_i32_e64 v20, v15
	s_cbranch_execz .LBB21_38
; %bb.35:
	v_lshl_add_u32 v17, v16, 2, v14
	s_mov_b32 s1, 0
	.p2align	6
.LBB21_36:                              ; =>This Inner Loop Header: Depth=1
	v_sub_nc_u32_e32 v18, v15, v20
	v_lshrrev_b32_e32 v18, 1, v18
	v_add_nc_u32_e32 v18, v18, v20
	v_not_b32_e32 v19, v18
	v_lshl_add_u32 v21, v18, 2, v14
	v_add_nc_u32_e32 v22, 1, v18
	v_lshl_add_u32 v19, v19, 2, v17
	ds_read_b32 v21, v21
	ds_read_b32 v19, v19 offset:64
	s_waitcnt lgkmcnt(0)
	v_cmp_lt_i32_e32 vcc_lo, v19, v21
	v_cndmask_b32_e32 v15, v15, v18, vcc_lo
	v_cndmask_b32_e32 v20, v22, v20, vcc_lo
	v_cmp_ge_i32_e32 vcc_lo, v20, v15
	s_or_b32 s1, vcc_lo, s1
	s_andn2_b32 exec_lo, exec_lo, s1
	s_cbranch_execnz .LBB21_36
; %bb.37:
	s_or_b32 exec_lo, exec_lo, s1
.LBB21_38:
	s_or_b32 exec_lo, exec_lo, s0
	v_add_nc_u32_e32 v15, v25, v16
	v_lshl_add_u32 v17, v20, 2, v14
	v_add_nc_u32_e32 v16, v13, v16
	v_add_nc_u32_e32 v19, 32, v25
	v_cmp_lt_i32_e32 vcc_lo, 15, v20
	v_sub_nc_u32_e32 v15, v15, v20
	v_sub_nc_u32_e32 v18, v16, v20
                                        ; implicit-def: $vgpr16
	v_lshl_add_u32 v21, v15, 2, v2
	ds_read_b32 v14, v17
	ds_read_b32 v15, v21 offset:64
	v_cmp_gt_i32_e64 s1, v19, v18
	s_waitcnt lgkmcnt(0)
	v_cmp_lt_i32_e64 s0, v15, v14
	s_or_b32 s0, vcc_lo, s0
	s_and_b32 vcc_lo, s1, s0
	s_xor_b32 s0, vcc_lo, -1
	s_and_saveexec_b32 s1, s0
	s_xor_b32 s0, exec_lo, s1
; %bb.39:
	ds_read_b32 v16, v17 offset:4
                                        ; implicit-def: $vgpr21
; %bb.40:
	s_or_saveexec_b32 s0, s0
	v_mov_b32_e32 v17, v15
	s_xor_b32 exec_lo, exec_lo, s0
	s_cbranch_execz .LBB21_42
; %bb.41:
	ds_read_b32 v17, v21 offset:68
	s_waitcnt lgkmcnt(1)
	v_mov_b32_e32 v16, v14
.LBB21_42:
	s_or_b32 exec_lo, exec_lo, s0
	v_add_nc_u32_e32 v22, v20, v25
	v_add_nc_u32_e32 v21, 1, v18
	s_waitcnt lgkmcnt(0)
	v_cmp_lt_i32_e64 s1, v17, v16
	v_add_nc_u32_e32 v20, 1, v22
	v_cndmask_b32_e32 v24, v18, v21, vcc_lo
	v_cndmask_b32_e32 v23, v20, v22, vcc_lo
	v_cmp_lt_i32_e64 s2, v24, v19
                                        ; implicit-def: $vgpr20
	v_cmp_ge_i32_e64 s0, v23, v13
	s_or_b32 s0, s0, s1
	s_and_b32 s0, s2, s0
	s_xor_b32 s1, s0, -1
	s_and_saveexec_b32 s2, s1
	s_xor_b32 s1, exec_lo, s2
; %bb.43:
	v_lshl_add_u32 v20, v23, 2, v2
	ds_read_b32 v20, v20 offset:4
; %bb.44:
	s_or_saveexec_b32 s1, s1
	v_mov_b32_e32 v21, v17
	s_xor_b32 exec_lo, exec_lo, s1
	s_cbranch_execz .LBB21_46
; %bb.45:
	s_waitcnt lgkmcnt(0)
	v_lshl_add_u32 v20, v24, 2, v2
	ds_read_b32 v21, v20 offset:4
	v_mov_b32_e32 v20, v16
.LBB21_46:
	s_or_b32 exec_lo, exec_lo, s1
	v_add_nc_u32_e32 v25, 1, v23
	v_add_nc_u32_e32 v26, 1, v24
	s_waitcnt lgkmcnt(0)
	v_cmp_lt_i32_e64 s2, v21, v20
	v_cndmask_b32_e64 v27, v25, v23, s0
	v_cndmask_b32_e64 v28, v24, v26, s0
                                        ; implicit-def: $vgpr25
	v_cmp_ge_i32_e64 s1, v27, v13
	v_cmp_lt_i32_e64 s3, v28, v19
	s_or_b32 s1, s1, s2
	s_and_b32 s1, s3, s1
	s_xor_b32 s2, s1, -1
	s_and_saveexec_b32 s3, s2
	s_xor_b32 s2, exec_lo, s3
; %bb.47:
	v_lshl_add_u32 v25, v27, 2, v2
	ds_read_b32 v25, v25 offset:4
; %bb.48:
	s_or_saveexec_b32 s2, s2
	v_mov_b32_e32 v26, v21
	s_xor_b32 exec_lo, exec_lo, s2
	s_cbranch_execz .LBB21_50
; %bb.49:
	s_waitcnt lgkmcnt(0)
	v_lshl_add_u32 v25, v28, 2, v2
	ds_read_b32 v26, v25 offset:4
	v_mov_b32_e32 v25, v20
.LBB21_50:
	s_or_b32 exec_lo, exec_lo, s2
	v_add_nc_u32_e32 v29, 1, v27
	v_add_nc_u32_e32 v30, 1, v28
	s_waitcnt lgkmcnt(0)
	v_cmp_lt_i32_e64 s3, v26, v25
	v_cndmask_b32_e64 v31, v29, v27, s1
	v_cndmask_b32_e64 v32, v28, v30, s1
                                        ; implicit-def: $vgpr29
	v_cmp_ge_i32_e64 s2, v31, v13
	v_cmp_lt_i32_e64 s4, v32, v19
	s_or_b32 s2, s2, s3
	s_and_b32 s2, s4, s2
	s_xor_b32 s3, s2, -1
	s_and_saveexec_b32 s4, s3
	s_xor_b32 s3, exec_lo, s4
; %bb.51:
	v_lshl_add_u32 v29, v31, 2, v2
	ds_read_b32 v29, v29 offset:4
; %bb.52:
	s_or_saveexec_b32 s3, s3
	v_mov_b32_e32 v30, v26
	s_xor_b32 exec_lo, exec_lo, s3
	s_cbranch_execz .LBB21_54
; %bb.53:
	s_waitcnt lgkmcnt(0)
	v_lshl_add_u32 v29, v32, 2, v2
	ds_read_b32 v30, v29 offset:4
	v_mov_b32_e32 v29, v25
.LBB21_54:
	s_or_b32 exec_lo, exec_lo, s3
	v_add_nc_u32_e32 v33, 1, v31
	v_add_nc_u32_e32 v34, 1, v32
	s_waitcnt lgkmcnt(0)
	v_cmp_lt_i32_e64 s4, v30, v29
                                        ; implicit-def: $vgpr35
	v_cndmask_b32_e64 v33, v33, v31, s2
	v_cndmask_b32_e64 v34, v32, v34, s2
	v_cmp_ge_i32_e64 s3, v33, v13
	v_cmp_lt_i32_e64 s5, v34, v19
	s_or_b32 s3, s3, s4
	s_and_b32 s3, s5, s3
	s_xor_b32 s4, s3, -1
	s_and_saveexec_b32 s5, s4
	s_xor_b32 s4, exec_lo, s5
; %bb.55:
	v_lshl_add_u32 v35, v33, 2, v2
	ds_read_b32 v35, v35 offset:4
; %bb.56:
	s_or_saveexec_b32 s4, s4
	v_mov_b32_e32 v36, v30
	s_xor_b32 exec_lo, exec_lo, s4
	s_cbranch_execz .LBB21_58
; %bb.57:
	s_waitcnt lgkmcnt(0)
	v_lshl_add_u32 v35, v34, 2, v2
	ds_read_b32 v36, v35 offset:4
	v_mov_b32_e32 v35, v29
.LBB21_58:
	s_or_b32 exec_lo, exec_lo, s4
	v_add_nc_u32_e32 v37, 1, v33
	v_add_nc_u32_e32 v38, 1, v34
	s_waitcnt lgkmcnt(0)
	v_cmp_lt_i32_e64 s5, v36, v35
                                        ; implicit-def: $vgpr39
	v_cndmask_b32_e64 v37, v37, v33, s3
	v_cndmask_b32_e64 v38, v34, v38, s3
	v_cmp_ge_i32_e64 s4, v37, v13
	v_cmp_lt_i32_e64 s6, v38, v19
	s_or_b32 s4, s4, s5
	s_and_b32 s4, s6, s4
	s_xor_b32 s5, s4, -1
	s_and_saveexec_b32 s6, s5
	s_xor_b32 s5, exec_lo, s6
; %bb.59:
	v_lshl_add_u32 v39, v37, 2, v2
	ds_read_b32 v39, v39 offset:4
; %bb.60:
	s_or_saveexec_b32 s5, s5
	v_mov_b32_e32 v40, v36
	s_xor_b32 exec_lo, exec_lo, s5
	s_cbranch_execz .LBB21_62
; %bb.61:
	s_waitcnt lgkmcnt(0)
	v_lshl_add_u32 v39, v38, 2, v2
	ds_read_b32 v40, v39 offset:4
	v_mov_b32_e32 v39, v35
.LBB21_62:
	s_or_b32 exec_lo, exec_lo, s5
	v_add_nc_u32_e32 v41, 1, v37
	v_add_nc_u32_e32 v42, 1, v38
	s_waitcnt lgkmcnt(0)
	v_cmp_lt_i32_e64 s6, v40, v39
	v_cndmask_b32_e64 v43, v41, v37, s4
	v_cndmask_b32_e64 v42, v38, v42, s4
                                        ; implicit-def: $vgpr41
	v_cmp_ge_i32_e64 s5, v43, v13
	v_cmp_lt_i32_e64 s7, v42, v19
	s_or_b32 s5, s5, s6
	s_and_b32 s5, s7, s5
	s_xor_b32 s6, s5, -1
	s_and_saveexec_b32 s7, s6
	s_xor_b32 s6, exec_lo, s7
; %bb.63:
	v_lshl_add_u32 v41, v43, 2, v2
	ds_read_b32 v41, v41 offset:4
; %bb.64:
	s_or_saveexec_b32 s6, s6
	v_mov_b32_e32 v44, v40
	s_xor_b32 exec_lo, exec_lo, s6
	s_cbranch_execz .LBB21_66
; %bb.65:
	s_waitcnt lgkmcnt(0)
	v_lshl_add_u32 v41, v42, 2, v2
	ds_read_b32 v44, v41 offset:4
	v_mov_b32_e32 v41, v39
.LBB21_66:
	s_or_b32 exec_lo, exec_lo, s6
	v_add_nc_u32_e32 v45, 1, v43
	v_cndmask_b32_e64 v39, v39, v40, s5
	v_add_nc_u32_e32 v40, 1, v42
	v_cndmask_b32_e64 v35, v35, v36, s4
	v_cndmask_b32_e64 v37, v37, v38, s4
	;; [unrolled: 1-line block ×5, first 2 shown]
	s_waitcnt lgkmcnt(0)
	v_cmp_lt_i32_e64 s4, v44, v41
	v_cndmask_b32_e32 v18, v22, v18, vcc_lo
	v_cmp_ge_i32_e64 s5, v36, v13
	v_cndmask_b32_e64 v23, v23, v24, s0
	v_cmp_lt_i32_e64 s6, v38, v19
	v_cndmask_b32_e64 v19, v27, v28, s1
	v_cndmask_b32_e64 v13, v31, v32, s2
	s_or_b32 s4, s5, s4
	v_cndmask_b32_e64 v33, v33, v34, s3
	s_and_b32 s4, s6, s4
	v_cndmask_b32_e64 v24, v36, v38, s4
	; wave barrier
	ds_write2_b32 v1, v5, v6 offset1:1
	ds_write2_b32 v1, v7, v8 offset0:2 offset1:3
	ds_write2_b32 v1, v9, v10 offset0:4 offset1:5
	;; [unrolled: 1-line block ×3, first 2 shown]
	v_lshl_add_u32 v5, v18, 2, v2
	v_lshl_add_u32 v6, v23, 2, v2
	;; [unrolled: 1-line block ×8, first 2 shown]
	; wave barrier
	ds_read_b32 v5, v5
	ds_read_b32 v6, v6
	;; [unrolled: 1-line block ×8, first 2 shown]
	v_and_b32_e32 v19, 64, v4
	v_and_b32_e32 v4, 56, v4
	v_cndmask_b32_e64 v16, v16, v17, s0
	v_cndmask_b32_e32 v14, v14, v15, vcc_lo
	v_cndmask_b32_e64 v23, v25, v26, s2
	v_or_b32_e32 v13, 32, v19
	v_cndmask_b32_e64 v21, v20, v21, s1
	v_cndmask_b32_e64 v18, v29, v30, s3
	; wave barrier
	v_sub_nc_u32_e64 v20, v4, 32 clamp
	v_sub_nc_u32_e32 v24, v13, v19
	ds_write2_b32 v1, v14, v16 offset1:1
	ds_write2_b32 v1, v21, v23 offset0:2 offset1:3
	v_lshl_add_u32 v14, v19, 2, v2
	v_cndmask_b32_e64 v22, v41, v44, s4
	v_min_i32_e32 v15, v4, v24
	s_mov_b32 s0, exec_lo
	ds_write2_b32 v1, v18, v35 offset0:4 offset1:5
	ds_write2_b32 v1, v39, v22 offset0:6 offset1:7
	; wave barrier
	v_cmpx_lt_i32_e64 v20, v15
	s_cbranch_execz .LBB21_70
; %bb.67:
	v_lshl_add_u32 v16, v4, 2, v14
	s_mov_b32 s1, 0
	.p2align	6
.LBB21_68:                              ; =>This Inner Loop Header: Depth=1
	v_sub_nc_u32_e32 v17, v15, v20
	v_lshrrev_b32_e32 v17, 1, v17
	v_add_nc_u32_e32 v17, v17, v20
	v_not_b32_e32 v18, v17
	v_lshl_add_u32 v21, v17, 2, v14
	v_add_nc_u32_e32 v22, 1, v17
	v_lshl_add_u32 v18, v18, 2, v16
	ds_read_b32 v21, v21
	ds_read_b32 v18, v18 offset:128
	s_waitcnt lgkmcnt(0)
	v_cmp_lt_i32_e32 vcc_lo, v18, v21
	v_cndmask_b32_e32 v15, v15, v17, vcc_lo
	v_cndmask_b32_e32 v20, v22, v20, vcc_lo
	v_cmp_ge_i32_e32 vcc_lo, v20, v15
	s_or_b32 s1, vcc_lo, s1
	s_andn2_b32 exec_lo, exec_lo, s1
	s_cbranch_execnz .LBB21_68
; %bb.69:
	s_or_b32 exec_lo, exec_lo, s1
.LBB21_70:
	s_or_b32 exec_lo, exec_lo, s0
	v_add_nc_u32_e32 v15, v19, v4
	v_lshl_add_u32 v17, v20, 2, v14
	v_add_nc_u32_e32 v16, v13, v4
	v_add_nc_u32_e32 v4, 64, v19
	v_cmp_lt_i32_e32 vcc_lo, 31, v20
	v_sub_nc_u32_e32 v15, v15, v20
	v_sub_nc_u32_e32 v18, v16, v20
                                        ; implicit-def: $vgpr16
	v_lshl_add_u32 v21, v15, 2, v2
	ds_read_b32 v14, v17
	ds_read_b32 v15, v21 offset:128
	v_cmp_gt_i32_e64 s1, v4, v18
	s_waitcnt lgkmcnt(0)
	v_cmp_lt_i32_e64 s0, v15, v14
	s_or_b32 s0, vcc_lo, s0
	s_and_b32 vcc_lo, s1, s0
	s_xor_b32 s0, vcc_lo, -1
	s_and_saveexec_b32 s1, s0
	s_xor_b32 s0, exec_lo, s1
; %bb.71:
	ds_read_b32 v16, v17 offset:4
                                        ; implicit-def: $vgpr21
; %bb.72:
	s_or_saveexec_b32 s0, s0
	v_mov_b32_e32 v17, v15
	s_xor_b32 exec_lo, exec_lo, s0
	s_cbranch_execz .LBB21_74
; %bb.73:
	ds_read_b32 v17, v21 offset:132
	s_waitcnt lgkmcnt(1)
	v_mov_b32_e32 v16, v14
.LBB21_74:
	s_or_b32 exec_lo, exec_lo, s0
	v_add_nc_u32_e32 v21, v20, v19
	v_add_nc_u32_e32 v20, 1, v18
	s_waitcnt lgkmcnt(0)
	v_cmp_lt_i32_e64 s1, v17, v16
	v_add_nc_u32_e32 v19, 1, v21
	v_cndmask_b32_e32 v23, v18, v20, vcc_lo
	v_cndmask_b32_e32 v22, v19, v21, vcc_lo
	v_cmp_lt_i32_e64 s2, v23, v4
                                        ; implicit-def: $vgpr19
	v_cmp_ge_i32_e64 s0, v22, v13
	s_or_b32 s0, s0, s1
	s_and_b32 s0, s2, s0
	s_xor_b32 s1, s0, -1
	s_and_saveexec_b32 s2, s1
	s_xor_b32 s1, exec_lo, s2
; %bb.75:
	v_lshl_add_u32 v19, v22, 2, v2
	ds_read_b32 v19, v19 offset:4
; %bb.76:
	s_or_saveexec_b32 s1, s1
	v_mov_b32_e32 v20, v17
	s_xor_b32 exec_lo, exec_lo, s1
	s_cbranch_execz .LBB21_78
; %bb.77:
	s_waitcnt lgkmcnt(0)
	v_lshl_add_u32 v19, v23, 2, v2
	ds_read_b32 v20, v19 offset:4
	v_mov_b32_e32 v19, v16
.LBB21_78:
	s_or_b32 exec_lo, exec_lo, s1
	v_add_nc_u32_e32 v24, 1, v22
	v_add_nc_u32_e32 v25, 1, v23
	s_waitcnt lgkmcnt(0)
	v_cmp_lt_i32_e64 s2, v20, v19
	v_cndmask_b32_e64 v26, v24, v22, s0
	v_cndmask_b32_e64 v27, v23, v25, s0
                                        ; implicit-def: $vgpr24
	v_cmp_ge_i32_e64 s1, v26, v13
	v_cmp_lt_i32_e64 s3, v27, v4
	s_or_b32 s1, s1, s2
	s_and_b32 s1, s3, s1
	s_xor_b32 s2, s1, -1
	s_and_saveexec_b32 s3, s2
	s_xor_b32 s2, exec_lo, s3
; %bb.79:
	v_lshl_add_u32 v24, v26, 2, v2
	ds_read_b32 v24, v24 offset:4
; %bb.80:
	s_or_saveexec_b32 s2, s2
	v_mov_b32_e32 v25, v20
	s_xor_b32 exec_lo, exec_lo, s2
	s_cbranch_execz .LBB21_82
; %bb.81:
	s_waitcnt lgkmcnt(0)
	v_lshl_add_u32 v24, v27, 2, v2
	ds_read_b32 v25, v24 offset:4
	v_mov_b32_e32 v24, v19
.LBB21_82:
	s_or_b32 exec_lo, exec_lo, s2
	v_add_nc_u32_e32 v28, 1, v26
	v_add_nc_u32_e32 v29, 1, v27
	s_waitcnt lgkmcnt(0)
	v_cmp_lt_i32_e64 s3, v25, v24
	v_cndmask_b32_e64 v31, v28, v26, s1
	v_cndmask_b32_e64 v32, v27, v29, s1
                                        ; implicit-def: $vgpr28
	v_cmp_ge_i32_e64 s2, v31, v13
	v_cmp_lt_i32_e64 s4, v32, v4
	s_or_b32 s2, s2, s3
	s_and_b32 s2, s4, s2
	s_xor_b32 s3, s2, -1
	s_and_saveexec_b32 s4, s3
	s_xor_b32 s3, exec_lo, s4
; %bb.83:
	v_lshl_add_u32 v28, v31, 2, v2
	ds_read_b32 v28, v28 offset:4
; %bb.84:
	s_or_saveexec_b32 s3, s3
	v_mov_b32_e32 v29, v25
	s_xor_b32 exec_lo, exec_lo, s3
	s_cbranch_execz .LBB21_86
; %bb.85:
	s_waitcnt lgkmcnt(0)
	v_lshl_add_u32 v28, v32, 2, v2
	ds_read_b32 v29, v28 offset:4
	v_mov_b32_e32 v28, v24
.LBB21_86:
	s_or_b32 exec_lo, exec_lo, s3
	v_add_nc_u32_e32 v30, 1, v31
	v_add_nc_u32_e32 v33, 1, v32
	s_waitcnt lgkmcnt(0)
	v_cmp_lt_i32_e64 s4, v29, v28
	v_cndmask_b32_e64 v35, v30, v31, s2
	v_cndmask_b32_e64 v36, v32, v33, s2
                                        ; implicit-def: $vgpr30
	v_cmp_ge_i32_e64 s3, v35, v13
	v_cmp_lt_i32_e64 s5, v36, v4
	s_or_b32 s3, s3, s4
	s_and_b32 s3, s5, s3
	s_xor_b32 s4, s3, -1
	s_and_saveexec_b32 s5, s4
	s_xor_b32 s4, exec_lo, s5
; %bb.87:
	v_lshl_add_u32 v30, v35, 2, v2
	ds_read_b32 v30, v30 offset:4
; %bb.88:
	s_or_saveexec_b32 s4, s4
	v_mov_b32_e32 v33, v29
	s_xor_b32 exec_lo, exec_lo, s4
	s_cbranch_execz .LBB21_90
; %bb.89:
	s_waitcnt lgkmcnt(0)
	v_lshl_add_u32 v30, v36, 2, v2
	ds_read_b32 v33, v30 offset:4
	v_mov_b32_e32 v30, v28
.LBB21_90:
	s_or_b32 exec_lo, exec_lo, s4
	v_add_nc_u32_e32 v34, 1, v35
	v_add_nc_u32_e32 v37, 1, v36
	s_waitcnt lgkmcnt(0)
	v_cmp_lt_i32_e64 s5, v33, v30
	v_cndmask_b32_e64 v38, v34, v35, s3
	v_cndmask_b32_e64 v39, v36, v37, s3
                                        ; implicit-def: $vgpr34
	v_cmp_ge_i32_e64 s4, v38, v13
	v_cmp_lt_i32_e64 s6, v39, v4
	s_or_b32 s4, s4, s5
	s_and_b32 s4, s6, s4
	s_xor_b32 s5, s4, -1
	s_and_saveexec_b32 s6, s5
	s_xor_b32 s5, exec_lo, s6
; %bb.91:
	v_lshl_add_u32 v34, v38, 2, v2
	ds_read_b32 v34, v34 offset:4
; %bb.92:
	s_or_saveexec_b32 s5, s5
	v_mov_b32_e32 v37, v33
	s_xor_b32 exec_lo, exec_lo, s5
	s_cbranch_execz .LBB21_94
; %bb.93:
	s_waitcnt lgkmcnt(0)
	v_lshl_add_u32 v34, v39, 2, v2
	ds_read_b32 v37, v34 offset:4
	v_mov_b32_e32 v34, v30
.LBB21_94:
	s_or_b32 exec_lo, exec_lo, s5
	v_add_nc_u32_e32 v40, 1, v38
	v_add_nc_u32_e32 v41, 1, v39
	s_waitcnt lgkmcnt(0)
	v_cmp_lt_i32_e64 s6, v37, v34
	v_cndmask_b32_e64 v42, v40, v38, s4
	v_cndmask_b32_e64 v41, v39, v41, s4
                                        ; implicit-def: $vgpr40
	v_cmp_ge_i32_e64 s5, v42, v13
	v_cmp_lt_i32_e64 s7, v41, v4
	s_or_b32 s5, s5, s6
	s_and_b32 s5, s7, s5
	s_xor_b32 s6, s5, -1
	s_and_saveexec_b32 s7, s6
	s_xor_b32 s6, exec_lo, s7
; %bb.95:
	v_lshl_add_u32 v40, v42, 2, v2
	ds_read_b32 v40, v40 offset:4
; %bb.96:
	s_or_saveexec_b32 s6, s6
	v_mov_b32_e32 v43, v37
	s_xor_b32 exec_lo, exec_lo, s6
	s_cbranch_execz .LBB21_98
; %bb.97:
	s_waitcnt lgkmcnt(0)
	v_lshl_add_u32 v40, v41, 2, v2
	ds_read_b32 v43, v40 offset:4
	v_mov_b32_e32 v40, v34
.LBB21_98:
	s_or_b32 exec_lo, exec_lo, s6
	v_add_nc_u32_e32 v44, 1, v42
	v_add_nc_u32_e32 v45, 1, v41
	v_cndmask_b32_e64 v35, v35, v36, s3
	v_cndmask_b32_e64 v31, v31, v32, s2
	s_waitcnt lgkmcnt(0)
	v_cmp_lt_i32_e64 s6, v43, v40
	v_cndmask_b32_e64 v36, v44, v42, s5
	v_cndmask_b32_e64 v32, v41, v45, s5
	;; [unrolled: 1-line block ×5, first 2 shown]
	v_cmp_ge_i32_e64 s7, v36, v13
	v_cmp_lt_i32_e64 s8, v32, v4
	v_cndmask_b32_e32 v4, v21, v18, vcc_lo
	v_cndmask_b32_e64 v13, v22, v23, s0
	s_or_b32 s6, s7, s6
	; wave barrier
	s_and_b32 s6, s8, s6
	v_lshl_add_u32 v4, v4, 2, v2
	v_cndmask_b32_e64 v21, v36, v32, s6
	ds_write2_b32 v1, v5, v6 offset1:1
	ds_write2_b32 v1, v7, v8 offset0:2 offset1:3
	ds_write2_b32 v1, v9, v10 offset0:4 offset1:5
	;; [unrolled: 1-line block ×3, first 2 shown]
	v_lshl_add_u32 v5, v13, 2, v2
	v_lshl_add_u32 v6, v26, 2, v2
	;; [unrolled: 1-line block ×7, first 2 shown]
	; wave barrier
	ds_read_b32 v4, v4
	ds_read_b32 v5, v5
	;; [unrolled: 1-line block ×8, first 2 shown]
	v_cndmask_b32_e64 v16, v16, v17, s0
	v_cndmask_b32_e32 v14, v14, v15, vcc_lo
	v_sub_nc_u32_e64 v12, v3, 64 clamp
	v_min_u32_e32 v13, 64, v3
	v_cndmask_b32_e64 v24, v24, v25, s2
	v_cndmask_b32_e64 v19, v19, v20, s1
	;; [unrolled: 1-line block ×6, first 2 shown]
	s_mov_b32 s0, exec_lo
	; wave barrier
	ds_write2_b32 v1, v14, v16 offset1:1
	ds_write2_b32 v1, v19, v24 offset0:2 offset1:3
	ds_write2_b32 v1, v23, v22 offset0:4 offset1:5
	;; [unrolled: 1-line block ×3, first 2 shown]
	; wave barrier
	v_cmpx_lt_u32_e64 v12, v13
	s_cbranch_execz .LBB21_102
; %bb.99:
	s_mov_b32 s1, 0
	.p2align	6
.LBB21_100:                             ; =>This Inner Loop Header: Depth=1
	v_sub_nc_u32_e32 v14, v13, v12
	v_lshrrev_b32_e32 v14, 1, v14
	v_add_nc_u32_e32 v14, v14, v12
	v_not_b32_e32 v15, v14
	v_lshl_add_u32 v16, v14, 2, v2
	v_add_nc_u32_e32 v17, 1, v14
	v_lshl_add_u32 v15, v15, 2, v1
	ds_read_b32 v16, v16
	ds_read_b32 v15, v15 offset:256
	s_waitcnt lgkmcnt(0)
	v_cmp_lt_i32_e32 vcc_lo, v15, v16
	v_cndmask_b32_e32 v13, v13, v14, vcc_lo
	v_cndmask_b32_e32 v12, v17, v12, vcc_lo
	v_cmp_ge_i32_e32 vcc_lo, v12, v13
	s_or_b32 s1, vcc_lo, s1
	s_andn2_b32 exec_lo, exec_lo, s1
	s_cbranch_execnz .LBB21_100
; %bb.101:
	s_or_b32 exec_lo, exec_lo, s1
.LBB21_102:
	s_or_b32 exec_lo, exec_lo, s0
	v_sub_nc_u32_e32 v14, v3, v12
	v_lshl_add_u32 v15, v12, 2, v2
	v_cmp_lt_i32_e32 vcc_lo, 63, v12
	v_lshl_add_u32 v17, v14, 2, v2
	v_add_nc_u32_e32 v16, 64, v14
                                        ; implicit-def: $vgpr14
	ds_read_b32 v3, v15
	ds_read_b32 v13, v17 offset:256
	v_cmp_gt_i32_e64 s1, 0x80, v16
	s_waitcnt lgkmcnt(0)
	v_cmp_lt_i32_e64 s0, v13, v3
	s_or_b32 s0, vcc_lo, s0
	s_and_b32 vcc_lo, s1, s0
	s_xor_b32 s0, vcc_lo, -1
	s_and_saveexec_b32 s1, s0
	s_xor_b32 s0, exec_lo, s1
; %bb.103:
	ds_read_b32 v14, v15 offset:4
                                        ; implicit-def: $vgpr17
; %bb.104:
	s_or_saveexec_b32 s0, s0
	v_mov_b32_e32 v15, v13
	s_xor_b32 exec_lo, exec_lo, s0
	s_cbranch_execz .LBB21_106
; %bb.105:
	ds_read_b32 v15, v17 offset:260
	s_waitcnt lgkmcnt(1)
	v_mov_b32_e32 v14, v3
.LBB21_106:
	s_or_b32 exec_lo, exec_lo, s0
	v_add_nc_u32_e32 v17, 1, v12
	v_add_nc_u32_e32 v18, 1, v16
	s_waitcnt lgkmcnt(0)
	v_cmp_lt_i32_e64 s1, v15, v14
	v_cndmask_b32_e32 v19, v17, v12, vcc_lo
	v_cndmask_b32_e32 v20, v16, v18, vcc_lo
                                        ; implicit-def: $vgpr17
	v_cmp_lt_i32_e64 s0, 63, v19
	v_cmp_gt_i32_e64 s2, 0x80, v20
	s_or_b32 s0, s0, s1
	s_and_b32 s0, s2, s0
	s_xor_b32 s1, s0, -1
	s_and_saveexec_b32 s2, s1
	s_xor_b32 s1, exec_lo, s2
; %bb.107:
	v_lshl_add_u32 v17, v19, 2, v2
	ds_read_b32 v17, v17 offset:4
; %bb.108:
	s_or_saveexec_b32 s1, s1
	v_mov_b32_e32 v18, v15
	s_xor_b32 exec_lo, exec_lo, s1
	s_cbranch_execz .LBB21_110
; %bb.109:
	s_waitcnt lgkmcnt(0)
	v_lshl_add_u32 v17, v20, 2, v2
	ds_read_b32 v18, v17 offset:4
	v_mov_b32_e32 v17, v14
.LBB21_110:
	s_or_b32 exec_lo, exec_lo, s1
	v_add_nc_u32_e32 v21, 1, v19
	v_add_nc_u32_e32 v22, 1, v20
	s_waitcnt lgkmcnt(0)
	v_cmp_lt_i32_e64 s2, v18, v17
	v_cndmask_b32_e64 v23, v21, v19, s0
	v_cndmask_b32_e64 v24, v20, v22, s0
                                        ; implicit-def: $vgpr21
	v_cmp_lt_i32_e64 s1, 63, v23
	v_cmp_gt_i32_e64 s3, 0x80, v24
	s_or_b32 s1, s1, s2
	s_and_b32 s1, s3, s1
	s_xor_b32 s2, s1, -1
	s_and_saveexec_b32 s3, s2
	s_xor_b32 s2, exec_lo, s3
; %bb.111:
	v_lshl_add_u32 v21, v23, 2, v2
	ds_read_b32 v21, v21 offset:4
; %bb.112:
	s_or_saveexec_b32 s2, s2
	v_mov_b32_e32 v22, v18
	s_xor_b32 exec_lo, exec_lo, s2
	s_cbranch_execz .LBB21_114
; %bb.113:
	s_waitcnt lgkmcnt(0)
	v_lshl_add_u32 v21, v24, 2, v2
	ds_read_b32 v22, v21 offset:4
	v_mov_b32_e32 v21, v17
.LBB21_114:
	s_or_b32 exec_lo, exec_lo, s2
	v_add_nc_u32_e32 v25, 1, v23
	v_add_nc_u32_e32 v26, 1, v24
	s_waitcnt lgkmcnt(0)
	v_cmp_lt_i32_e64 s3, v22, v21
	v_cndmask_b32_e64 v27, v25, v23, s1
	v_cndmask_b32_e64 v28, v24, v26, s1
                                        ; implicit-def: $vgpr25
	v_cmp_lt_i32_e64 s2, 63, v27
	v_cmp_gt_i32_e64 s4, 0x80, v28
	s_or_b32 s2, s2, s3
	s_and_b32 s2, s4, s2
	s_xor_b32 s3, s2, -1
	s_and_saveexec_b32 s4, s3
	s_xor_b32 s3, exec_lo, s4
; %bb.115:
	v_lshl_add_u32 v25, v27, 2, v2
	ds_read_b32 v25, v25 offset:4
; %bb.116:
	s_or_saveexec_b32 s3, s3
	v_mov_b32_e32 v26, v22
	s_xor_b32 exec_lo, exec_lo, s3
	s_cbranch_execz .LBB21_118
; %bb.117:
	s_waitcnt lgkmcnt(0)
	v_lshl_add_u32 v25, v28, 2, v2
	ds_read_b32 v26, v25 offset:4
	v_mov_b32_e32 v25, v21
.LBB21_118:
	s_or_b32 exec_lo, exec_lo, s3
	v_add_nc_u32_e32 v29, 1, v27
	v_add_nc_u32_e32 v30, 1, v28
	s_waitcnt lgkmcnt(0)
	v_cmp_lt_i32_e64 s4, v26, v25
	v_cndmask_b32_e64 v31, v29, v27, s2
	v_cndmask_b32_e64 v32, v28, v30, s2
                                        ; implicit-def: $vgpr29
	v_cmp_lt_i32_e64 s3, 63, v31
	v_cmp_gt_i32_e64 s5, 0x80, v32
	s_or_b32 s3, s3, s4
	s_and_b32 s3, s5, s3
	s_xor_b32 s4, s3, -1
	s_and_saveexec_b32 s5, s4
	s_xor_b32 s4, exec_lo, s5
; %bb.119:
	v_lshl_add_u32 v29, v31, 2, v2
	ds_read_b32 v29, v29 offset:4
; %bb.120:
	s_or_saveexec_b32 s4, s4
	v_mov_b32_e32 v30, v26
	s_xor_b32 exec_lo, exec_lo, s4
	s_cbranch_execz .LBB21_122
; %bb.121:
	s_waitcnt lgkmcnt(0)
	v_lshl_add_u32 v29, v32, 2, v2
	ds_read_b32 v30, v29 offset:4
	v_mov_b32_e32 v29, v25
.LBB21_122:
	s_or_b32 exec_lo, exec_lo, s4
	v_add_nc_u32_e32 v33, 1, v31
	v_add_nc_u32_e32 v34, 1, v32
	s_waitcnt lgkmcnt(0)
	v_cmp_lt_i32_e64 s5, v30, v29
                                        ; implicit-def: $vgpr38
	v_cndmask_b32_e64 v33, v33, v31, s3
	v_cndmask_b32_e64 v34, v32, v34, s3
	v_cmp_lt_i32_e64 s4, 63, v33
	v_cmp_gt_i32_e64 s6, 0x80, v34
	s_or_b32 s4, s4, s5
	s_and_b32 s4, s6, s4
	s_xor_b32 s5, s4, -1
	s_and_saveexec_b32 s6, s5
	s_xor_b32 s5, exec_lo, s6
; %bb.123:
	v_lshl_add_u32 v35, v33, 2, v2
	ds_read_b32 v38, v35 offset:4
; %bb.124:
	s_or_saveexec_b32 s5, s5
	v_mov_b32_e32 v36, v30
	s_xor_b32 exec_lo, exec_lo, s5
	s_cbranch_execz .LBB21_126
; %bb.125:
	v_lshl_add_u32 v35, v34, 2, v2
	s_waitcnt lgkmcnt(0)
	v_mov_b32_e32 v38, v29
	ds_read_b32 v36, v35 offset:4
.LBB21_126:
	s_or_b32 exec_lo, exec_lo, s5
	v_add_nc_u32_e32 v35, 1, v33
	v_add_nc_u32_e32 v37, 1, v34
	s_waitcnt lgkmcnt(0)
	v_cmp_ge_i32_e64 s6, v36, v38
                                        ; implicit-def: $vgpr41
                                        ; implicit-def: $vgpr40
	v_cndmask_b32_e64 v42, v35, v33, s4
	v_cndmask_b32_e64 v37, v34, v37, s4
	v_cmp_gt_i32_e64 s5, 64, v42
	v_cmp_lt_i32_e64 s7, 0x7f, v37
	s_and_b32 s5, s5, s6
	s_or_b32 s5, s7, s5
	s_and_saveexec_b32 s6, s5
	s_xor_b32 s5, exec_lo, s6
; %bb.127:
	v_lshl_add_u32 v35, v42, 2, v2
	v_add_nc_u32_e32 v40, 1, v42
	ds_read_b32 v41, v35 offset:4
; %bb.128:
	s_or_saveexec_b32 s5, s5
	v_mov_b32_e32 v35, v38
	v_mov_b32_e32 v39, v42
	s_xor_b32 exec_lo, exec_lo, s5
	s_cbranch_execz .LBB21_130
; %bb.129:
	v_lshl_add_u32 v35, v37, 2, v2
	s_waitcnt lgkmcnt(0)
	v_add_nc_u32_e32 v41, 1, v37
	v_mov_b32_e32 v39, v37
	v_mov_b32_e32 v40, v42
	ds_read_b32 v43, v35 offset:4
	v_mov_b32_e32 v35, v36
	v_mov_b32_e32 v37, v41
	;; [unrolled: 1-line block ×3, first 2 shown]
	s_waitcnt lgkmcnt(0)
	v_mov_b32_e32 v36, v43
.LBB21_130:
	s_or_b32 exec_lo, exec_lo, s5
	v_cmp_lt_i32_e64 s5, 63, v40
	s_waitcnt lgkmcnt(0)
	v_cmp_lt_i32_e64 s6, v36, v41
	v_cmp_gt_i32_e64 s7, 0x80, v37
	v_cndmask_b32_e32 v12, v12, v16, vcc_lo
	v_cndmask_b32_e64 v19, v19, v20, s0
	v_cndmask_b32_e64 v23, v23, v24, s1
	s_or_b32 s5, s5, s6
	v_cndmask_b32_e64 v27, v27, v28, s2
	s_and_b32 s5, s7, s5
	v_cndmask_b32_e64 v33, v33, v34, s4
	v_cndmask_b32_e64 v31, v31, v32, s3
	;; [unrolled: 1-line block ×3, first 2 shown]
	; wave barrier
	ds_write2_b32 v1, v4, v5 offset1:1
	ds_write2_b32 v1, v6, v7 offset0:2 offset1:3
	ds_write2_b32 v1, v8, v9 offset0:4 offset1:5
	;; [unrolled: 1-line block ×3, first 2 shown]
	v_lshl_add_u32 v1, v12, 2, v2
	v_lshl_add_u32 v4, v19, 2, v2
	;; [unrolled: 1-line block ×7, first 2 shown]
	; wave barrier
	v_lshl_add_u32 v2, v20, 2, v2
	ds_read_b32 v1, v1
	ds_read_b32 v4, v4
	;; [unrolled: 1-line block ×8, first 2 shown]
	v_cndmask_b32_e32 v2, v3, v13, vcc_lo
	v_cndmask_b32_e64 v3, v14, v15, s0
	v_cndmask_b32_e64 v12, v17, v18, s1
	;; [unrolled: 1-line block ×6, first 2 shown]
	v_lshlrev_b32_e32 v0, 2, v0
	s_add_u32 s0, s22, s24
	s_addc_u32 s1, s23, s25
	s_waitcnt lgkmcnt(7)
	v_add_nc_u32_e32 v1, v1, v2
	s_waitcnt lgkmcnt(6)
	v_add_nc_u32_e32 v2, v4, v3
	;; [unrolled: 2-line block ×8, first 2 shown]
	global_store_dwordx4 v0, v[1:4], s[0:1]
	global_store_dwordx4 v0, v[5:8], s[0:1] offset:16
	s_endpgm
	.section	.rodata,"a",@progbits
	.p2align	6, 0x0
	.amdhsa_kernel _Z10sort_pairsILj256ELj16ELj8EiN10test_utils4lessEEvPKT2_PS2_T3_
		.amdhsa_group_segment_fixed_size 8256
		.amdhsa_private_segment_fixed_size 0
		.amdhsa_kernarg_size 20
		.amdhsa_user_sgpr_count 6
		.amdhsa_user_sgpr_private_segment_buffer 1
		.amdhsa_user_sgpr_dispatch_ptr 0
		.amdhsa_user_sgpr_queue_ptr 0
		.amdhsa_user_sgpr_kernarg_segment_ptr 1
		.amdhsa_user_sgpr_dispatch_id 0
		.amdhsa_user_sgpr_flat_scratch_init 0
		.amdhsa_user_sgpr_private_segment_size 0
		.amdhsa_wavefront_size32 1
		.amdhsa_uses_dynamic_stack 0
		.amdhsa_system_sgpr_private_segment_wavefront_offset 0
		.amdhsa_system_sgpr_workgroup_id_x 1
		.amdhsa_system_sgpr_workgroup_id_y 0
		.amdhsa_system_sgpr_workgroup_id_z 0
		.amdhsa_system_sgpr_workgroup_info 0
		.amdhsa_system_vgpr_workitem_id 0
		.amdhsa_next_free_vgpr 53
		.amdhsa_next_free_sgpr 26
		.amdhsa_reserve_vcc 1
		.amdhsa_reserve_flat_scratch 0
		.amdhsa_float_round_mode_32 0
		.amdhsa_float_round_mode_16_64 0
		.amdhsa_float_denorm_mode_32 3
		.amdhsa_float_denorm_mode_16_64 3
		.amdhsa_dx10_clamp 1
		.amdhsa_ieee_mode 1
		.amdhsa_fp16_overflow 0
		.amdhsa_workgroup_processor_mode 1
		.amdhsa_memory_ordered 1
		.amdhsa_forward_progress 1
		.amdhsa_shared_vgpr_count 0
		.amdhsa_exception_fp_ieee_invalid_op 0
		.amdhsa_exception_fp_denorm_src 0
		.amdhsa_exception_fp_ieee_div_zero 0
		.amdhsa_exception_fp_ieee_overflow 0
		.amdhsa_exception_fp_ieee_underflow 0
		.amdhsa_exception_fp_ieee_inexact 0
		.amdhsa_exception_int_div_zero 0
	.end_amdhsa_kernel
	.section	.text._Z10sort_pairsILj256ELj16ELj8EiN10test_utils4lessEEvPKT2_PS2_T3_,"axG",@progbits,_Z10sort_pairsILj256ELj16ELj8EiN10test_utils4lessEEvPKT2_PS2_T3_,comdat
.Lfunc_end21:
	.size	_Z10sort_pairsILj256ELj16ELj8EiN10test_utils4lessEEvPKT2_PS2_T3_, .Lfunc_end21-_Z10sort_pairsILj256ELj16ELj8EiN10test_utils4lessEEvPKT2_PS2_T3_
                                        ; -- End function
	.set _Z10sort_pairsILj256ELj16ELj8EiN10test_utils4lessEEvPKT2_PS2_T3_.num_vgpr, 53
	.set _Z10sort_pairsILj256ELj16ELj8EiN10test_utils4lessEEvPKT2_PS2_T3_.num_agpr, 0
	.set _Z10sort_pairsILj256ELj16ELj8EiN10test_utils4lessEEvPKT2_PS2_T3_.numbered_sgpr, 26
	.set _Z10sort_pairsILj256ELj16ELj8EiN10test_utils4lessEEvPKT2_PS2_T3_.num_named_barrier, 0
	.set _Z10sort_pairsILj256ELj16ELj8EiN10test_utils4lessEEvPKT2_PS2_T3_.private_seg_size, 0
	.set _Z10sort_pairsILj256ELj16ELj8EiN10test_utils4lessEEvPKT2_PS2_T3_.uses_vcc, 1
	.set _Z10sort_pairsILj256ELj16ELj8EiN10test_utils4lessEEvPKT2_PS2_T3_.uses_flat_scratch, 0
	.set _Z10sort_pairsILj256ELj16ELj8EiN10test_utils4lessEEvPKT2_PS2_T3_.has_dyn_sized_stack, 0
	.set _Z10sort_pairsILj256ELj16ELj8EiN10test_utils4lessEEvPKT2_PS2_T3_.has_recursion, 0
	.set _Z10sort_pairsILj256ELj16ELj8EiN10test_utils4lessEEvPKT2_PS2_T3_.has_indirect_call, 0
	.section	.AMDGPU.csdata,"",@progbits
; Kernel info:
; codeLenInByte = 7288
; TotalNumSgprs: 28
; NumVgprs: 53
; ScratchSize: 0
; MemoryBound: 0
; FloatMode: 240
; IeeeMode: 1
; LDSByteSize: 8256 bytes/workgroup (compile time only)
; SGPRBlocks: 0
; VGPRBlocks: 6
; NumSGPRsForWavesPerEU: 28
; NumVGPRsForWavesPerEU: 53
; Occupancy: 16
; WaveLimiterHint : 0
; COMPUTE_PGM_RSRC2:SCRATCH_EN: 0
; COMPUTE_PGM_RSRC2:USER_SGPR: 6
; COMPUTE_PGM_RSRC2:TRAP_HANDLER: 0
; COMPUTE_PGM_RSRC2:TGID_X_EN: 1
; COMPUTE_PGM_RSRC2:TGID_Y_EN: 0
; COMPUTE_PGM_RSRC2:TGID_Z_EN: 0
; COMPUTE_PGM_RSRC2:TIDIG_COMP_CNT: 0
	.section	.text._Z19sort_keys_segmentedILj256ELj16ELj8EiN10test_utils4lessEEvPKT2_PS2_PKjT3_,"axG",@progbits,_Z19sort_keys_segmentedILj256ELj16ELj8EiN10test_utils4lessEEvPKT2_PS2_PKjT3_,comdat
	.protected	_Z19sort_keys_segmentedILj256ELj16ELj8EiN10test_utils4lessEEvPKT2_PS2_PKjT3_ ; -- Begin function _Z19sort_keys_segmentedILj256ELj16ELj8EiN10test_utils4lessEEvPKT2_PS2_PKjT3_
	.globl	_Z19sort_keys_segmentedILj256ELj16ELj8EiN10test_utils4lessEEvPKT2_PS2_PKjT3_
	.p2align	8
	.type	_Z19sort_keys_segmentedILj256ELj16ELj8EiN10test_utils4lessEEvPKT2_PS2_PKjT3_,@function
_Z19sort_keys_segmentedILj256ELj16ELj8EiN10test_utils4lessEEvPKT2_PS2_PKjT3_: ; @_Z19sort_keys_segmentedILj256ELj16ELj8EiN10test_utils4lessEEvPKT2_PS2_PKjT3_
; %bb.0:
	s_clause 0x1
	s_load_dwordx2 s[0:1], s[4:5], 0x10
	s_load_dwordx4 s[16:19], s[4:5], 0x0
	v_lshrrev_b32_e32 v9, 4, v0
	v_mov_b32_e32 v2, 0
	v_mbcnt_lo_u32_b32 v0, -1, 0
	v_lshl_or_b32 v1, s6, 4, v9
	v_mov_b32_e32 v10, v2
	v_lshlrev_b32_e32 v8, 3, v0
	v_mov_b32_e32 v16, v2
	v_mov_b32_e32 v18, v2
	v_lshlrev_b64 v[3:4], 2, v[1:2]
	v_lshlrev_b32_e32 v1, 7, v1
	v_and_b32_e32 v7, 0x78, v8
	v_mov_b32_e32 v17, v2
	v_mov_b32_e32 v13, v2
	;; [unrolled: 1-line block ×3, first 2 shown]
	v_lshlrev_b64 v[0:1], 2, v[1:2]
	v_lshlrev_b32_e32 v5, 2, v7
	s_waitcnt lgkmcnt(0)
	v_add_co_u32 v3, vcc_lo, s0, v3
	v_add_co_ci_u32_e64 v4, null, s1, v4, vcc_lo
	v_mov_b32_e32 v15, v2
	global_load_dword v6, v[3:4], off
	v_add_co_u32 v3, vcc_lo, s16, v0
	v_add_co_ci_u32_e64 v4, null, s17, v1, vcc_lo
	v_add_co_u32 v3, vcc_lo, v3, v5
	v_add_co_ci_u32_e64 v4, null, 0, v4, vcc_lo
	s_waitcnt vmcnt(0)
	v_cmp_lt_u32_e32 vcc_lo, v7, v6
	s_and_saveexec_b32 s0, vcc_lo
	s_cbranch_execz .LBB22_2
; %bb.1:
	global_load_dword v10, v[3:4], off
	v_mov_b32_e32 v16, v2
	v_mov_b32_e32 v18, v2
	;; [unrolled: 1-line block ×6, first 2 shown]
.LBB22_2:
	s_or_b32 exec_lo, exec_lo, s0
	v_or_b32_e32 v11, 1, v7
	v_cmp_lt_u32_e64 s0, v11, v6
	s_and_saveexec_b32 s1, s0
	s_cbranch_execz .LBB22_4
; %bb.3:
	global_load_dword v2, v[3:4], off offset:4
.LBB22_4:
	s_or_b32 exec_lo, exec_lo, s1
	v_or_b32_e32 v12, 2, v7
	v_cmp_lt_u32_e64 s1, v12, v6
	s_and_saveexec_b32 s2, s1
	s_cbranch_execz .LBB22_6
; %bb.5:
	global_load_dword v16, v[3:4], off offset:8
.LBB22_6:
	;; [unrolled: 8-line block ×7, first 2 shown]
	s_or_b32 exec_lo, exec_lo, s7
	v_cmp_lt_i32_e64 s8, v22, v6
	v_cmp_lt_i32_e64 s9, v23, v6
	;; [unrolled: 1-line block ×6, first 2 shown]
	s_or_b32 s8, s9, s8
	s_waitcnt vmcnt(0)
	v_cndmask_b32_e64 v14, 0x7fffffff, v14, s9
	v_cndmask_b32_e64 v13, 0x7fffffff, v13, s8
	s_or_b32 s8, s8, s11
	s_mov_b32 s9, exec_lo
	v_cndmask_b32_e64 v17, 0x7fffffff, v17, s8
	s_or_b32 s8, s8, s12
	v_cndmask_b32_e64 v18, 0x7fffffff, v18, s8
	s_or_b32 s8, s8, s10
	s_brev_b32 s10, -2
	s_or_b32 s7, s8, s7
	v_cndmask_b32_e64 v16, 0x7fffffff, v16, s8
	v_cndmask_b32_e64 v2, 0x7fffffff, v2, s7
	v_cmp_lt_i32_e64 s8, v21, v6
	v_cmpx_ge_i32_e64 v21, v6
; %bb.17:
	v_cmp_lt_i32_e64 s7, v7, v6
	v_mov_b32_e32 v15, s10
	s_andn2_b32 s8, s8, exec_lo
	s_and_b32 s7, s7, exec_lo
	s_or_b32 s8, s8, s7
; %bb.18:
	s_or_b32 exec_lo, exec_lo, s9
	s_and_saveexec_b32 s10, s8
	s_cbranch_execz .LBB22_22
; %bb.19:
	v_cmp_lt_i32_e64 s7, v2, v10
	v_min_i32_e32 v4, v2, v10
	v_cmp_lt_i32_e64 s8, v18, v16
	v_max_i32_e32 v11, v2, v10
	v_max_i32_e32 v19, v18, v16
	v_cndmask_b32_e64 v3, v10, v2, s7
	v_cndmask_b32_e64 v2, v2, v10, s7
	v_cmp_lt_i32_e64 s7, v13, v17
	v_cndmask_b32_e64 v10, v18, v16, s8
	v_cndmask_b32_e64 v12, v16, v18, s8
	v_min_i32_e32 v16, v18, v16
	v_max_i32_e32 v21, v13, v17
	v_cndmask_b32_e64 v18, v13, v17, s7
	v_cndmask_b32_e64 v20, v17, v13, s7
	v_cmp_lt_i32_e64 s7, v15, v14
	v_min_i32_e32 v13, v13, v17
	v_cmp_lt_i32_e64 s8, v16, v11
	v_max_i32_e32 v23, v15, v14
	v_cndmask_b32_e64 v17, v15, v14, s7
	v_cndmask_b32_e64 v22, v14, v15, s7
	v_min_i32_e32 v14, v15, v14
	v_cndmask_b32_e64 v12, v12, v11, s8
	v_cndmask_b32_e64 v2, v2, v16, s8
	v_cmp_lt_i32_e64 s7, v13, v19
	v_max_i32_e32 v15, v16, v11
	v_cmp_lt_i32_e64 s8, v14, v21
	v_min_i32_e32 v11, v16, v11
	v_max_i32_e32 v24, v13, v19
	v_cndmask_b32_e64 v20, v20, v19, s7
	v_cndmask_b32_e64 v10, v10, v13, s7
	v_min_i32_e32 v13, v13, v19
	v_cndmask_b32_e64 v18, v18, v14, s8
	v_cmp_lt_i32_e64 s7, v16, v4
	v_max_i32_e32 v16, v14, v21
	v_min_i32_e32 v14, v14, v21
	v_cndmask_b32_e64 v19, v22, v21, s8
	v_cmp_lt_i32_e64 s8, v13, v15
	v_cndmask_b32_e64 v3, v3, v11, s7
	v_cndmask_b32_e64 v2, v2, v4, s7
	;; [unrolled: 1-line block ×4, first 2 shown]
	v_cmp_lt_i32_e64 s7, v14, v24
	v_cndmask_b32_e64 v10, v10, v15, s8
	v_cndmask_b32_e64 v11, v12, v13, s8
	v_max_i32_e32 v12, v13, v15
	v_min_i32_e32 v13, v13, v15
	v_cndmask_b32_e64 v15, v18, v24, s7
	v_cmp_gt_i32_e64 s8, v21, v23
	v_cndmask_b32_e64 v18, v20, v14, s7
	v_max_i32_e32 v20, v14, v24
	v_min_i32_e32 v14, v14, v24
	v_cmp_lt_i32_e64 s7, v13, v4
	v_cndmask_b32_e64 v17, v17, v16, s8
	v_cndmask_b32_e64 v19, v19, v23, s8
	;; [unrolled: 1-line block ×4, first 2 shown]
	v_cmp_lt_i32_e64 s8, v14, v12
	v_cndmask_b32_e64 v11, v11, v4, s7
	v_cndmask_b32_e64 v2, v2, v13, s7
	v_max_i32_e32 v23, v13, v4
	v_min_i32_e32 v4, v13, v4
	v_cndmask_b32_e64 v13, v18, v12, s8
	v_cmp_lt_i32_e64 s7, v16, v20
	v_max_i32_e32 v18, v14, v12
	v_min_i32_e32 v12, v14, v12
	v_cndmask_b32_e64 v10, v10, v14, s8
	v_cmp_lt_i32_e64 s8, v4, v22
	v_cndmask_b32_e64 v14, v19, v20, s7
	v_cndmask_b32_e64 v15, v15, v16, s7
	v_max_i32_e32 v19, v16, v20
	v_min_i32_e32 v16, v16, v20
	v_cmp_lt_i32_e64 s7, v12, v23
	v_cndmask_b32_e64 v3, v3, v4, s8
	v_cndmask_b32_e64 v2, v2, v22, s8
	v_min_i32_e32 v20, v4, v22
	v_max_i32_e32 v4, v4, v22
	v_cndmask_b32_e64 v10, v10, v23, s7
	v_cmp_lt_i32_e64 s8, v16, v18
	v_cndmask_b32_e64 v11, v11, v12, s7
	v_max_i32_e32 v22, v12, v23
	v_min_i32_e32 v12, v12, v23
	v_cmp_lt_i32_e64 s7, v21, v19
	v_cndmask_b32_e64 v15, v15, v18, s8
	v_cndmask_b32_e64 v13, v13, v16, s8
	v_max_i32_e32 v23, v16, v18
	v_min_i32_e32 v16, v16, v18
	v_cndmask_b32_e64 v17, v17, v19, s7
	v_cmp_lt_i32_e64 s8, v12, v4
	v_max_i32_e32 v18, v21, v19
	v_min_i32_e32 v19, v21, v19
	v_cndmask_b32_e64 v14, v14, v21, s7
	v_cmp_lt_i32_e64 s7, v16, v22
	v_cndmask_b32_e64 v2, v2, v12, s8
	v_cndmask_b32_e64 v11, v11, v4, s8
	v_cmp_lt_i32_e64 s8, v19, v23
	v_max_i32_e32 v21, v12, v4
	v_min_i32_e32 v4, v12, v4
	v_cndmask_b32_e64 v24, v13, v22, s7
	v_cndmask_b32_e64 v13, v10, v16, s7
	v_max_i32_e32 v25, v16, v22
	v_min_i32_e32 v16, v16, v22
	v_cndmask_b32_e64 v15, v15, v19, s8
	v_cmp_lt_i32_e64 s7, v12, v20
	v_max_i32_e32 v12, v19, v23
	v_min_i32_e32 v19, v19, v23
	v_cndmask_b32_e64 v14, v14, v23, s8
	v_cmp_lt_i32_e64 s8, v16, v21
	v_cndmask_b32_e64 v10, v3, v4, s7
	v_cndmask_b32_e64 v2, v2, v20, s7
	;; [unrolled: 1-line block ×3, first 2 shown]
	v_cmp_lt_i32_e64 s7, v19, v25
	v_cndmask_b32_e64 v22, v13, v21, s8
	v_max_i32_e32 v26, v16, v21
	v_min_i32_e32 v21, v16, v21
	v_cndmask_b32_e64 v11, v11, v16, s8
	v_cndmask_b32_e64 v13, v15, v25, s7
	v_cndmask_b32_e64 v24, v24, v19, s7
	v_cmp_gt_i32_e64 s7, v23, v18
	v_min_i32_e32 v23, v19, v25
	v_cmp_lt_i32_e64 s8, v21, v20
	v_max_i32_e32 v3, v19, v25
	v_cndmask_b32_e64 v15, v17, v12, s7
	v_cmp_lt_i32_e64 s9, v23, v26
	v_cndmask_b32_e64 v14, v14, v18, s7
	v_cndmask_b32_e64 v4, v12, v18, s7
	;; [unrolled: 1-line block ×6, first 2 shown]
	s_mov_b32 s8, exec_lo
	v_cmpx_lt_i32_e64 v4, v3
; %bb.20:
	v_mov_b32_e32 v13, v4
	v_mov_b32_e32 v14, v3
; %bb.21:
	s_or_b32 exec_lo, exec_lo, s8
.LBB22_22:
	s_or_b32 exec_lo, exec_lo, s10
	v_and_b32_e32 v3, 0x70, v8
	v_and_b32_e32 v4, 8, v8
	; wave barrier
	s_mov_b32 s9, 0
	v_min_i32_e32 v19, v6, v3
	v_min_i32_e32 v20, v6, v4
	v_mad_u32_u24 v4, 0x204, v9, v5
	s_mov_b32 s8, exec_lo
	ds_write2_b32 v4, v10, v2 offset1:1
	ds_write2_b32 v4, v16, v18 offset0:2 offset1:3
	ds_write2_b32 v4, v17, v13 offset0:4 offset1:5
	v_add_nc_u32_e32 v3, 8, v19
	v_lshlrev_b32_e32 v24, 2, v19
	ds_write2_b32 v4, v14, v15 offset0:6 offset1:7
	; wave barrier
	v_min_i32_e32 v12, v6, v3
	v_mad_u32_u24 v2, 0x204, v9, v24
	v_add_nc_u32_e32 v3, 8, v12
	v_sub_nc_u32_e32 v23, v12, v19
	v_min_i32_e32 v11, v6, v3
	v_mul_u32_u24_e32 v3, 0x204, v9
	v_sub_nc_u32_e32 v21, v11, v12
	v_sub_nc_u32_e32 v22, v20, v21
	v_cmp_ge_i32_e64 s7, v20, v21
	v_cndmask_b32_e64 v21, 0, v22, s7
	v_min_i32_e32 v22, v20, v23
	v_cmpx_lt_i32_e64 v21, v22
	s_cbranch_execz .LBB22_26
; %bb.23:
	v_lshlrev_b32_e32 v9, 2, v12
	v_lshlrev_b32_e32 v10, 2, v20
	v_add3_u32 v9, v3, v9, v10
	.p2align	6
.LBB22_24:                              ; =>This Inner Loop Header: Depth=1
	v_sub_nc_u32_e32 v10, v22, v21
	v_lshrrev_b32_e32 v10, 1, v10
	v_add_nc_u32_e32 v10, v10, v21
	v_not_b32_e32 v13, v10
	v_lshl_add_u32 v14, v10, 2, v2
	v_add_nc_u32_e32 v15, 1, v10
	v_lshl_add_u32 v13, v13, 2, v9
	ds_read_b32 v14, v14
	ds_read_b32 v13, v13
	s_waitcnt lgkmcnt(0)
	v_cmp_lt_i32_e64 s7, v13, v14
	v_cndmask_b32_e64 v22, v22, v10, s7
	v_cndmask_b32_e64 v21, v15, v21, s7
	v_cmp_ge_i32_e64 s7, v21, v22
	s_or_b32 s9, s7, s9
	s_andn2_b32 exec_lo, exec_lo, s9
	s_cbranch_execnz .LBB22_24
; %bb.25:
	s_or_b32 exec_lo, exec_lo, s9
.LBB22_26:
	s_or_b32 exec_lo, exec_lo, s8
	v_add_nc_u32_e32 v9, v12, v20
	v_lshl_add_u32 v14, v21, 2, v2
	v_add_nc_u32_e32 v2, v21, v19
                                        ; implicit-def: $vgpr13
	v_sub_nc_u32_e32 v15, v9, v21
	v_cmp_le_i32_e64 s7, v12, v2
	v_lshl_add_u32 v16, v15, 2, v3
	v_cmp_gt_i32_e64 s9, v11, v15
	ds_read_b32 v9, v14
	ds_read_b32 v10, v16
	s_waitcnt lgkmcnt(0)
	v_cmp_lt_i32_e64 s8, v10, v9
	s_or_b32 s7, s7, s8
	s_and_b32 s7, s9, s7
	s_xor_b32 s8, s7, -1
	s_and_saveexec_b32 s9, s8
	s_xor_b32 s8, exec_lo, s9
; %bb.27:
	ds_read_b32 v13, v14 offset:4
                                        ; implicit-def: $vgpr16
; %bb.28:
	s_or_saveexec_b32 s8, s8
	v_mov_b32_e32 v14, v10
	s_xor_b32 exec_lo, exec_lo, s8
	s_cbranch_execz .LBB22_30
; %bb.29:
	ds_read_b32 v14, v16 offset:4
	s_waitcnt lgkmcnt(1)
	v_mov_b32_e32 v13, v9
.LBB22_30:
	s_or_b32 exec_lo, exec_lo, s8
	v_add_nc_u32_e32 v16, 1, v2
	v_add_nc_u32_e32 v18, 1, v15
	s_waitcnt lgkmcnt(0)
	v_cmp_lt_i32_e64 s9, v14, v13
	v_cndmask_b32_e64 v17, v16, v2, s7
	v_cndmask_b32_e64 v2, v15, v18, s7
                                        ; implicit-def: $vgpr15
	v_cmp_ge_i32_e64 s8, v17, v12
	v_cmp_lt_i32_e64 s10, v2, v11
	s_or_b32 s8, s8, s9
	s_and_b32 s8, s10, s8
	s_xor_b32 s9, s8, -1
	s_and_saveexec_b32 s10, s9
	s_xor_b32 s9, exec_lo, s10
; %bb.31:
	v_lshl_add_u32 v15, v17, 2, v3
	ds_read_b32 v15, v15 offset:4
; %bb.32:
	s_or_saveexec_b32 s9, s9
	v_mov_b32_e32 v16, v14
	s_xor_b32 exec_lo, exec_lo, s9
	s_cbranch_execz .LBB22_34
; %bb.33:
	s_waitcnt lgkmcnt(0)
	v_lshl_add_u32 v15, v2, 2, v3
	ds_read_b32 v16, v15 offset:4
	v_mov_b32_e32 v15, v13
.LBB22_34:
	s_or_b32 exec_lo, exec_lo, s9
	v_add_nc_u32_e32 v18, 1, v17
	v_add_nc_u32_e32 v20, 1, v2
	s_waitcnt lgkmcnt(0)
	v_cmp_lt_i32_e64 s10, v16, v15
	v_cndmask_b32_e64 v19, v18, v17, s8
	v_cndmask_b32_e64 v2, v2, v20, s8
                                        ; implicit-def: $vgpr17
	v_cmp_ge_i32_e64 s9, v19, v12
	v_cmp_lt_i32_e64 s11, v2, v11
	s_or_b32 s9, s9, s10
	s_and_b32 s9, s11, s9
	s_xor_b32 s10, s9, -1
	s_and_saveexec_b32 s11, s10
	s_xor_b32 s10, exec_lo, s11
; %bb.35:
	v_lshl_add_u32 v17, v19, 2, v3
	ds_read_b32 v17, v17 offset:4
; %bb.36:
	s_or_saveexec_b32 s10, s10
	v_mov_b32_e32 v18, v16
	s_xor_b32 exec_lo, exec_lo, s10
	s_cbranch_execz .LBB22_38
; %bb.37:
	s_waitcnt lgkmcnt(0)
	v_lshl_add_u32 v17, v2, 2, v3
	ds_read_b32 v18, v17 offset:4
	v_mov_b32_e32 v17, v15
.LBB22_38:
	s_or_b32 exec_lo, exec_lo, s10
	v_add_nc_u32_e32 v20, 1, v19
	v_add_nc_u32_e32 v22, 1, v2
	s_waitcnt lgkmcnt(0)
	v_cmp_lt_i32_e64 s11, v18, v17
	v_cndmask_b32_e64 v21, v20, v19, s9
	v_cndmask_b32_e64 v2, v2, v22, s9
                                        ; implicit-def: $vgpr19
	v_cmp_ge_i32_e64 s10, v21, v12
	v_cmp_lt_i32_e64 s12, v2, v11
	s_or_b32 s10, s10, s11
	s_and_b32 s10, s12, s10
	s_xor_b32 s11, s10, -1
	s_and_saveexec_b32 s12, s11
	s_xor_b32 s11, exec_lo, s12
; %bb.39:
	v_lshl_add_u32 v19, v21, 2, v3
	ds_read_b32 v19, v19 offset:4
; %bb.40:
	s_or_saveexec_b32 s11, s11
	v_mov_b32_e32 v20, v18
	s_xor_b32 exec_lo, exec_lo, s11
	s_cbranch_execz .LBB22_42
; %bb.41:
	s_waitcnt lgkmcnt(0)
	v_lshl_add_u32 v19, v2, 2, v3
	ds_read_b32 v20, v19 offset:4
	v_mov_b32_e32 v19, v17
.LBB22_42:
	s_or_b32 exec_lo, exec_lo, s11
	v_add_nc_u32_e32 v22, 1, v21
	v_add_nc_u32_e32 v24, 1, v2
	s_waitcnt lgkmcnt(0)
	v_cmp_lt_i32_e64 s12, v20, v19
	v_cndmask_b32_e64 v23, v22, v21, s10
	v_cndmask_b32_e64 v2, v2, v24, s10
                                        ; implicit-def: $vgpr21
	v_cmp_ge_i32_e64 s11, v23, v12
	v_cmp_lt_i32_e64 s13, v2, v11
	s_or_b32 s11, s11, s12
	s_and_b32 s11, s13, s11
	s_xor_b32 s12, s11, -1
	s_and_saveexec_b32 s13, s12
	s_xor_b32 s12, exec_lo, s13
; %bb.43:
	v_lshl_add_u32 v21, v23, 2, v3
	ds_read_b32 v21, v21 offset:4
; %bb.44:
	s_or_saveexec_b32 s12, s12
	v_mov_b32_e32 v22, v20
	s_xor_b32 exec_lo, exec_lo, s12
	s_cbranch_execz .LBB22_46
; %bb.45:
	s_waitcnt lgkmcnt(0)
	v_lshl_add_u32 v21, v2, 2, v3
	ds_read_b32 v22, v21 offset:4
	v_mov_b32_e32 v21, v19
.LBB22_46:
	s_or_b32 exec_lo, exec_lo, s12
	v_add_nc_u32_e32 v24, 1, v23
	v_add_nc_u32_e32 v26, 1, v2
	s_waitcnt lgkmcnt(0)
	v_cmp_lt_i32_e64 s13, v22, v21
	v_cndmask_b32_e64 v25, v24, v23, s11
	v_cndmask_b32_e64 v23, v2, v26, s11
                                        ; implicit-def: $vgpr2
	v_cmp_ge_i32_e64 s12, v25, v12
	v_cmp_lt_i32_e64 s14, v23, v11
	s_or_b32 s12, s12, s13
	s_and_b32 s12, s14, s12
	s_xor_b32 s13, s12, -1
	s_and_saveexec_b32 s14, s13
	s_xor_b32 s13, exec_lo, s14
; %bb.47:
	v_lshl_add_u32 v2, v25, 2, v3
	ds_read_b32 v2, v2 offset:4
; %bb.48:
	s_or_saveexec_b32 s13, s13
	v_mov_b32_e32 v24, v22
	s_xor_b32 exec_lo, exec_lo, s13
	s_cbranch_execz .LBB22_50
; %bb.49:
	s_waitcnt lgkmcnt(0)
	v_lshl_add_u32 v2, v23, 2, v3
	ds_read_b32 v24, v2 offset:4
	v_mov_b32_e32 v2, v21
.LBB22_50:
	s_or_b32 exec_lo, exec_lo, s13
	v_add_nc_u32_e32 v26, 1, v25
	v_add_nc_u32_e32 v28, 1, v23
	s_waitcnt lgkmcnt(0)
	v_cmp_lt_i32_e64 s14, v24, v2
	v_cndmask_b32_e64 v27, v26, v25, s12
	v_cndmask_b32_e64 v26, v23, v28, s12
                                        ; implicit-def: $vgpr25
	v_cmp_ge_i32_e64 s13, v27, v12
	v_cmp_lt_i32_e64 s15, v26, v11
	s_or_b32 s13, s13, s14
	s_and_b32 s13, s15, s13
	s_xor_b32 s14, s13, -1
	s_and_saveexec_b32 s15, s14
	s_xor_b32 s14, exec_lo, s15
; %bb.51:
	v_lshl_add_u32 v23, v27, 2, v3
	ds_read_b32 v25, v23 offset:4
; %bb.52:
	s_or_saveexec_b32 s14, s14
	v_mov_b32_e32 v28, v24
	s_xor_b32 exec_lo, exec_lo, s14
	s_cbranch_execz .LBB22_54
; %bb.53:
	v_lshl_add_u32 v23, v26, 2, v3
	s_waitcnt lgkmcnt(0)
	v_mov_b32_e32 v25, v2
	ds_read_b32 v28, v23 offset:4
.LBB22_54:
	s_or_b32 exec_lo, exec_lo, s14
	v_and_b32_e32 v23, 0x60, v8
	v_cndmask_b32_e64 v24, v2, v24, s13
	v_add_nc_u32_e32 v31, 1, v27
	v_add_nc_u32_e32 v30, 1, v26
	v_cndmask_b32_e64 v15, v15, v16, s9
	v_min_i32_e32 v23, v6, v23
	v_cndmask_b32_e64 v14, v13, v14, s8
	v_cndmask_b32_e64 v13, v31, v27, s13
	;; [unrolled: 1-line block ×4, first 2 shown]
	v_add_nc_u32_e32 v29, 16, v23
	v_and_b32_e32 v9, 24, v8
	s_waitcnt lgkmcnt(0)
	v_cmp_lt_i32_e64 s7, v28, v25
	v_cmp_ge_i32_e64 s8, v13, v12
	v_cndmask_b32_e64 v19, v19, v20, s11
	v_min_i32_e32 v2, v6, v29
	v_min_i32_e32 v9, v6, v9
	v_cndmask_b32_e64 v21, v21, v22, s12
	s_or_b32 s7, s8, s7
	s_mov_b32 s8, exec_lo
	v_add_nc_u32_e32 v16, 16, v2
	; wave barrier
	ds_write2_b32 v4, v18, v14 offset1:1
	ds_write2_b32 v4, v15, v17 offset0:2 offset1:3
	ds_write2_b32 v4, v19, v21 offset0:4 offset1:5
	v_min_i32_e32 v10, v6, v16
	v_cndmask_b32_e64 v16, v26, v30, s13
	v_sub_nc_u32_e32 v12, v10, v2
	v_cmp_lt_i32_e64 s9, v16, v11
	v_sub_nc_u32_e32 v16, v2, v23
	v_sub_nc_u32_e32 v11, v9, v12
	s_and_b32 s7, s9, s7
	s_mov_b32 s9, 0
	v_cndmask_b32_e64 v20, v25, v28, s7
	v_cmp_ge_i32_e64 s7, v9, v12
	v_min_i32_e32 v12, v9, v16
	ds_write2_b32 v4, v24, v20 offset0:6 offset1:7
	v_cndmask_b32_e64 v13, 0, v11, s7
	v_lshl_add_u32 v11, v23, 2, v3
	; wave barrier
	v_cmpx_lt_i32_e64 v13, v12
	s_cbranch_execz .LBB22_58
; %bb.55:
	v_lshlrev_b32_e32 v14, 2, v2
	v_lshlrev_b32_e32 v15, 2, v9
	v_add3_u32 v14, v3, v14, v15
	.p2align	6
.LBB22_56:                              ; =>This Inner Loop Header: Depth=1
	v_sub_nc_u32_e32 v15, v12, v13
	v_lshrrev_b32_e32 v15, 1, v15
	v_add_nc_u32_e32 v15, v15, v13
	v_not_b32_e32 v16, v15
	v_lshl_add_u32 v17, v15, 2, v11
	v_add_nc_u32_e32 v18, 1, v15
	v_lshl_add_u32 v16, v16, 2, v14
	ds_read_b32 v17, v17
	ds_read_b32 v16, v16
	s_waitcnt lgkmcnt(0)
	v_cmp_lt_i32_e64 s7, v16, v17
	v_cndmask_b32_e64 v12, v12, v15, s7
	v_cndmask_b32_e64 v13, v18, v13, s7
	v_cmp_ge_i32_e64 s7, v13, v12
	s_or_b32 s9, s7, s9
	s_andn2_b32 exec_lo, exec_lo, s9
	s_cbranch_execnz .LBB22_56
; %bb.57:
	s_or_b32 exec_lo, exec_lo, s9
.LBB22_58:
	s_or_b32 exec_lo, exec_lo, s8
	v_add_nc_u32_e32 v9, v2, v9
	v_lshl_add_u32 v14, v13, 2, v11
	v_add_nc_u32_e32 v15, v13, v23
	v_sub_nc_u32_e32 v9, v9, v13
                                        ; implicit-def: $vgpr13
	v_cmp_le_i32_e64 s7, v2, v15
	v_lshl_add_u32 v16, v9, 2, v3
	v_cmp_gt_i32_e64 s9, v10, v9
	ds_read_b32 v11, v14
	ds_read_b32 v12, v16
	s_waitcnt lgkmcnt(0)
	v_cmp_lt_i32_e64 s8, v12, v11
	s_or_b32 s7, s7, s8
	s_and_b32 s7, s9, s7
	s_xor_b32 s8, s7, -1
	s_and_saveexec_b32 s9, s8
	s_xor_b32 s8, exec_lo, s9
; %bb.59:
	ds_read_b32 v13, v14 offset:4
                                        ; implicit-def: $vgpr16
; %bb.60:
	s_or_saveexec_b32 s8, s8
	v_mov_b32_e32 v14, v12
	s_xor_b32 exec_lo, exec_lo, s8
	s_cbranch_execz .LBB22_62
; %bb.61:
	ds_read_b32 v14, v16 offset:4
	s_waitcnt lgkmcnt(1)
	v_mov_b32_e32 v13, v11
.LBB22_62:
	s_or_b32 exec_lo, exec_lo, s8
	v_add_nc_u32_e32 v16, 1, v15
	v_add_nc_u32_e32 v18, 1, v9
	s_waitcnt lgkmcnt(0)
	v_cmp_lt_i32_e64 s9, v14, v13
	v_cndmask_b32_e64 v17, v16, v15, s7
	v_cndmask_b32_e64 v9, v9, v18, s7
                                        ; implicit-def: $vgpr15
	v_cmp_ge_i32_e64 s8, v17, v2
	v_cmp_lt_i32_e64 s10, v9, v10
	s_or_b32 s8, s8, s9
	s_and_b32 s8, s10, s8
	s_xor_b32 s9, s8, -1
	s_and_saveexec_b32 s10, s9
	s_xor_b32 s9, exec_lo, s10
; %bb.63:
	v_lshl_add_u32 v15, v17, 2, v3
	ds_read_b32 v15, v15 offset:4
; %bb.64:
	s_or_saveexec_b32 s9, s9
	v_mov_b32_e32 v16, v14
	s_xor_b32 exec_lo, exec_lo, s9
	s_cbranch_execz .LBB22_66
; %bb.65:
	s_waitcnt lgkmcnt(0)
	v_lshl_add_u32 v15, v9, 2, v3
	ds_read_b32 v16, v15 offset:4
	v_mov_b32_e32 v15, v13
.LBB22_66:
	s_or_b32 exec_lo, exec_lo, s9
	v_add_nc_u32_e32 v18, 1, v17
	v_add_nc_u32_e32 v20, 1, v9
	s_waitcnt lgkmcnt(0)
	v_cmp_lt_i32_e64 s10, v16, v15
	v_cndmask_b32_e64 v19, v18, v17, s8
	v_cndmask_b32_e64 v9, v9, v20, s8
                                        ; implicit-def: $vgpr17
	v_cmp_ge_i32_e64 s9, v19, v2
	v_cmp_lt_i32_e64 s11, v9, v10
	s_or_b32 s9, s9, s10
	s_and_b32 s9, s11, s9
	s_xor_b32 s10, s9, -1
	s_and_saveexec_b32 s11, s10
	s_xor_b32 s10, exec_lo, s11
; %bb.67:
	v_lshl_add_u32 v17, v19, 2, v3
	ds_read_b32 v17, v17 offset:4
; %bb.68:
	s_or_saveexec_b32 s10, s10
	v_mov_b32_e32 v18, v16
	s_xor_b32 exec_lo, exec_lo, s10
	s_cbranch_execz .LBB22_70
; %bb.69:
	s_waitcnt lgkmcnt(0)
	v_lshl_add_u32 v17, v9, 2, v3
	ds_read_b32 v18, v17 offset:4
	v_mov_b32_e32 v17, v15
.LBB22_70:
	s_or_b32 exec_lo, exec_lo, s10
	v_add_nc_u32_e32 v20, 1, v19
	v_add_nc_u32_e32 v22, 1, v9
	s_waitcnt lgkmcnt(0)
	v_cmp_lt_i32_e64 s11, v18, v17
	v_cndmask_b32_e64 v21, v20, v19, s9
	v_cndmask_b32_e64 v9, v9, v22, s9
                                        ; implicit-def: $vgpr19
	v_cmp_ge_i32_e64 s10, v21, v2
	v_cmp_lt_i32_e64 s12, v9, v10
	s_or_b32 s10, s10, s11
	s_and_b32 s10, s12, s10
	s_xor_b32 s11, s10, -1
	s_and_saveexec_b32 s12, s11
	s_xor_b32 s11, exec_lo, s12
; %bb.71:
	v_lshl_add_u32 v19, v21, 2, v3
	ds_read_b32 v19, v19 offset:4
; %bb.72:
	s_or_saveexec_b32 s11, s11
	v_mov_b32_e32 v20, v18
	s_xor_b32 exec_lo, exec_lo, s11
	s_cbranch_execz .LBB22_74
; %bb.73:
	s_waitcnt lgkmcnt(0)
	v_lshl_add_u32 v19, v9, 2, v3
	ds_read_b32 v20, v19 offset:4
	v_mov_b32_e32 v19, v17
.LBB22_74:
	s_or_b32 exec_lo, exec_lo, s11
	v_add_nc_u32_e32 v22, 1, v21
	v_add_nc_u32_e32 v24, 1, v9
	s_waitcnt lgkmcnt(0)
	v_cmp_lt_i32_e64 s12, v20, v19
	v_cndmask_b32_e64 v23, v22, v21, s10
	v_cndmask_b32_e64 v9, v9, v24, s10
                                        ; implicit-def: $vgpr21
	v_cmp_ge_i32_e64 s11, v23, v2
	v_cmp_lt_i32_e64 s13, v9, v10
	s_or_b32 s11, s11, s12
	s_and_b32 s11, s13, s11
	s_xor_b32 s12, s11, -1
	s_and_saveexec_b32 s13, s12
	s_xor_b32 s12, exec_lo, s13
; %bb.75:
	v_lshl_add_u32 v21, v23, 2, v3
	ds_read_b32 v21, v21 offset:4
; %bb.76:
	s_or_saveexec_b32 s12, s12
	v_mov_b32_e32 v22, v20
	s_xor_b32 exec_lo, exec_lo, s12
	s_cbranch_execz .LBB22_78
; %bb.77:
	s_waitcnt lgkmcnt(0)
	v_lshl_add_u32 v21, v9, 2, v3
	ds_read_b32 v22, v21 offset:4
	v_mov_b32_e32 v21, v19
.LBB22_78:
	s_or_b32 exec_lo, exec_lo, s12
	v_add_nc_u32_e32 v24, 1, v23
	v_add_nc_u32_e32 v26, 1, v9
	s_waitcnt lgkmcnt(0)
	v_cmp_lt_i32_e64 s13, v22, v21
	v_cndmask_b32_e64 v25, v24, v23, s11
	v_cndmask_b32_e64 v23, v9, v26, s11
                                        ; implicit-def: $vgpr9
	v_cmp_ge_i32_e64 s12, v25, v2
	v_cmp_lt_i32_e64 s14, v23, v10
	s_or_b32 s12, s12, s13
	s_and_b32 s12, s14, s12
	s_xor_b32 s13, s12, -1
	s_and_saveexec_b32 s14, s13
	s_xor_b32 s13, exec_lo, s14
; %bb.79:
	v_lshl_add_u32 v9, v25, 2, v3
	ds_read_b32 v9, v9 offset:4
; %bb.80:
	s_or_saveexec_b32 s13, s13
	v_mov_b32_e32 v24, v22
	s_xor_b32 exec_lo, exec_lo, s13
	s_cbranch_execz .LBB22_82
; %bb.81:
	s_waitcnt lgkmcnt(0)
	v_lshl_add_u32 v9, v23, 2, v3
	ds_read_b32 v24, v9 offset:4
	v_mov_b32_e32 v9, v21
.LBB22_82:
	s_or_b32 exec_lo, exec_lo, s13
	v_add_nc_u32_e32 v26, 1, v25
	v_add_nc_u32_e32 v28, 1, v23
	s_waitcnt lgkmcnt(0)
	v_cmp_lt_i32_e64 s14, v24, v9
	v_cndmask_b32_e64 v27, v26, v25, s12
	v_cndmask_b32_e64 v26, v23, v28, s12
                                        ; implicit-def: $vgpr25
	v_cmp_ge_i32_e64 s13, v27, v2
	v_cmp_lt_i32_e64 s15, v26, v10
	s_or_b32 s13, s13, s14
	s_and_b32 s13, s15, s13
	s_xor_b32 s14, s13, -1
	s_and_saveexec_b32 s15, s14
	s_xor_b32 s14, exec_lo, s15
; %bb.83:
	v_lshl_add_u32 v23, v27, 2, v3
	ds_read_b32 v25, v23 offset:4
; %bb.84:
	s_or_saveexec_b32 s14, s14
	v_mov_b32_e32 v28, v24
	s_xor_b32 exec_lo, exec_lo, s14
	s_cbranch_execz .LBB22_86
; %bb.85:
	v_lshl_add_u32 v23, v26, 2, v3
	s_waitcnt lgkmcnt(0)
	v_mov_b32_e32 v25, v9
	ds_read_b32 v28, v23 offset:4
.LBB22_86:
	s_or_b32 exec_lo, exec_lo, s14
	v_and_b32_e32 v23, 64, v8
	v_cndmask_b32_e64 v24, v9, v24, s13
	v_add_nc_u32_e32 v31, 1, v27
	v_add_nc_u32_e32 v30, 1, v26
	v_cndmask_b32_e64 v15, v15, v16, s9
	v_min_i32_e32 v23, v6, v23
	v_cndmask_b32_e64 v13, v13, v14, s8
	v_cndmask_b32_e64 v14, v11, v12, s7
	;; [unrolled: 1-line block ×3, first 2 shown]
	v_and_b32_e32 v8, 56, v8
	v_add_nc_u32_e32 v29, 32, v23
	s_waitcnt lgkmcnt(0)
	v_cmp_lt_i32_e64 s7, v28, v25
	v_cndmask_b32_e64 v17, v17, v18, s10
	v_cmp_ge_i32_e64 s8, v12, v2
	v_min_i32_e32 v8, v6, v8
	v_min_i32_e32 v9, v6, v29
	v_cndmask_b32_e64 v21, v21, v22, s12
	v_cndmask_b32_e64 v19, v19, v20, s11
	s_or_b32 s7, s8, s7
	s_mov_b32 s8, exec_lo
	v_add_nc_u32_e32 v16, 32, v9
	v_sub_nc_u32_e32 v12, v9, v23
	; wave barrier
	ds_write2_b32 v4, v14, v13 offset1:1
	ds_write2_b32 v4, v15, v17 offset0:2 offset1:3
	ds_write2_b32 v4, v19, v21 offset0:4 offset1:5
	v_min_i32_e32 v11, v6, v16
	v_cndmask_b32_e64 v16, v26, v30, s13
	v_min_i32_e32 v12, v8, v12
	v_sub_nc_u32_e32 v2, v11, v9
	v_cmp_lt_i32_e64 s9, v16, v10
	v_sub_nc_u32_e32 v10, v8, v2
	s_and_b32 s7, s9, s7
	s_mov_b32 s9, 0
	v_cndmask_b32_e64 v16, v25, v28, s7
	v_cmp_ge_i32_e64 s7, v8, v2
	ds_write2_b32 v4, v24, v16 offset0:6 offset1:7
	v_cndmask_b32_e64 v2, 0, v10, s7
	v_lshl_add_u32 v10, v23, 2, v3
	; wave barrier
	v_cmpx_lt_i32_e64 v2, v12
	s_cbranch_execz .LBB22_90
; %bb.87:
	v_lshlrev_b32_e32 v13, 2, v9
	v_lshlrev_b32_e32 v14, 2, v8
	v_add3_u32 v13, v3, v13, v14
	.p2align	6
.LBB22_88:                              ; =>This Inner Loop Header: Depth=1
	v_sub_nc_u32_e32 v14, v12, v2
	v_lshrrev_b32_e32 v14, 1, v14
	v_add_nc_u32_e32 v14, v14, v2
	v_not_b32_e32 v15, v14
	v_lshl_add_u32 v16, v14, 2, v10
	v_add_nc_u32_e32 v17, 1, v14
	v_lshl_add_u32 v15, v15, 2, v13
	ds_read_b32 v16, v16
	ds_read_b32 v15, v15
	s_waitcnt lgkmcnt(0)
	v_cmp_lt_i32_e64 s7, v15, v16
	v_cndmask_b32_e64 v12, v12, v14, s7
	v_cndmask_b32_e64 v2, v17, v2, s7
	v_cmp_ge_i32_e64 s7, v2, v12
	s_or_b32 s9, s7, s9
	s_andn2_b32 exec_lo, exec_lo, s9
	s_cbranch_execnz .LBB22_88
; %bb.89:
	s_or_b32 exec_lo, exec_lo, s9
.LBB22_90:
	s_or_b32 exec_lo, exec_lo, s8
	v_add_nc_u32_e32 v8, v9, v8
	v_lshl_add_u32 v13, v2, 2, v10
                                        ; implicit-def: $vgpr12
	v_sub_nc_u32_e32 v14, v8, v2
	v_add_nc_u32_e32 v2, v2, v23
	v_lshl_add_u32 v15, v14, 2, v3
	v_cmp_le_i32_e64 s7, v9, v2
	v_cmp_gt_i32_e64 s9, v11, v14
	ds_read_b32 v8, v13
	ds_read_b32 v10, v15
	s_waitcnt lgkmcnt(0)
	v_cmp_lt_i32_e64 s8, v10, v8
	s_or_b32 s7, s7, s8
	s_and_b32 s7, s9, s7
	s_xor_b32 s8, s7, -1
	s_and_saveexec_b32 s9, s8
	s_xor_b32 s8, exec_lo, s9
; %bb.91:
	ds_read_b32 v12, v13 offset:4
                                        ; implicit-def: $vgpr15
; %bb.92:
	s_or_saveexec_b32 s8, s8
	v_mov_b32_e32 v13, v10
	s_xor_b32 exec_lo, exec_lo, s8
	s_cbranch_execz .LBB22_94
; %bb.93:
	ds_read_b32 v13, v15 offset:4
	s_waitcnt lgkmcnt(1)
	v_mov_b32_e32 v12, v8
.LBB22_94:
	s_or_b32 exec_lo, exec_lo, s8
	v_add_nc_u32_e32 v15, 1, v2
	v_add_nc_u32_e32 v17, 1, v14
	s_waitcnt lgkmcnt(0)
	v_cmp_lt_i32_e64 s9, v13, v12
	v_cndmask_b32_e64 v16, v15, v2, s7
	v_cndmask_b32_e64 v2, v14, v17, s7
                                        ; implicit-def: $vgpr14
	v_cmp_ge_i32_e64 s8, v16, v9
	v_cmp_lt_i32_e64 s10, v2, v11
	s_or_b32 s8, s8, s9
	s_and_b32 s8, s10, s8
	s_xor_b32 s9, s8, -1
	s_and_saveexec_b32 s10, s9
	s_xor_b32 s9, exec_lo, s10
; %bb.95:
	v_lshl_add_u32 v14, v16, 2, v3
	ds_read_b32 v14, v14 offset:4
; %bb.96:
	s_or_saveexec_b32 s9, s9
	v_mov_b32_e32 v15, v13
	s_xor_b32 exec_lo, exec_lo, s9
	s_cbranch_execz .LBB22_98
; %bb.97:
	s_waitcnt lgkmcnt(0)
	v_lshl_add_u32 v14, v2, 2, v3
	ds_read_b32 v15, v14 offset:4
	v_mov_b32_e32 v14, v12
.LBB22_98:
	s_or_b32 exec_lo, exec_lo, s9
	v_add_nc_u32_e32 v17, 1, v16
	v_add_nc_u32_e32 v19, 1, v2
	s_waitcnt lgkmcnt(0)
	v_cmp_lt_i32_e64 s10, v15, v14
	v_cndmask_b32_e64 v18, v17, v16, s8
	v_cndmask_b32_e64 v2, v2, v19, s8
                                        ; implicit-def: $vgpr16
	v_cmp_ge_i32_e64 s9, v18, v9
	v_cmp_lt_i32_e64 s11, v2, v11
	s_or_b32 s9, s9, s10
	s_and_b32 s9, s11, s9
	s_xor_b32 s10, s9, -1
	s_and_saveexec_b32 s11, s10
	s_xor_b32 s10, exec_lo, s11
; %bb.99:
	v_lshl_add_u32 v16, v18, 2, v3
	ds_read_b32 v16, v16 offset:4
; %bb.100:
	s_or_saveexec_b32 s10, s10
	v_mov_b32_e32 v17, v15
	s_xor_b32 exec_lo, exec_lo, s10
	s_cbranch_execz .LBB22_102
; %bb.101:
	s_waitcnt lgkmcnt(0)
	v_lshl_add_u32 v16, v2, 2, v3
	ds_read_b32 v17, v16 offset:4
	v_mov_b32_e32 v16, v14
.LBB22_102:
	s_or_b32 exec_lo, exec_lo, s10
	v_add_nc_u32_e32 v19, 1, v18
	v_add_nc_u32_e32 v21, 1, v2
	s_waitcnt lgkmcnt(0)
	v_cmp_lt_i32_e64 s11, v17, v16
	v_cndmask_b32_e64 v20, v19, v18, s9
	v_cndmask_b32_e64 v2, v2, v21, s9
                                        ; implicit-def: $vgpr18
	v_cmp_ge_i32_e64 s10, v20, v9
	v_cmp_lt_i32_e64 s12, v2, v11
	s_or_b32 s10, s10, s11
	s_and_b32 s10, s12, s10
	s_xor_b32 s11, s10, -1
	s_and_saveexec_b32 s12, s11
	s_xor_b32 s11, exec_lo, s12
; %bb.103:
	v_lshl_add_u32 v18, v20, 2, v3
	ds_read_b32 v18, v18 offset:4
; %bb.104:
	s_or_saveexec_b32 s11, s11
	v_mov_b32_e32 v19, v17
	s_xor_b32 exec_lo, exec_lo, s11
	s_cbranch_execz .LBB22_106
; %bb.105:
	s_waitcnt lgkmcnt(0)
	v_lshl_add_u32 v18, v2, 2, v3
	ds_read_b32 v19, v18 offset:4
	v_mov_b32_e32 v18, v16
.LBB22_106:
	s_or_b32 exec_lo, exec_lo, s11
	v_add_nc_u32_e32 v21, 1, v20
	v_add_nc_u32_e32 v23, 1, v2
	s_waitcnt lgkmcnt(0)
	v_cmp_lt_i32_e64 s12, v19, v18
	v_cndmask_b32_e64 v22, v21, v20, s10
	v_cndmask_b32_e64 v2, v2, v23, s10
                                        ; implicit-def: $vgpr20
	v_cmp_ge_i32_e64 s11, v22, v9
	v_cmp_lt_i32_e64 s13, v2, v11
	s_or_b32 s11, s11, s12
	s_and_b32 s11, s13, s11
	s_xor_b32 s12, s11, -1
	s_and_saveexec_b32 s13, s12
	s_xor_b32 s12, exec_lo, s13
; %bb.107:
	v_lshl_add_u32 v20, v22, 2, v3
	ds_read_b32 v20, v20 offset:4
; %bb.108:
	s_or_saveexec_b32 s12, s12
	v_mov_b32_e32 v21, v19
	s_xor_b32 exec_lo, exec_lo, s12
	s_cbranch_execz .LBB22_110
; %bb.109:
	s_waitcnt lgkmcnt(0)
	v_lshl_add_u32 v20, v2, 2, v3
	ds_read_b32 v21, v20 offset:4
	v_mov_b32_e32 v20, v18
.LBB22_110:
	s_or_b32 exec_lo, exec_lo, s12
	v_add_nc_u32_e32 v23, 1, v22
	v_add_nc_u32_e32 v25, 1, v2
	s_waitcnt lgkmcnt(0)
	v_cmp_lt_i32_e64 s13, v21, v20
	v_cndmask_b32_e64 v24, v23, v22, s11
	v_cndmask_b32_e64 v22, v2, v25, s11
                                        ; implicit-def: $vgpr2
	v_cmp_ge_i32_e64 s12, v24, v9
	v_cmp_lt_i32_e64 s14, v22, v11
	s_or_b32 s12, s12, s13
	s_and_b32 s12, s14, s12
	s_xor_b32 s13, s12, -1
	s_and_saveexec_b32 s14, s13
	s_xor_b32 s13, exec_lo, s14
; %bb.111:
	v_lshl_add_u32 v2, v24, 2, v3
	ds_read_b32 v2, v2 offset:4
; %bb.112:
	s_or_saveexec_b32 s13, s13
	v_mov_b32_e32 v23, v21
	s_xor_b32 exec_lo, exec_lo, s13
	s_cbranch_execz .LBB22_114
; %bb.113:
	s_waitcnt lgkmcnt(0)
	v_lshl_add_u32 v2, v22, 2, v3
	ds_read_b32 v23, v2 offset:4
	v_mov_b32_e32 v2, v20
.LBB22_114:
	s_or_b32 exec_lo, exec_lo, s13
	v_add_nc_u32_e32 v25, 1, v24
	v_add_nc_u32_e32 v27, 1, v22
	s_waitcnt lgkmcnt(0)
	v_cmp_lt_i32_e64 s14, v23, v2
	v_cndmask_b32_e64 v26, v25, v24, s12
	v_cndmask_b32_e64 v25, v22, v27, s12
                                        ; implicit-def: $vgpr24
	v_cmp_ge_i32_e64 s13, v26, v9
	v_cmp_lt_i32_e64 s15, v25, v11
	s_or_b32 s13, s13, s14
	s_and_b32 s13, s15, s13
	s_xor_b32 s14, s13, -1
	s_and_saveexec_b32 s15, s14
	s_xor_b32 s14, exec_lo, s15
; %bb.115:
	v_lshl_add_u32 v22, v26, 2, v3
	ds_read_b32 v24, v22 offset:4
; %bb.116:
	s_or_saveexec_b32 s14, s14
	v_mov_b32_e32 v27, v23
	s_xor_b32 exec_lo, exec_lo, s14
	s_cbranch_execz .LBB22_118
; %bb.117:
	v_lshl_add_u32 v22, v25, 2, v3
	s_waitcnt lgkmcnt(0)
	v_mov_b32_e32 v24, v2
	ds_read_b32 v27, v22 offset:4
.LBB22_118:
	s_or_b32 exec_lo, exec_lo, s14
	v_min_i32_e32 v22, 0, v6
	v_cndmask_b32_e64 v23, v2, v23, s13
	v_add_nc_u32_e32 v29, 1, v25
	v_cndmask_b32_e64 v16, v16, v17, s10
	v_cndmask_b32_e64 v12, v12, v13, s8
	v_add_nc_u32_e32 v28, 64, v22
	v_cndmask_b32_e64 v13, v8, v10, s7
	v_cndmask_b32_e64 v14, v14, v15, s9
	;; [unrolled: 1-line block ×3, first 2 shown]
	s_waitcnt lgkmcnt(0)
	v_cmp_lt_i32_e64 s7, v27, v24
	v_min_i32_e32 v2, v6, v28
	v_add_nc_u32_e32 v28, 1, v26
	v_cndmask_b32_e64 v20, v20, v21, s12
	v_cmp_lt_i32_e64 s9, v15, v11
	v_cndmask_b32_e64 v18, v18, v19, s11
	v_add_nc_u32_e32 v17, 64, v2
	v_cndmask_b32_e64 v10, v28, v26, s13
	; wave barrier
	ds_write2_b32 v4, v13, v12 offset1:1
	ds_write2_b32 v4, v14, v16 offset0:2 offset1:3
	ds_write2_b32 v4, v18, v20 offset0:4 offset1:5
	v_min_i32_e32 v8, v6, v17
	v_cmp_ge_i32_e64 s8, v10, v9
	v_min_i32_e32 v6, v6, v7
	v_sub_nc_u32_e32 v10, v2, v22
	v_sub_nc_u32_e32 v7, v8, v2
	s_or_b32 s7, s8, s7
	s_mov_b32 s8, exec_lo
	s_and_b32 s7, s9, s7
	v_min_i32_e32 v10, v6, v10
	v_sub_nc_u32_e32 v9, v6, v7
	v_cndmask_b32_e64 v11, v24, v27, s7
	v_cmp_ge_i32_e64 s7, v6, v7
	s_mov_b32 s9, 0
	ds_write2_b32 v4, v23, v11 offset0:6 offset1:7
	v_cndmask_b32_e64 v7, 0, v9, s7
	v_lshl_add_u32 v9, v22, 2, v3
	; wave barrier
	v_cmpx_lt_i32_e64 v7, v10
	s_cbranch_execz .LBB22_122
; %bb.119:
	v_lshlrev_b32_e32 v4, 2, v2
	v_lshlrev_b32_e32 v11, 2, v6
	v_add3_u32 v4, v3, v4, v11
	.p2align	6
.LBB22_120:                             ; =>This Inner Loop Header: Depth=1
	v_sub_nc_u32_e32 v11, v10, v7
	v_lshrrev_b32_e32 v11, 1, v11
	v_add_nc_u32_e32 v11, v11, v7
	v_not_b32_e32 v12, v11
	v_lshl_add_u32 v13, v11, 2, v9
	v_add_nc_u32_e32 v14, 1, v11
	v_lshl_add_u32 v12, v12, 2, v4
	ds_read_b32 v13, v13
	ds_read_b32 v12, v12
	s_waitcnt lgkmcnt(0)
	v_cmp_lt_i32_e64 s7, v12, v13
	v_cndmask_b32_e64 v10, v10, v11, s7
	v_cndmask_b32_e64 v7, v14, v7, s7
	v_cmp_ge_i32_e64 s7, v7, v10
	s_or_b32 s9, s7, s9
	s_andn2_b32 exec_lo, exec_lo, s9
	s_cbranch_execnz .LBB22_120
; %bb.121:
	s_or_b32 exec_lo, exec_lo, s9
.LBB22_122:
	s_or_b32 exec_lo, exec_lo, s8
	v_add_nc_u32_e32 v4, v2, v6
	v_lshl_add_u32 v9, v7, 2, v9
	v_add_nc_u32_e32 v11, v7, v22
	v_sub_nc_u32_e32 v10, v4, v7
                                        ; implicit-def: $vgpr7
	v_cmp_le_i32_e64 s7, v2, v11
	v_lshl_add_u32 v12, v10, 2, v3
	v_cmp_gt_i32_e64 s9, v8, v10
	ds_read_b32 v4, v9
	ds_read_b32 v6, v12
	s_waitcnt lgkmcnt(0)
	v_cmp_lt_i32_e64 s8, v6, v4
	s_or_b32 s7, s7, s8
	s_and_b32 s7, s9, s7
	s_xor_b32 s8, s7, -1
	s_and_saveexec_b32 s9, s8
	s_xor_b32 s8, exec_lo, s9
; %bb.123:
	ds_read_b32 v7, v9 offset:4
                                        ; implicit-def: $vgpr12
; %bb.124:
	s_or_saveexec_b32 s8, s8
	v_mov_b32_e32 v9, v6
	s_xor_b32 exec_lo, exec_lo, s8
	s_cbranch_execz .LBB22_126
; %bb.125:
	ds_read_b32 v9, v12 offset:4
	s_waitcnt lgkmcnt(1)
	v_mov_b32_e32 v7, v4
.LBB22_126:
	s_or_b32 exec_lo, exec_lo, s8
	v_add_nc_u32_e32 v12, 1, v11
	v_add_nc_u32_e32 v14, 1, v10
	s_waitcnt lgkmcnt(0)
	v_cmp_lt_i32_e64 s9, v9, v7
	v_cndmask_b32_e64 v13, v12, v11, s7
	v_cndmask_b32_e64 v12, v10, v14, s7
                                        ; implicit-def: $vgpr10
	v_cmp_ge_i32_e64 s8, v13, v2
	v_cmp_lt_i32_e64 s10, v12, v8
	s_or_b32 s8, s8, s9
	s_and_b32 s8, s10, s8
	s_xor_b32 s9, s8, -1
	s_and_saveexec_b32 s10, s9
	s_xor_b32 s9, exec_lo, s10
; %bb.127:
	v_lshl_add_u32 v10, v13, 2, v3
	ds_read_b32 v10, v10 offset:4
; %bb.128:
	s_or_saveexec_b32 s9, s9
	v_mov_b32_e32 v11, v9
	s_xor_b32 exec_lo, exec_lo, s9
	s_cbranch_execz .LBB22_130
; %bb.129:
	s_waitcnt lgkmcnt(0)
	v_lshl_add_u32 v10, v12, 2, v3
	ds_read_b32 v11, v10 offset:4
	v_mov_b32_e32 v10, v7
.LBB22_130:
	s_or_b32 exec_lo, exec_lo, s9
	v_add_nc_u32_e32 v14, 1, v13
	v_add_nc_u32_e32 v16, 1, v12
	s_waitcnt lgkmcnt(0)
	v_cmp_lt_i32_e64 s10, v11, v10
	v_cndmask_b32_e64 v15, v14, v13, s8
	v_cndmask_b32_e64 v14, v12, v16, s8
                                        ; implicit-def: $vgpr12
	v_cmp_ge_i32_e64 s9, v15, v2
	v_cmp_lt_i32_e64 s11, v14, v8
	s_or_b32 s9, s9, s10
	s_and_b32 s9, s11, s9
	s_xor_b32 s10, s9, -1
	s_and_saveexec_b32 s11, s10
	s_xor_b32 s10, exec_lo, s11
; %bb.131:
	v_lshl_add_u32 v12, v15, 2, v3
	ds_read_b32 v12, v12 offset:4
; %bb.132:
	s_or_saveexec_b32 s10, s10
	v_mov_b32_e32 v13, v11
	s_xor_b32 exec_lo, exec_lo, s10
	s_cbranch_execz .LBB22_134
; %bb.133:
	s_waitcnt lgkmcnt(0)
	v_lshl_add_u32 v12, v14, 2, v3
	ds_read_b32 v13, v12 offset:4
	v_mov_b32_e32 v12, v10
.LBB22_134:
	s_or_b32 exec_lo, exec_lo, s10
	v_add_nc_u32_e32 v16, 1, v15
	v_add_nc_u32_e32 v18, 1, v14
	s_waitcnt lgkmcnt(0)
	v_cmp_lt_i32_e64 s11, v13, v12
	v_cndmask_b32_e64 v17, v16, v15, s9
	v_cndmask_b32_e64 v16, v14, v18, s9
                                        ; implicit-def: $vgpr14
	v_cmp_ge_i32_e64 s10, v17, v2
	v_cmp_lt_i32_e64 s12, v16, v8
	s_or_b32 s10, s10, s11
	s_and_b32 s10, s12, s10
	s_xor_b32 s11, s10, -1
	s_and_saveexec_b32 s12, s11
	s_xor_b32 s11, exec_lo, s12
; %bb.135:
	v_lshl_add_u32 v14, v17, 2, v3
	ds_read_b32 v14, v14 offset:4
; %bb.136:
	s_or_saveexec_b32 s11, s11
	v_mov_b32_e32 v15, v13
	s_xor_b32 exec_lo, exec_lo, s11
	s_cbranch_execz .LBB22_138
; %bb.137:
	s_waitcnt lgkmcnt(0)
	v_lshl_add_u32 v14, v16, 2, v3
	ds_read_b32 v15, v14 offset:4
	v_mov_b32_e32 v14, v12
.LBB22_138:
	s_or_b32 exec_lo, exec_lo, s11
	v_add_nc_u32_e32 v18, 1, v17
	v_add_nc_u32_e32 v20, 1, v16
	s_waitcnt lgkmcnt(0)
	v_cmp_lt_i32_e64 s12, v15, v14
	v_cndmask_b32_e64 v19, v18, v17, s10
	v_cndmask_b32_e64 v18, v16, v20, s10
                                        ; implicit-def: $vgpr16
	v_cmp_ge_i32_e64 s11, v19, v2
	v_cmp_lt_i32_e64 s13, v18, v8
	s_or_b32 s11, s11, s12
	s_and_b32 s11, s13, s11
	s_xor_b32 s12, s11, -1
	s_and_saveexec_b32 s13, s12
	s_xor_b32 s12, exec_lo, s13
; %bb.139:
	v_lshl_add_u32 v16, v19, 2, v3
	ds_read_b32 v16, v16 offset:4
; %bb.140:
	s_or_saveexec_b32 s12, s12
	v_mov_b32_e32 v17, v15
	s_xor_b32 exec_lo, exec_lo, s12
	s_cbranch_execz .LBB22_142
; %bb.141:
	s_waitcnt lgkmcnt(0)
	v_lshl_add_u32 v16, v18, 2, v3
	ds_read_b32 v17, v16 offset:4
	v_mov_b32_e32 v16, v14
.LBB22_142:
	s_or_b32 exec_lo, exec_lo, s12
	v_add_nc_u32_e32 v20, 1, v19
	v_add_nc_u32_e32 v22, 1, v18
	s_waitcnt lgkmcnt(0)
	v_cmp_lt_i32_e64 s13, v17, v16
	v_cndmask_b32_e64 v21, v20, v19, s11
	v_cndmask_b32_e64 v20, v18, v22, s11
                                        ; implicit-def: $vgpr18
	v_cmp_ge_i32_e64 s12, v21, v2
	v_cmp_lt_i32_e64 s14, v20, v8
	s_or_b32 s12, s12, s13
	s_and_b32 s12, s14, s12
	s_xor_b32 s13, s12, -1
	s_and_saveexec_b32 s14, s13
	s_xor_b32 s13, exec_lo, s14
; %bb.143:
	v_lshl_add_u32 v18, v21, 2, v3
	ds_read_b32 v18, v18 offset:4
; %bb.144:
	s_or_saveexec_b32 s13, s13
	v_mov_b32_e32 v19, v17
	s_xor_b32 exec_lo, exec_lo, s13
	s_cbranch_execz .LBB22_146
; %bb.145:
	s_waitcnt lgkmcnt(0)
	v_lshl_add_u32 v18, v20, 2, v3
	ds_read_b32 v19, v18 offset:4
	v_mov_b32_e32 v18, v16
.LBB22_146:
	s_or_b32 exec_lo, exec_lo, s13
	v_add_nc_u32_e32 v22, 1, v21
	v_add_nc_u32_e32 v23, 1, v20
	s_waitcnt lgkmcnt(0)
	v_cmp_lt_i32_e64 s14, v19, v18
	v_cndmask_b32_e64 v24, v22, v21, s12
	v_cndmask_b32_e64 v20, v20, v23, s12
                                        ; implicit-def: $vgpr21
                                        ; implicit-def: $vgpr22
	v_cmp_ge_i32_e64 s13, v24, v2
	v_cmp_lt_i32_e64 s15, v20, v8
	s_or_b32 s13, s13, s14
	s_and_b32 s13, s15, s13
	s_xor_b32 s14, s13, -1
	s_and_saveexec_b32 s15, s14
	s_xor_b32 s14, exec_lo, s15
; %bb.147:
	v_lshl_add_u32 v3, v24, 2, v3
	v_add_nc_u32_e32 v22, 1, v24
                                        ; implicit-def: $vgpr24
	ds_read_b32 v21, v3 offset:4
                                        ; implicit-def: $vgpr3
; %bb.148:
	s_or_saveexec_b32 s14, s14
	v_mov_b32_e32 v23, v19
	s_xor_b32 exec_lo, exec_lo, s14
	s_cbranch_execz .LBB22_150
; %bb.149:
	v_lshl_add_u32 v3, v20, 2, v3
	v_add_nc_u32_e32 v20, 1, v20
	v_mov_b32_e32 v22, v24
	s_waitcnt lgkmcnt(0)
	v_mov_b32_e32 v21, v18
	ds_read_b32 v23, v3 offset:4
.LBB22_150:
	s_or_b32 exec_lo, exec_lo, s14
	v_add_co_u32 v0, s14, s18, v0
	v_add_co_ci_u32_e64 v1, null, s19, v1, s14
	v_add_co_u32 v0, s14, v0, v5
	v_add_co_ci_u32_e64 v1, null, 0, v1, s14
	s_and_saveexec_b32 s14, vcc_lo
	s_cbranch_execnz .LBB22_159
; %bb.151:
	s_or_b32 exec_lo, exec_lo, s14
	s_and_saveexec_b32 s7, s0
	s_cbranch_execnz .LBB22_160
.LBB22_152:
	s_or_b32 exec_lo, exec_lo, s7
	s_and_saveexec_b32 s0, s1
	s_cbranch_execnz .LBB22_161
.LBB22_153:
	s_or_b32 exec_lo, exec_lo, s0
	s_and_saveexec_b32 s0, s2
	s_cbranch_execnz .LBB22_162
.LBB22_154:
	s_or_b32 exec_lo, exec_lo, s0
	s_and_saveexec_b32 s0, s3
	s_cbranch_execnz .LBB22_163
.LBB22_155:
	s_or_b32 exec_lo, exec_lo, s0
	s_and_saveexec_b32 s0, s4
	s_cbranch_execnz .LBB22_164
.LBB22_156:
	s_or_b32 exec_lo, exec_lo, s0
	s_and_saveexec_b32 s0, s5
	s_cbranch_execnz .LBB22_165
.LBB22_157:
	s_or_b32 exec_lo, exec_lo, s0
	s_and_saveexec_b32 s0, s6
	s_cbranch_execnz .LBB22_166
.LBB22_158:
	s_endpgm
.LBB22_159:
	v_cndmask_b32_e64 v3, v4, v6, s7
	global_store_dword v[0:1], v3, off
	s_or_b32 exec_lo, exec_lo, s14
	s_and_saveexec_b32 s7, s0
	s_cbranch_execz .LBB22_152
.LBB22_160:
	v_cndmask_b32_e64 v3, v7, v9, s8
	global_store_dword v[0:1], v3, off offset:4
	s_or_b32 exec_lo, exec_lo, s7
	s_and_saveexec_b32 s0, s1
	s_cbranch_execz .LBB22_153
.LBB22_161:
	v_cndmask_b32_e64 v3, v10, v11, s9
	global_store_dword v[0:1], v3, off offset:8
	s_or_b32 exec_lo, exec_lo, s0
	s_and_saveexec_b32 s0, s2
	s_cbranch_execz .LBB22_154
.LBB22_162:
	v_cndmask_b32_e64 v3, v12, v13, s10
	global_store_dword v[0:1], v3, off offset:12
	s_or_b32 exec_lo, exec_lo, s0
	s_and_saveexec_b32 s0, s3
	s_cbranch_execz .LBB22_155
.LBB22_163:
	v_cndmask_b32_e64 v3, v14, v15, s11
	global_store_dword v[0:1], v3, off offset:16
	s_or_b32 exec_lo, exec_lo, s0
	s_and_saveexec_b32 s0, s4
	s_cbranch_execz .LBB22_156
.LBB22_164:
	v_cndmask_b32_e64 v3, v16, v17, s12
	global_store_dword v[0:1], v3, off offset:20
	s_or_b32 exec_lo, exec_lo, s0
	s_and_saveexec_b32 s0, s5
	s_cbranch_execz .LBB22_157
.LBB22_165:
	v_cndmask_b32_e64 v3, v18, v19, s13
	global_store_dword v[0:1], v3, off offset:24
	s_or_b32 exec_lo, exec_lo, s0
	s_and_saveexec_b32 s0, s6
	s_cbranch_execz .LBB22_158
.LBB22_166:
	v_cmp_ge_i32_e32 vcc_lo, v22, v2
	s_waitcnt lgkmcnt(0)
	v_cmp_lt_i32_e64 s0, v23, v21
	v_cmp_lt_i32_e64 s1, v20, v8
	s_or_b32 s0, vcc_lo, s0
	s_and_b32 vcc_lo, s1, s0
	v_cndmask_b32_e32 v2, v21, v23, vcc_lo
	global_store_dword v[0:1], v2, off offset:28
	s_endpgm
	.section	.rodata,"a",@progbits
	.p2align	6, 0x0
	.amdhsa_kernel _Z19sort_keys_segmentedILj256ELj16ELj8EiN10test_utils4lessEEvPKT2_PS2_PKjT3_
		.amdhsa_group_segment_fixed_size 8256
		.amdhsa_private_segment_fixed_size 0
		.amdhsa_kernarg_size 28
		.amdhsa_user_sgpr_count 6
		.amdhsa_user_sgpr_private_segment_buffer 1
		.amdhsa_user_sgpr_dispatch_ptr 0
		.amdhsa_user_sgpr_queue_ptr 0
		.amdhsa_user_sgpr_kernarg_segment_ptr 1
		.amdhsa_user_sgpr_dispatch_id 0
		.amdhsa_user_sgpr_flat_scratch_init 0
		.amdhsa_user_sgpr_private_segment_size 0
		.amdhsa_wavefront_size32 1
		.amdhsa_uses_dynamic_stack 0
		.amdhsa_system_sgpr_private_segment_wavefront_offset 0
		.amdhsa_system_sgpr_workgroup_id_x 1
		.amdhsa_system_sgpr_workgroup_id_y 0
		.amdhsa_system_sgpr_workgroup_id_z 0
		.amdhsa_system_sgpr_workgroup_info 0
		.amdhsa_system_vgpr_workitem_id 0
		.amdhsa_next_free_vgpr 32
		.amdhsa_next_free_sgpr 20
		.amdhsa_reserve_vcc 1
		.amdhsa_reserve_flat_scratch 0
		.amdhsa_float_round_mode_32 0
		.amdhsa_float_round_mode_16_64 0
		.amdhsa_float_denorm_mode_32 3
		.amdhsa_float_denorm_mode_16_64 3
		.amdhsa_dx10_clamp 1
		.amdhsa_ieee_mode 1
		.amdhsa_fp16_overflow 0
		.amdhsa_workgroup_processor_mode 1
		.amdhsa_memory_ordered 1
		.amdhsa_forward_progress 1
		.amdhsa_shared_vgpr_count 0
		.amdhsa_exception_fp_ieee_invalid_op 0
		.amdhsa_exception_fp_denorm_src 0
		.amdhsa_exception_fp_ieee_div_zero 0
		.amdhsa_exception_fp_ieee_overflow 0
		.amdhsa_exception_fp_ieee_underflow 0
		.amdhsa_exception_fp_ieee_inexact 0
		.amdhsa_exception_int_div_zero 0
	.end_amdhsa_kernel
	.section	.text._Z19sort_keys_segmentedILj256ELj16ELj8EiN10test_utils4lessEEvPKT2_PS2_PKjT3_,"axG",@progbits,_Z19sort_keys_segmentedILj256ELj16ELj8EiN10test_utils4lessEEvPKT2_PS2_PKjT3_,comdat
.Lfunc_end22:
	.size	_Z19sort_keys_segmentedILj256ELj16ELj8EiN10test_utils4lessEEvPKT2_PS2_PKjT3_, .Lfunc_end22-_Z19sort_keys_segmentedILj256ELj16ELj8EiN10test_utils4lessEEvPKT2_PS2_PKjT3_
                                        ; -- End function
	.set _Z19sort_keys_segmentedILj256ELj16ELj8EiN10test_utils4lessEEvPKT2_PS2_PKjT3_.num_vgpr, 32
	.set _Z19sort_keys_segmentedILj256ELj16ELj8EiN10test_utils4lessEEvPKT2_PS2_PKjT3_.num_agpr, 0
	.set _Z19sort_keys_segmentedILj256ELj16ELj8EiN10test_utils4lessEEvPKT2_PS2_PKjT3_.numbered_sgpr, 20
	.set _Z19sort_keys_segmentedILj256ELj16ELj8EiN10test_utils4lessEEvPKT2_PS2_PKjT3_.num_named_barrier, 0
	.set _Z19sort_keys_segmentedILj256ELj16ELj8EiN10test_utils4lessEEvPKT2_PS2_PKjT3_.private_seg_size, 0
	.set _Z19sort_keys_segmentedILj256ELj16ELj8EiN10test_utils4lessEEvPKT2_PS2_PKjT3_.uses_vcc, 1
	.set _Z19sort_keys_segmentedILj256ELj16ELj8EiN10test_utils4lessEEvPKT2_PS2_PKjT3_.uses_flat_scratch, 0
	.set _Z19sort_keys_segmentedILj256ELj16ELj8EiN10test_utils4lessEEvPKT2_PS2_PKjT3_.has_dyn_sized_stack, 0
	.set _Z19sort_keys_segmentedILj256ELj16ELj8EiN10test_utils4lessEEvPKT2_PS2_PKjT3_.has_recursion, 0
	.set _Z19sort_keys_segmentedILj256ELj16ELj8EiN10test_utils4lessEEvPKT2_PS2_PKjT3_.has_indirect_call, 0
	.section	.AMDGPU.csdata,"",@progbits
; Kernel info:
; codeLenInByte = 7180
; TotalNumSgprs: 22
; NumVgprs: 32
; ScratchSize: 0
; MemoryBound: 0
; FloatMode: 240
; IeeeMode: 1
; LDSByteSize: 8256 bytes/workgroup (compile time only)
; SGPRBlocks: 0
; VGPRBlocks: 3
; NumSGPRsForWavesPerEU: 22
; NumVGPRsForWavesPerEU: 32
; Occupancy: 16
; WaveLimiterHint : 0
; COMPUTE_PGM_RSRC2:SCRATCH_EN: 0
; COMPUTE_PGM_RSRC2:USER_SGPR: 6
; COMPUTE_PGM_RSRC2:TRAP_HANDLER: 0
; COMPUTE_PGM_RSRC2:TGID_X_EN: 1
; COMPUTE_PGM_RSRC2:TGID_Y_EN: 0
; COMPUTE_PGM_RSRC2:TGID_Z_EN: 0
; COMPUTE_PGM_RSRC2:TIDIG_COMP_CNT: 0
	.section	.text._Z20sort_pairs_segmentedILj256ELj16ELj8EiN10test_utils4lessEEvPKT2_PS2_PKjT3_,"axG",@progbits,_Z20sort_pairs_segmentedILj256ELj16ELj8EiN10test_utils4lessEEvPKT2_PS2_PKjT3_,comdat
	.protected	_Z20sort_pairs_segmentedILj256ELj16ELj8EiN10test_utils4lessEEvPKT2_PS2_PKjT3_ ; -- Begin function _Z20sort_pairs_segmentedILj256ELj16ELj8EiN10test_utils4lessEEvPKT2_PS2_PKjT3_
	.globl	_Z20sort_pairs_segmentedILj256ELj16ELj8EiN10test_utils4lessEEvPKT2_PS2_PKjT3_
	.p2align	8
	.type	_Z20sort_pairs_segmentedILj256ELj16ELj8EiN10test_utils4lessEEvPKT2_PS2_PKjT3_,@function
_Z20sort_pairs_segmentedILj256ELj16ELj8EiN10test_utils4lessEEvPKT2_PS2_PKjT3_: ; @_Z20sort_pairs_segmentedILj256ELj16ELj8EiN10test_utils4lessEEvPKT2_PS2_PKjT3_
; %bb.0:
	s_clause 0x1
	s_load_dwordx2 s[0:1], s[4:5], 0x10
	s_load_dwordx4 s[16:19], s[4:5], 0x0
	v_lshrrev_b32_e32 v9, 4, v0
	v_mov_b32_e32 v2, 0
	v_mbcnt_lo_u32_b32 v0, -1, 0
	v_lshl_or_b32 v1, s6, 4, v9
	v_mov_b32_e32 v10, v2
	v_lshlrev_b32_e32 v8, 3, v0
	v_mov_b32_e32 v11, v2
	v_mov_b32_e32 v12, v2
	v_lshlrev_b64 v[3:4], 2, v[1:2]
	v_lshlrev_b32_e32 v1, 7, v1
	v_and_b32_e32 v7, 0x78, v8
	v_mov_b32_e32 v17, v2
	v_mov_b32_e32 v20, v2
	;; [unrolled: 1-line block ×3, first 2 shown]
	v_lshlrev_b64 v[0:1], 2, v[1:2]
	v_lshlrev_b32_e32 v5, 2, v7
	s_waitcnt lgkmcnt(0)
	v_add_co_u32 v3, vcc_lo, s0, v3
	v_add_co_ci_u32_e64 v4, null, s1, v4, vcc_lo
	v_mov_b32_e32 v26, v2
	global_load_dword v6, v[3:4], off
	v_add_co_u32 v3, vcc_lo, s16, v0
	v_add_co_ci_u32_e64 v4, null, s17, v1, vcc_lo
	v_add_co_u32 v3, vcc_lo, v3, v5
	v_add_co_ci_u32_e64 v4, null, 0, v4, vcc_lo
	s_waitcnt vmcnt(0)
	v_cmp_lt_u32_e32 vcc_lo, v7, v6
	s_and_saveexec_b32 s0, vcc_lo
	s_cbranch_execz .LBB23_2
; %bb.1:
	global_load_dword v10, v[3:4], off
	v_mov_b32_e32 v11, v2
	v_mov_b32_e32 v12, v2
	;; [unrolled: 1-line block ×6, first 2 shown]
.LBB23_2:
	s_or_b32 exec_lo, exec_lo, s0
	v_or_b32_e32 v13, 1, v7
	v_cmp_lt_u32_e64 s0, v13, v6
	s_and_saveexec_b32 s1, s0
	s_cbranch_execz .LBB23_4
; %bb.3:
	global_load_dword v2, v[3:4], off offset:4
.LBB23_4:
	s_or_b32 exec_lo, exec_lo, s1
	v_or_b32_e32 v14, 2, v7
	v_cmp_lt_u32_e64 s1, v14, v6
	s_and_saveexec_b32 s2, s1
	s_cbranch_execz .LBB23_6
; %bb.5:
	global_load_dword v11, v[3:4], off offset:8
.LBB23_6:
	;; [unrolled: 8-line block ×7, first 2 shown]
	s_or_b32 exec_lo, exec_lo, s7
	v_cmp_lt_i32_e64 s8, v18, v6
	v_cmp_lt_i32_e64 s9, v19, v6
	;; [unrolled: 1-line block ×6, first 2 shown]
	s_or_b32 s8, s9, s8
	s_waitcnt vmcnt(0)
	v_cndmask_b32_e64 v18, 0x7fffffff, v25, s9
	v_cndmask_b32_e64 v19, 0x7fffffff, v20, s8
	s_or_b32 s8, s8, s11
	v_mov_b32_e32 v28, v10
	v_cndmask_b32_e64 v21, 0x7fffffff, v17, s8
	s_or_b32 s8, s8, s12
	v_mov_b32_e32 v3, v26
	v_cndmask_b32_e64 v23, 0x7fffffff, v12, s8
	s_or_b32 s8, s8, s10
	s_brev_b32 s10, -2
	s_or_b32 s7, s8, s7
	v_cndmask_b32_e64 v22, 0x7fffffff, v11, s8
	v_cndmask_b32_e64 v24, 0x7fffffff, v2, s7
	v_cmp_ge_i32_e64 s7, v27, v6
	v_mov_b32_e32 v27, v10
	s_mov_b32 s8, 0
	s_and_saveexec_b32 s9, s7
	s_xor_b32 s9, exec_lo, s9
; %bb.17:
	v_cmp_lt_i32_e64 s7, v7, v6
	v_mov_b32_e32 v3, s10
	v_mov_b32_e32 v27, v28
	s_and_b32 s8, s7, exec_lo
; %bb.18:
	s_andn2_saveexec_b32 s7, s9
; %bb.19:
	s_or_b32 s8, s8, exec_lo
; %bb.20:
	s_or_b32 exec_lo, exec_lo, s7
	v_add_nc_u32_e32 v15, 1, v10
	v_add_nc_u32_e32 v16, 1, v2
	v_add_nc_u32_e32 v13, 1, v11
	v_add_nc_u32_e32 v14, 1, v12
	v_add_nc_u32_e32 v12, 1, v17
	v_add_nc_u32_e32 v10, 1, v20
	v_add_nc_u32_e32 v4, 1, v25
	v_add_nc_u32_e32 v11, 1, v26
	v_bfrev_b32_e32 v25, -2
	s_and_saveexec_b32 s12, s8
	s_cbranch_execz .LBB23_24
; %bb.21:
	v_cmp_lt_i32_e64 s7, v24, v27
	v_cmp_lt_i32_e64 s8, v23, v22
	s_mov_b32 s13, exec_lo
	v_cndmask_b32_e64 v2, v16, v15, s7
	v_cndmask_b32_e64 v15, v15, v16, s7
	;; [unrolled: 1-line block ×5, first 2 shown]
	v_cmp_lt_i32_e64 s7, v19, v21
	v_cndmask_b32_e64 v13, v13, v14, s8
	v_cndmask_b32_e64 v14, v23, v22, s8
	;; [unrolled: 1-line block ×3, first 2 shown]
	v_cmp_lt_i32_e64 s8, v3, v18
	v_cndmask_b32_e64 v23, v10, v12, s7
	v_cndmask_b32_e64 v10, v12, v10, s7
	;; [unrolled: 1-line block ×5, first 2 shown]
	v_cmp_lt_i32_e64 s7, v22, v17
	v_cndmask_b32_e64 v4, v4, v11, s8
	v_cndmask_b32_e64 v11, v3, v18, s8
	;; [unrolled: 1-line block ×3, first 2 shown]
	v_cmp_lt_i32_e64 s8, v19, v14
	v_cndmask_b32_e64 v18, v13, v2, s7
	v_cndmask_b32_e64 v2, v2, v13, s7
	v_cndmask_b32_e64 v13, v22, v17, s7
	v_cndmask_b32_e64 v17, v17, v22, s7
	v_cmp_lt_i32_e64 s7, v3, v12
	v_cndmask_b32_e64 v22, v10, v20, s8
	v_cndmask_b32_e64 v10, v20, v10, s8
	v_cndmask_b32_e64 v20, v19, v14, s8
	v_cndmask_b32_e64 v14, v14, v19, s8
	v_cndmask_b32_e64 v19, v4, v23, s7
	v_cndmask_b32_e64 v4, v23, v4, s7
	v_cmp_lt_i32_e64 s8, v17, v16
	v_cndmask_b32_e64 v23, v3, v12, s7
	v_cndmask_b32_e64 v3, v12, v3, s7
	v_cmp_lt_i32_e64 s7, v14, v13
	v_cndmask_b32_e64 v12, v2, v15, s8
	v_cndmask_b32_e64 v2, v15, v2, s8
	;; [unrolled: 1-line block ×4, first 2 shown]
	v_cmp_lt_i32_e64 s8, v3, v20
	v_cndmask_b32_e64 v17, v10, v18, s7
	v_cndmask_b32_e64 v10, v18, v10, s7
	;; [unrolled: 1-line block ×5, first 2 shown]
	v_cmp_lt_i32_e64 s7, v11, v23
	v_cndmask_b32_e64 v4, v22, v4, s8
	v_cndmask_b32_e64 v22, v3, v20, s8
	v_cndmask_b32_e64 v3, v20, v3, s8
	v_cmp_lt_i32_e64 s8, v13, v16
	v_cndmask_b32_e64 v20, v21, v19, s7
	v_cndmask_b32_e64 v19, v19, v21, s7
	;; [unrolled: 1-line block ×4, first 2 shown]
	v_cmp_lt_i32_e64 s7, v3, v18
	v_cndmask_b32_e64 v23, v10, v12, s8
	v_cndmask_b32_e64 v10, v12, v10, s8
	v_cndmask_b32_e64 v12, v13, v16, s8
	v_cndmask_b32_e64 v13, v16, v13, s8
	v_cndmask_b32_e64 v16, v4, v17, s7
	v_cndmask_b32_e64 v4, v17, v4, s7
	v_cmp_lt_i32_e64 s8, v11, v22
	v_cndmask_b32_e64 v17, v3, v18, s7
	v_cndmask_b32_e64 v3, v18, v3, s7
	v_cmp_lt_i32_e64 s7, v13, v15
	v_cndmask_b32_e64 v18, v19, v14, s8
	v_cndmask_b32_e64 v14, v14, v19, s8
	;; [unrolled: 1-line block ×4, first 2 shown]
	v_cmp_lt_i32_e64 s8, v3, v12
	v_cndmask_b32_e64 v22, v10, v2, s7
	v_cndmask_b32_e64 v2, v2, v10, s7
	;; [unrolled: 1-line block ×5, first 2 shown]
	v_cmp_lt_i32_e64 s7, v11, v17
	v_cndmask_b32_e64 v4, v23, v4, s8
	v_cndmask_b32_e64 v23, v3, v12, s8
	v_cndmask_b32_e64 v12, v12, v3, s8
	v_cmp_lt_i32_e64 s8, v21, v19
	v_cndmask_b32_e64 v24, v14, v16, s7
	v_cndmask_b32_e64 v14, v16, v14, s7
	;; [unrolled: 1-line block ×7, first 2 shown]
	v_cmp_lt_i32_e64 s7, v12, v13
	v_cndmask_b32_e64 v18, v18, v20, s8
	v_cmp_lt_i32_e64 s8, v17, v23
	v_cmp_lt_i32_e64 s9, v19, v16
	v_cndmask_b32_e64 v20, v4, v22, s7
	v_cndmask_b32_e64 v11, v22, v4, s7
	;; [unrolled: 1-line block ×12, first 2 shown]
	v_cmp_lt_i32_e64 s7, v13, v10
	v_cmp_lt_i32_e64 s8, v23, v4
	;; [unrolled: 1-line block ×3, first 2 shown]
	v_cndmask_b32_e64 v27, v10, v13, s7
	v_cndmask_b32_e64 v10, v13, v10, s7
	;; [unrolled: 1-line block ×9, first 2 shown]
	v_cmp_lt_i32_e64 s8, v26, v24
	v_cndmask_b32_e64 v19, v19, v22, s9
	v_cmp_lt_i32_e64 s9, v23, v10
	v_cmp_lt_i32_e64 s10, v28, v15
	v_cndmask_b32_e64 v14, v11, v2, s7
	v_cndmask_b32_e64 v4, v12, v3, s8
	v_cndmask_b32_e64 v25, v26, v24, s8
	v_cndmask_b32_e64 v18, v24, v26, s8
	v_cndmask_b32_e64 v22, v23, v10, s9
	v_cndmask_b32_e64 v24, v10, v23, s9
	v_cndmask_b32_e64 v21, v28, v15, s10
	v_cndmask_b32_e64 v23, v15, v28, s10
	v_mov_b32_e32 v10, v13
	v_cmpx_lt_i32_e64 v18, v19
; %bb.22:
	v_mov_b32_e32 v15, v18
	v_swap_b32 v18, v19
	v_mov_b32_e32 v10, v4
	v_mov_b32_e32 v4, v13
; %bb.23:
	s_or_b32 exec_lo, exec_lo, s13
	v_cndmask_b32_e64 v15, v2, v11, s7
	v_cndmask_b32_e64 v11, v3, v12, s8
	;; [unrolled: 1-line block ×6, first 2 shown]
.LBB23_24:
	s_or_b32 exec_lo, exec_lo, s12
	v_and_b32_e32 v2, 0x70, v8
	v_and_b32_e32 v3, 8, v8
	; wave barrier
	s_mov_b32 s9, 0
	v_min_i32_e32 v26, v6, v2
	v_min_i32_e32 v28, v6, v3
	v_mad_u32_u24 v3, 0x204, v9, v5
	s_mov_b32 s8, exec_lo
	ds_write2_b32 v3, v27, v24 offset1:1
	ds_write2_b32 v3, v22, v23 offset0:2 offset1:3
	ds_write2_b32 v3, v21, v19 offset0:4 offset1:5
	v_add_nc_u32_e32 v2, 8, v26
	v_lshlrev_b32_e32 v32, 2, v26
	ds_write2_b32 v3, v18, v25 offset0:6 offset1:7
	; wave barrier
	v_min_i32_e32 v20, v6, v2
	v_mad_u32_u24 v19, 0x204, v9, v32
	v_add_nc_u32_e32 v2, 8, v20
	v_sub_nc_u32_e32 v31, v20, v26
	v_min_i32_e32 v17, v6, v2
	v_mul_u32_u24_e32 v2, 0x204, v9
	v_sub_nc_u32_e32 v29, v17, v20
	v_sub_nc_u32_e32 v30, v28, v29
	v_cmp_ge_i32_e64 s7, v28, v29
	v_cndmask_b32_e64 v29, 0, v30, s7
	v_min_i32_e32 v30, v28, v31
	v_cmpx_lt_i32_e64 v29, v30
	s_cbranch_execz .LBB23_28
; %bb.25:
	v_lshlrev_b32_e32 v9, 2, v20
	v_lshlrev_b32_e32 v18, 2, v28
	v_add3_u32 v9, v2, v9, v18
	.p2align	6
.LBB23_26:                              ; =>This Inner Loop Header: Depth=1
	v_sub_nc_u32_e32 v18, v30, v29
	v_lshrrev_b32_e32 v18, 1, v18
	v_add_nc_u32_e32 v18, v18, v29
	v_not_b32_e32 v21, v18
	v_lshl_add_u32 v22, v18, 2, v19
	v_add_nc_u32_e32 v23, 1, v18
	v_lshl_add_u32 v21, v21, 2, v9
	ds_read_b32 v22, v22
	ds_read_b32 v21, v21
	s_waitcnt lgkmcnt(0)
	v_cmp_lt_i32_e64 s7, v21, v22
	v_cndmask_b32_e64 v30, v30, v18, s7
	v_cndmask_b32_e64 v29, v23, v29, s7
	v_cmp_ge_i32_e64 s7, v29, v30
	s_or_b32 s9, s7, s9
	s_andn2_b32 exec_lo, exec_lo, s9
	s_cbranch_execnz .LBB23_26
; %bb.27:
	s_or_b32 exec_lo, exec_lo, s9
.LBB23_28:
	s_or_b32 exec_lo, exec_lo, s8
	v_add_nc_u32_e32 v9, v20, v28
	v_lshl_add_u32 v22, v29, 2, v19
	v_add_nc_u32_e32 v23, v29, v26
                                        ; implicit-def: $vgpr21
	v_sub_nc_u32_e32 v9, v9, v29
	v_cmp_le_i32_e64 s7, v20, v23
	v_lshl_add_u32 v24, v9, 2, v2
	v_cmp_gt_i32_e64 s9, v17, v9
	ds_read_b32 v18, v22
	ds_read_b32 v19, v24
	s_waitcnt lgkmcnt(0)
	v_cmp_lt_i32_e64 s8, v19, v18
	s_or_b32 s7, s7, s8
	s_and_b32 s7, s9, s7
	s_xor_b32 s8, s7, -1
	s_and_saveexec_b32 s9, s8
	s_xor_b32 s8, exec_lo, s9
; %bb.29:
	ds_read_b32 v21, v22 offset:4
                                        ; implicit-def: $vgpr24
; %bb.30:
	s_or_saveexec_b32 s8, s8
	v_mov_b32_e32 v22, v19
	s_xor_b32 exec_lo, exec_lo, s8
	s_cbranch_execz .LBB23_32
; %bb.31:
	ds_read_b32 v22, v24 offset:4
	s_waitcnt lgkmcnt(1)
	v_mov_b32_e32 v21, v18
.LBB23_32:
	s_or_b32 exec_lo, exec_lo, s8
	v_add_nc_u32_e32 v24, 1, v23
	v_add_nc_u32_e32 v25, 1, v9
	s_waitcnt lgkmcnt(0)
	v_cmp_lt_i32_e64 s9, v22, v21
	v_cndmask_b32_e64 v26, v24, v23, s7
	v_cndmask_b32_e64 v27, v9, v25, s7
                                        ; implicit-def: $vgpr24
	v_cmp_ge_i32_e64 s8, v26, v20
	v_cmp_lt_i32_e64 s10, v27, v17
	s_or_b32 s8, s8, s9
	s_and_b32 s8, s10, s8
	s_xor_b32 s9, s8, -1
	s_and_saveexec_b32 s10, s9
	s_xor_b32 s9, exec_lo, s10
; %bb.33:
	v_lshl_add_u32 v24, v26, 2, v2
	ds_read_b32 v24, v24 offset:4
; %bb.34:
	s_or_saveexec_b32 s9, s9
	v_mov_b32_e32 v25, v22
	s_xor_b32 exec_lo, exec_lo, s9
	s_cbranch_execz .LBB23_36
; %bb.35:
	s_waitcnt lgkmcnt(0)
	v_lshl_add_u32 v24, v27, 2, v2
	ds_read_b32 v25, v24 offset:4
	v_mov_b32_e32 v24, v21
.LBB23_36:
	s_or_b32 exec_lo, exec_lo, s9
	v_add_nc_u32_e32 v28, 1, v26
	v_add_nc_u32_e32 v29, 1, v27
	s_waitcnt lgkmcnt(0)
	v_cmp_lt_i32_e64 s10, v25, v24
                                        ; implicit-def: $vgpr30
	v_cndmask_b32_e64 v28, v28, v26, s8
	v_cndmask_b32_e64 v29, v27, v29, s8
	v_cmp_ge_i32_e64 s9, v28, v20
	v_cmp_lt_i32_e64 s11, v29, v17
	s_or_b32 s9, s9, s10
	s_and_b32 s9, s11, s9
	s_xor_b32 s10, s9, -1
	s_and_saveexec_b32 s11, s10
	s_xor_b32 s10, exec_lo, s11
; %bb.37:
	v_lshl_add_u32 v30, v28, 2, v2
	ds_read_b32 v30, v30 offset:4
; %bb.38:
	s_or_saveexec_b32 s10, s10
	v_mov_b32_e32 v31, v25
	s_xor_b32 exec_lo, exec_lo, s10
	s_cbranch_execz .LBB23_40
; %bb.39:
	s_waitcnt lgkmcnt(0)
	v_lshl_add_u32 v30, v29, 2, v2
	ds_read_b32 v31, v30 offset:4
	v_mov_b32_e32 v30, v24
.LBB23_40:
	s_or_b32 exec_lo, exec_lo, s10
	v_add_nc_u32_e32 v32, 1, v28
	v_add_nc_u32_e32 v33, 1, v29
	s_waitcnt lgkmcnt(0)
	v_cmp_lt_i32_e64 s11, v31, v30
                                        ; implicit-def: $vgpr34
	v_cndmask_b32_e64 v32, v32, v28, s9
	v_cndmask_b32_e64 v33, v29, v33, s9
	v_cmp_ge_i32_e64 s10, v32, v20
	v_cmp_lt_i32_e64 s12, v33, v17
	s_or_b32 s10, s10, s11
	s_and_b32 s10, s12, s10
	s_xor_b32 s11, s10, -1
	s_and_saveexec_b32 s12, s11
	s_xor_b32 s11, exec_lo, s12
; %bb.41:
	v_lshl_add_u32 v34, v32, 2, v2
	ds_read_b32 v34, v34 offset:4
; %bb.42:
	s_or_saveexec_b32 s11, s11
	v_mov_b32_e32 v35, v31
	s_xor_b32 exec_lo, exec_lo, s11
	s_cbranch_execz .LBB23_44
; %bb.43:
	s_waitcnt lgkmcnt(0)
	v_lshl_add_u32 v34, v33, 2, v2
	ds_read_b32 v35, v34 offset:4
	v_mov_b32_e32 v34, v30
.LBB23_44:
	s_or_b32 exec_lo, exec_lo, s11
	v_add_nc_u32_e32 v36, 1, v32
	v_add_nc_u32_e32 v37, 1, v33
	s_waitcnt lgkmcnt(0)
	v_cmp_lt_i32_e64 s12, v35, v34
                                        ; implicit-def: $vgpr38
	v_cndmask_b32_e64 v36, v36, v32, s10
	v_cndmask_b32_e64 v37, v33, v37, s10
	v_cmp_ge_i32_e64 s11, v36, v20
	v_cmp_lt_i32_e64 s13, v37, v17
	s_or_b32 s11, s11, s12
	s_and_b32 s11, s13, s11
	s_xor_b32 s12, s11, -1
	s_and_saveexec_b32 s13, s12
	s_xor_b32 s12, exec_lo, s13
; %bb.45:
	v_lshl_add_u32 v38, v36, 2, v2
	ds_read_b32 v38, v38 offset:4
; %bb.46:
	s_or_saveexec_b32 s12, s12
	v_mov_b32_e32 v39, v35
	s_xor_b32 exec_lo, exec_lo, s12
	s_cbranch_execz .LBB23_48
; %bb.47:
	s_waitcnt lgkmcnt(0)
	v_lshl_add_u32 v38, v37, 2, v2
	ds_read_b32 v39, v38 offset:4
	v_mov_b32_e32 v38, v34
.LBB23_48:
	s_or_b32 exec_lo, exec_lo, s12
	v_add_nc_u32_e32 v40, 1, v36
	v_add_nc_u32_e32 v42, 1, v37
	s_waitcnt lgkmcnt(0)
	v_cmp_lt_i32_e64 s13, v39, v38
                                        ; implicit-def: $vgpr44
	v_cndmask_b32_e64 v41, v40, v36, s11
	v_cndmask_b32_e64 v42, v37, v42, s11
	v_cmp_ge_i32_e64 s12, v41, v20
	v_cmp_lt_i32_e64 s14, v42, v17
	s_or_b32 s12, s12, s13
	s_and_b32 s12, s14, s12
	s_xor_b32 s13, s12, -1
	s_and_saveexec_b32 s14, s13
	s_xor_b32 s13, exec_lo, s14
; %bb.49:
	v_lshl_add_u32 v40, v41, 2, v2
	ds_read_b32 v44, v40 offset:4
; %bb.50:
	s_or_saveexec_b32 s13, s13
	v_mov_b32_e32 v45, v39
	s_xor_b32 exec_lo, exec_lo, s13
	s_cbranch_execz .LBB23_52
; %bb.51:
	v_lshl_add_u32 v40, v42, 2, v2
	s_waitcnt lgkmcnt(0)
	v_mov_b32_e32 v44, v38
	ds_read_b32 v45, v40 offset:4
.LBB23_52:
	s_or_b32 exec_lo, exec_lo, s13
	v_add_nc_u32_e32 v40, 1, v41
	v_add_nc_u32_e32 v43, 1, v42
	s_waitcnt lgkmcnt(0)
	v_cmp_lt_i32_e64 s14, v45, v44
	v_cndmask_b32_e64 v46, v40, v41, s12
	v_cndmask_b32_e64 v47, v42, v43, s12
                                        ; implicit-def: $vgpr40
	v_cmp_ge_i32_e64 s13, v46, v20
	v_cmp_lt_i32_e64 s15, v47, v17
	s_or_b32 s13, s13, s14
	s_and_b32 s13, s15, s13
	s_xor_b32 s14, s13, -1
	s_and_saveexec_b32 s15, s14
	s_xor_b32 s14, exec_lo, s15
; %bb.53:
	v_lshl_add_u32 v40, v46, 2, v2
	ds_read_b32 v40, v40 offset:4
; %bb.54:
	s_or_saveexec_b32 s14, s14
	v_mov_b32_e32 v43, v45
	s_xor_b32 exec_lo, exec_lo, s14
	s_cbranch_execz .LBB23_56
; %bb.55:
	s_waitcnt lgkmcnt(0)
	v_lshl_add_u32 v40, v47, 2, v2
	ds_read_b32 v43, v40 offset:4
	v_mov_b32_e32 v40, v44
.LBB23_56:
	s_or_b32 exec_lo, exec_lo, s14
	v_add_nc_u32_e32 v49, 1, v46
	v_cndmask_b32_e64 v44, v44, v45, s13
	v_cndmask_b32_e64 v45, v46, v47, s13
	v_add_nc_u32_e32 v48, 1, v47
	v_cndmask_b32_e64 v30, v30, v31, s10
	v_cndmask_b32_e64 v46, v49, v46, s13
	;; [unrolled: 1-line block ×6, first 2 shown]
	v_cmp_ge_i32_e64 s10, v46, v20
	v_and_b32_e32 v20, 0x60, v8
	v_cndmask_b32_e64 v34, v34, v35, s11
	v_cmp_lt_i32_e64 s12, v47, v17
	v_cndmask_b32_e64 v35, v36, v37, s11
	s_waitcnt lgkmcnt(0)
	v_cmp_lt_i32_e64 s11, v43, v40
	v_min_i32_e32 v20, v6, v20
	v_cndmask_b32_e64 v9, v23, v9, s7
	v_cndmask_b32_e64 v26, v26, v27, s8
	;; [unrolled: 1-line block ×3, first 2 shown]
	s_or_b32 s10, s10, s11
	v_add_nc_u32_e32 v17, 16, v20
	s_and_b32 s10, s12, s10
	v_cndmask_b32_e64 v23, v46, v47, s10
	; wave barrier
	v_min_i32_e32 v17, v6, v17
	ds_write2_b32 v3, v15, v16 offset1:1
	ds_write2_b32 v3, v13, v14 offset0:2 offset1:3
	ds_write2_b32 v3, v12, v10 offset0:4 offset1:5
	ds_write2_b32 v3, v4, v11 offset0:6 offset1:7
	v_lshl_add_u32 v4, v9, 2, v2
	v_and_b32_e32 v14, 24, v8
	v_lshl_add_u32 v9, v26, 2, v2
	v_add_nc_u32_e32 v10, 16, v17
	v_lshl_add_u32 v11, v28, 2, v2
	v_lshl_add_u32 v12, v31, 2, v2
	;; [unrolled: 1-line block ×4, first 2 shown]
	; wave barrier
	v_min_i32_e32 v16, v6, v10
	v_lshl_add_u32 v26, v45, 2, v2
	v_lshl_add_u32 v28, v23, 2, v2
	v_min_i32_e32 v23, v6, v14
	ds_read_b32 v4, v4
	ds_read_b32 v9, v9
	;; [unrolled: 1-line block ×8, first 2 shown]
	v_sub_nc_u32_e32 v29, v16, v17
	v_cndmask_b32_e64 v24, v24, v25, s9
	v_cndmask_b32_e64 v22, v21, v22, s8
	;; [unrolled: 1-line block ×3, first 2 shown]
	v_sub_nc_u32_e32 v25, v17, v20
	v_sub_nc_u32_e32 v19, v23, v29
	v_cmp_ge_i32_e64 s7, v23, v29
	v_cndmask_b32_e64 v27, v40, v43, s10
	; wave barrier
	ds_write2_b32 v3, v18, v22 offset1:1
	ds_write2_b32 v3, v24, v30 offset0:2 offset1:3
	ds_write2_b32 v3, v34, v38 offset0:4 offset1:5
	v_cndmask_b32_e64 v21, 0, v19, s7
	v_min_i32_e32 v19, v23, v25
	v_lshl_add_u32 v18, v20, 2, v2
	s_mov_b32 s9, 0
	s_mov_b32 s8, exec_lo
	ds_write2_b32 v3, v44, v27 offset0:6 offset1:7
	; wave barrier
	v_cmpx_lt_i32_e64 v21, v19
	s_cbranch_execz .LBB23_60
; %bb.57:
	v_lshlrev_b32_e32 v22, 2, v17
	v_lshlrev_b32_e32 v24, 2, v23
	v_add3_u32 v22, v2, v22, v24
	.p2align	6
.LBB23_58:                              ; =>This Inner Loop Header: Depth=1
	v_sub_nc_u32_e32 v24, v19, v21
	v_lshrrev_b32_e32 v24, 1, v24
	v_add_nc_u32_e32 v24, v24, v21
	v_not_b32_e32 v25, v24
	v_lshl_add_u32 v26, v24, 2, v18
	v_add_nc_u32_e32 v27, 1, v24
	v_lshl_add_u32 v25, v25, 2, v22
	ds_read_b32 v26, v26
	ds_read_b32 v25, v25
	s_waitcnt lgkmcnt(0)
	v_cmp_lt_i32_e64 s7, v25, v26
	v_cndmask_b32_e64 v19, v19, v24, s7
	v_cndmask_b32_e64 v21, v27, v21, s7
	v_cmp_ge_i32_e64 s7, v21, v19
	s_or_b32 s9, s7, s9
	s_andn2_b32 exec_lo, exec_lo, s9
	s_cbranch_execnz .LBB23_58
; %bb.59:
	s_or_b32 exec_lo, exec_lo, s9
.LBB23_60:
	s_or_b32 exec_lo, exec_lo, s8
	v_add_nc_u32_e32 v19, v17, v23
	v_lshl_add_u32 v25, v21, 2, v18
	v_add_nc_u32_e32 v23, v21, v20
                                        ; implicit-def: $vgpr20
	v_sub_nc_u32_e32 v22, v19, v21
	v_cmp_le_i32_e64 s7, v17, v23
	v_lshl_add_u32 v24, v22, 2, v2
	v_cmp_gt_i32_e64 s9, v16, v22
	ds_read_b32 v18, v25
	ds_read_b32 v19, v24
	s_waitcnt lgkmcnt(0)
	v_cmp_lt_i32_e64 s8, v19, v18
	s_or_b32 s7, s7, s8
	s_and_b32 s7, s9, s7
	s_xor_b32 s8, s7, -1
	s_and_saveexec_b32 s9, s8
	s_xor_b32 s8, exec_lo, s9
; %bb.61:
	ds_read_b32 v20, v25 offset:4
                                        ; implicit-def: $vgpr24
; %bb.62:
	s_or_saveexec_b32 s8, s8
	v_mov_b32_e32 v21, v19
	s_xor_b32 exec_lo, exec_lo, s8
	s_cbranch_execz .LBB23_64
; %bb.63:
	ds_read_b32 v21, v24 offset:4
	s_waitcnt lgkmcnt(1)
	v_mov_b32_e32 v20, v18
.LBB23_64:
	s_or_b32 exec_lo, exec_lo, s8
	v_add_nc_u32_e32 v24, 1, v23
	v_add_nc_u32_e32 v25, 1, v22
	s_waitcnt lgkmcnt(0)
	v_cmp_lt_i32_e64 s9, v21, v20
	v_cndmask_b32_e64 v26, v24, v23, s7
	v_cndmask_b32_e64 v27, v22, v25, s7
                                        ; implicit-def: $vgpr24
	v_cmp_ge_i32_e64 s8, v26, v17
	v_cmp_lt_i32_e64 s10, v27, v16
	s_or_b32 s8, s8, s9
	s_and_b32 s8, s10, s8
	s_xor_b32 s9, s8, -1
	s_and_saveexec_b32 s10, s9
	s_xor_b32 s9, exec_lo, s10
; %bb.65:
	v_lshl_add_u32 v24, v26, 2, v2
	ds_read_b32 v24, v24 offset:4
; %bb.66:
	s_or_saveexec_b32 s9, s9
	v_mov_b32_e32 v25, v21
	s_xor_b32 exec_lo, exec_lo, s9
	s_cbranch_execz .LBB23_68
; %bb.67:
	s_waitcnt lgkmcnt(0)
	v_lshl_add_u32 v24, v27, 2, v2
	ds_read_b32 v25, v24 offset:4
	v_mov_b32_e32 v24, v20
.LBB23_68:
	s_or_b32 exec_lo, exec_lo, s9
	v_add_nc_u32_e32 v28, 1, v26
	v_add_nc_u32_e32 v29, 1, v27
	s_waitcnt lgkmcnt(0)
	v_cmp_lt_i32_e64 s10, v25, v24
                                        ; implicit-def: $vgpr30
	v_cndmask_b32_e64 v28, v28, v26, s8
	v_cndmask_b32_e64 v29, v27, v29, s8
	v_cmp_ge_i32_e64 s9, v28, v17
	v_cmp_lt_i32_e64 s11, v29, v16
	s_or_b32 s9, s9, s10
	s_and_b32 s9, s11, s9
	s_xor_b32 s10, s9, -1
	s_and_saveexec_b32 s11, s10
	s_xor_b32 s10, exec_lo, s11
; %bb.69:
	v_lshl_add_u32 v30, v28, 2, v2
	ds_read_b32 v30, v30 offset:4
; %bb.70:
	s_or_saveexec_b32 s10, s10
	v_mov_b32_e32 v31, v25
	s_xor_b32 exec_lo, exec_lo, s10
	s_cbranch_execz .LBB23_72
; %bb.71:
	s_waitcnt lgkmcnt(0)
	v_lshl_add_u32 v30, v29, 2, v2
	ds_read_b32 v31, v30 offset:4
	v_mov_b32_e32 v30, v24
.LBB23_72:
	s_or_b32 exec_lo, exec_lo, s10
	v_add_nc_u32_e32 v32, 1, v28
	v_add_nc_u32_e32 v33, 1, v29
	s_waitcnt lgkmcnt(0)
	v_cmp_lt_i32_e64 s11, v31, v30
                                        ; implicit-def: $vgpr34
	v_cndmask_b32_e64 v32, v32, v28, s9
	v_cndmask_b32_e64 v33, v29, v33, s9
	v_cmp_ge_i32_e64 s10, v32, v17
	v_cmp_lt_i32_e64 s12, v33, v16
	s_or_b32 s10, s10, s11
	s_and_b32 s10, s12, s10
	s_xor_b32 s11, s10, -1
	s_and_saveexec_b32 s12, s11
	s_xor_b32 s11, exec_lo, s12
; %bb.73:
	v_lshl_add_u32 v34, v32, 2, v2
	ds_read_b32 v34, v34 offset:4
; %bb.74:
	s_or_saveexec_b32 s11, s11
	v_mov_b32_e32 v35, v31
	s_xor_b32 exec_lo, exec_lo, s11
	s_cbranch_execz .LBB23_76
; %bb.75:
	s_waitcnt lgkmcnt(0)
	v_lshl_add_u32 v34, v33, 2, v2
	ds_read_b32 v35, v34 offset:4
	v_mov_b32_e32 v34, v30
.LBB23_76:
	s_or_b32 exec_lo, exec_lo, s11
	v_add_nc_u32_e32 v36, 1, v32
	v_add_nc_u32_e32 v37, 1, v33
	s_waitcnt lgkmcnt(0)
	v_cmp_lt_i32_e64 s12, v35, v34
                                        ; implicit-def: $vgpr38
	v_cndmask_b32_e64 v36, v36, v32, s10
	v_cndmask_b32_e64 v37, v33, v37, s10
	v_cmp_ge_i32_e64 s11, v36, v17
	v_cmp_lt_i32_e64 s13, v37, v16
	s_or_b32 s11, s11, s12
	s_and_b32 s11, s13, s11
	s_xor_b32 s12, s11, -1
	s_and_saveexec_b32 s13, s12
	s_xor_b32 s12, exec_lo, s13
; %bb.77:
	v_lshl_add_u32 v38, v36, 2, v2
	ds_read_b32 v38, v38 offset:4
; %bb.78:
	s_or_saveexec_b32 s12, s12
	v_mov_b32_e32 v39, v35
	s_xor_b32 exec_lo, exec_lo, s12
	s_cbranch_execz .LBB23_80
; %bb.79:
	s_waitcnt lgkmcnt(0)
	v_lshl_add_u32 v38, v37, 2, v2
	ds_read_b32 v39, v38 offset:4
	v_mov_b32_e32 v38, v34
.LBB23_80:
	s_or_b32 exec_lo, exec_lo, s12
	v_add_nc_u32_e32 v40, 1, v36
	v_add_nc_u32_e32 v42, 1, v37
	s_waitcnt lgkmcnt(0)
	v_cmp_lt_i32_e64 s13, v39, v38
                                        ; implicit-def: $vgpr44
	v_cndmask_b32_e64 v41, v40, v36, s11
	v_cndmask_b32_e64 v42, v37, v42, s11
	v_cmp_ge_i32_e64 s12, v41, v17
	v_cmp_lt_i32_e64 s14, v42, v16
	s_or_b32 s12, s12, s13
	s_and_b32 s12, s14, s12
	s_xor_b32 s13, s12, -1
	s_and_saveexec_b32 s14, s13
	s_xor_b32 s13, exec_lo, s14
; %bb.81:
	v_lshl_add_u32 v40, v41, 2, v2
	ds_read_b32 v44, v40 offset:4
; %bb.82:
	s_or_saveexec_b32 s13, s13
	v_mov_b32_e32 v45, v39
	s_xor_b32 exec_lo, exec_lo, s13
	s_cbranch_execz .LBB23_84
; %bb.83:
	v_lshl_add_u32 v40, v42, 2, v2
	s_waitcnt lgkmcnt(0)
	v_mov_b32_e32 v44, v38
	ds_read_b32 v45, v40 offset:4
.LBB23_84:
	s_or_b32 exec_lo, exec_lo, s13
	v_add_nc_u32_e32 v40, 1, v41
	v_add_nc_u32_e32 v43, 1, v42
	s_waitcnt lgkmcnt(0)
	v_cmp_lt_i32_e64 s14, v45, v44
	v_cndmask_b32_e64 v46, v40, v41, s12
	v_cndmask_b32_e64 v47, v42, v43, s12
                                        ; implicit-def: $vgpr40
	v_cmp_ge_i32_e64 s13, v46, v17
	v_cmp_lt_i32_e64 s15, v47, v16
	s_or_b32 s13, s13, s14
	s_and_b32 s13, s15, s13
	s_xor_b32 s14, s13, -1
	s_and_saveexec_b32 s15, s14
	s_xor_b32 s14, exec_lo, s15
; %bb.85:
	v_lshl_add_u32 v40, v46, 2, v2
	ds_read_b32 v40, v40 offset:4
; %bb.86:
	s_or_saveexec_b32 s14, s14
	v_mov_b32_e32 v43, v45
	s_xor_b32 exec_lo, exec_lo, s14
	s_cbranch_execz .LBB23_88
; %bb.87:
	s_waitcnt lgkmcnt(0)
	v_lshl_add_u32 v40, v47, 2, v2
	ds_read_b32 v43, v40 offset:4
	v_mov_b32_e32 v40, v44
.LBB23_88:
	s_or_b32 exec_lo, exec_lo, s14
	v_add_nc_u32_e32 v49, 1, v46
	v_cndmask_b32_e64 v44, v44, v45, s13
	v_cndmask_b32_e64 v45, v46, v47, s13
	v_add_nc_u32_e32 v48, 1, v47
	v_cndmask_b32_e64 v30, v30, v31, s10
	v_cndmask_b32_e64 v46, v49, v46, s13
	;; [unrolled: 1-line block ×6, first 2 shown]
	v_cmp_ge_i32_e64 s10, v46, v17
	v_and_b32_e32 v17, 64, v8
	v_cndmask_b32_e64 v39, v41, v42, s12
	v_cmp_lt_i32_e64 s12, v47, v16
	v_cndmask_b32_e64 v16, v26, v27, s8
	v_cndmask_b32_e64 v34, v34, v35, s11
	v_min_i32_e32 v22, v6, v17
	v_cndmask_b32_e64 v35, v36, v37, s11
	s_waitcnt lgkmcnt(0)
	v_cmp_lt_i32_e64 s11, v43, v40
	; wave barrier
	v_add_nc_u32_e32 v27, 32, v22
	ds_write2_b32 v3, v4, v9 offset1:1
	ds_write2_b32 v3, v10, v11 offset0:2 offset1:3
	ds_write2_b32 v3, v12, v13 offset0:4 offset1:5
	;; [unrolled: 1-line block ×3, first 2 shown]
	s_or_b32 s10, s10, s11
	v_cndmask_b32_e64 v28, v28, v29, s9
	s_and_b32 s10, s12, s10
	v_min_i32_e32 v15, v6, v27
	v_cndmask_b32_e64 v17, v46, v47, s10
	v_lshl_add_u32 v4, v23, 2, v2
	v_and_b32_e32 v8, 56, v8
	v_lshl_add_u32 v9, v16, 2, v2
	v_add_nc_u32_e32 v10, 32, v15
	v_lshl_add_u32 v11, v28, 2, v2
	v_lshl_add_u32 v12, v31, 2, v2
	;; [unrolled: 1-line block ×4, first 2 shown]
	; wave barrier
	v_min_i32_e32 v16, v6, v10
	v_lshl_add_u32 v23, v45, 2, v2
	v_lshl_add_u32 v27, v17, 2, v2
	v_min_i32_e32 v17, v6, v8
	ds_read_b32 v4, v4
	ds_read_b32 v8, v9
	;; [unrolled: 1-line block ×8, first 2 shown]
	v_sub_nc_u32_e32 v28, v16, v15
	v_cndmask_b32_e64 v21, v20, v21, s8
	v_cndmask_b32_e64 v18, v18, v19, s7
	v_sub_nc_u32_e32 v20, v15, v22
	v_cndmask_b32_e64 v23, v24, v25, s9
	v_sub_nc_u32_e32 v19, v17, v28
	v_cmp_ge_i32_e64 s7, v17, v28
	v_cndmask_b32_e64 v26, v40, v43, s10
	; wave barrier
	v_min_i32_e32 v20, v17, v20
	v_cndmask_b32_e64 v19, 0, v19, s7
	ds_write2_b32 v3, v18, v21 offset1:1
	ds_write2_b32 v3, v23, v30 offset0:2 offset1:3
	ds_write2_b32 v3, v34, v38 offset0:4 offset1:5
	v_lshl_add_u32 v18, v22, 2, v2
	s_mov_b32 s9, 0
	s_mov_b32 s8, exec_lo
	ds_write2_b32 v3, v44, v26 offset0:6 offset1:7
	; wave barrier
	v_cmpx_lt_i32_e64 v19, v20
	s_cbranch_execz .LBB23_92
; %bb.89:
	v_lshlrev_b32_e32 v21, 2, v15
	v_lshlrev_b32_e32 v23, 2, v17
	v_add3_u32 v21, v2, v21, v23
	.p2align	6
.LBB23_90:                              ; =>This Inner Loop Header: Depth=1
	v_sub_nc_u32_e32 v23, v20, v19
	v_lshrrev_b32_e32 v23, 1, v23
	v_add_nc_u32_e32 v23, v23, v19
	v_not_b32_e32 v24, v23
	v_lshl_add_u32 v25, v23, 2, v18
	v_add_nc_u32_e32 v26, 1, v23
	v_lshl_add_u32 v24, v24, 2, v21
	ds_read_b32 v25, v25
	ds_read_b32 v24, v24
	s_waitcnt lgkmcnt(0)
	v_cmp_lt_i32_e64 s7, v24, v25
	v_cndmask_b32_e64 v20, v20, v23, s7
	v_cndmask_b32_e64 v19, v26, v19, s7
	v_cmp_ge_i32_e64 s7, v19, v20
	s_or_b32 s9, s7, s9
	s_andn2_b32 exec_lo, exec_lo, s9
	s_cbranch_execnz .LBB23_90
; %bb.91:
	s_or_b32 exec_lo, exec_lo, s9
.LBB23_92:
	s_or_b32 exec_lo, exec_lo, s8
	v_add_nc_u32_e32 v17, v15, v17
	v_lshl_add_u32 v20, v19, 2, v18
	v_add_nc_u32_e32 v24, v19, v22
	v_sub_nc_u32_e32 v23, v17, v19
                                        ; implicit-def: $vgpr19
	v_cmp_le_i32_e64 s7, v15, v24
	v_lshl_add_u32 v21, v23, 2, v2
	v_cmp_gt_i32_e64 s9, v16, v23
	ds_read_b32 v17, v20
	ds_read_b32 v18, v21
	s_waitcnt lgkmcnt(0)
	v_cmp_lt_i32_e64 s8, v18, v17
	s_or_b32 s7, s7, s8
	s_and_b32 s7, s9, s7
	s_xor_b32 s8, s7, -1
	s_and_saveexec_b32 s9, s8
	s_xor_b32 s8, exec_lo, s9
; %bb.93:
	ds_read_b32 v19, v20 offset:4
                                        ; implicit-def: $vgpr21
; %bb.94:
	s_or_saveexec_b32 s8, s8
	v_mov_b32_e32 v20, v18
	s_xor_b32 exec_lo, exec_lo, s8
	s_cbranch_execz .LBB23_96
; %bb.95:
	ds_read_b32 v20, v21 offset:4
	s_waitcnt lgkmcnt(1)
	v_mov_b32_e32 v19, v17
.LBB23_96:
	s_or_b32 exec_lo, exec_lo, s8
	v_add_nc_u32_e32 v21, 1, v24
	v_add_nc_u32_e32 v22, 1, v23
	s_waitcnt lgkmcnt(0)
	v_cmp_lt_i32_e64 s9, v20, v19
	v_cndmask_b32_e64 v25, v21, v24, s7
	v_cndmask_b32_e64 v26, v23, v22, s7
                                        ; implicit-def: $vgpr21
	v_cmp_ge_i32_e64 s8, v25, v15
	v_cmp_lt_i32_e64 s10, v26, v16
	s_or_b32 s8, s8, s9
	s_and_b32 s8, s10, s8
	s_xor_b32 s9, s8, -1
	s_and_saveexec_b32 s10, s9
	s_xor_b32 s9, exec_lo, s10
; %bb.97:
	v_lshl_add_u32 v21, v25, 2, v2
	ds_read_b32 v21, v21 offset:4
; %bb.98:
	s_or_saveexec_b32 s9, s9
	v_mov_b32_e32 v22, v20
	s_xor_b32 exec_lo, exec_lo, s9
	s_cbranch_execz .LBB23_100
; %bb.99:
	s_waitcnt lgkmcnt(0)
	v_lshl_add_u32 v21, v26, 2, v2
	ds_read_b32 v22, v21 offset:4
	v_mov_b32_e32 v21, v19
.LBB23_100:
	s_or_b32 exec_lo, exec_lo, s9
	v_add_nc_u32_e32 v27, 1, v25
	v_add_nc_u32_e32 v28, 1, v26
	s_waitcnt lgkmcnt(0)
	v_cmp_lt_i32_e64 s10, v22, v21
                                        ; implicit-def: $vgpr29
	v_cndmask_b32_e64 v27, v27, v25, s8
	v_cndmask_b32_e64 v28, v26, v28, s8
	v_cmp_ge_i32_e64 s9, v27, v15
	v_cmp_lt_i32_e64 s11, v28, v16
	s_or_b32 s9, s9, s10
	s_and_b32 s9, s11, s9
	s_xor_b32 s10, s9, -1
	s_and_saveexec_b32 s11, s10
	s_xor_b32 s10, exec_lo, s11
; %bb.101:
	v_lshl_add_u32 v29, v27, 2, v2
	ds_read_b32 v29, v29 offset:4
; %bb.102:
	s_or_saveexec_b32 s10, s10
	v_mov_b32_e32 v30, v22
	s_xor_b32 exec_lo, exec_lo, s10
	s_cbranch_execz .LBB23_104
; %bb.103:
	s_waitcnt lgkmcnt(0)
	v_lshl_add_u32 v29, v28, 2, v2
	ds_read_b32 v30, v29 offset:4
	v_mov_b32_e32 v29, v21
.LBB23_104:
	s_or_b32 exec_lo, exec_lo, s10
	v_add_nc_u32_e32 v31, 1, v27
	v_add_nc_u32_e32 v32, 1, v28
	s_waitcnt lgkmcnt(0)
	v_cmp_lt_i32_e64 s11, v30, v29
                                        ; implicit-def: $vgpr33
	v_cndmask_b32_e64 v31, v31, v27, s9
	v_cndmask_b32_e64 v32, v28, v32, s9
	v_cmp_ge_i32_e64 s10, v31, v15
	v_cmp_lt_i32_e64 s12, v32, v16
	s_or_b32 s10, s10, s11
	s_and_b32 s10, s12, s10
	s_xor_b32 s11, s10, -1
	s_and_saveexec_b32 s12, s11
	s_xor_b32 s11, exec_lo, s12
; %bb.105:
	v_lshl_add_u32 v33, v31, 2, v2
	ds_read_b32 v33, v33 offset:4
; %bb.106:
	s_or_saveexec_b32 s11, s11
	v_mov_b32_e32 v34, v30
	s_xor_b32 exec_lo, exec_lo, s11
	s_cbranch_execz .LBB23_108
; %bb.107:
	s_waitcnt lgkmcnt(0)
	v_lshl_add_u32 v33, v32, 2, v2
	ds_read_b32 v34, v33 offset:4
	v_mov_b32_e32 v33, v29
.LBB23_108:
	s_or_b32 exec_lo, exec_lo, s11
	v_add_nc_u32_e32 v35, 1, v31
	v_add_nc_u32_e32 v36, 1, v32
	s_waitcnt lgkmcnt(0)
	v_cmp_lt_i32_e64 s12, v34, v33
                                        ; implicit-def: $vgpr37
	v_cndmask_b32_e64 v35, v35, v31, s10
	v_cndmask_b32_e64 v36, v32, v36, s10
	v_cmp_ge_i32_e64 s11, v35, v15
	v_cmp_lt_i32_e64 s13, v36, v16
	s_or_b32 s11, s11, s12
	s_and_b32 s11, s13, s11
	s_xor_b32 s12, s11, -1
	s_and_saveexec_b32 s13, s12
	s_xor_b32 s12, exec_lo, s13
; %bb.109:
	v_lshl_add_u32 v37, v35, 2, v2
	ds_read_b32 v37, v37 offset:4
; %bb.110:
	s_or_saveexec_b32 s12, s12
	v_mov_b32_e32 v38, v34
	s_xor_b32 exec_lo, exec_lo, s12
	s_cbranch_execz .LBB23_112
; %bb.111:
	s_waitcnt lgkmcnt(0)
	v_lshl_add_u32 v37, v36, 2, v2
	ds_read_b32 v38, v37 offset:4
	v_mov_b32_e32 v37, v33
.LBB23_112:
	s_or_b32 exec_lo, exec_lo, s12
	v_add_nc_u32_e32 v39, 1, v35
	v_add_nc_u32_e32 v41, 1, v36
	s_waitcnt lgkmcnt(0)
	v_cmp_lt_i32_e64 s13, v38, v37
                                        ; implicit-def: $vgpr43
	v_cndmask_b32_e64 v40, v39, v35, s11
	v_cndmask_b32_e64 v41, v36, v41, s11
	v_cmp_ge_i32_e64 s12, v40, v15
	v_cmp_lt_i32_e64 s14, v41, v16
	s_or_b32 s12, s12, s13
	s_and_b32 s12, s14, s12
	s_xor_b32 s13, s12, -1
	s_and_saveexec_b32 s14, s13
	s_xor_b32 s13, exec_lo, s14
; %bb.113:
	v_lshl_add_u32 v39, v40, 2, v2
	ds_read_b32 v43, v39 offset:4
; %bb.114:
	s_or_saveexec_b32 s13, s13
	v_mov_b32_e32 v44, v38
	s_xor_b32 exec_lo, exec_lo, s13
	s_cbranch_execz .LBB23_116
; %bb.115:
	v_lshl_add_u32 v39, v41, 2, v2
	s_waitcnt lgkmcnt(0)
	v_mov_b32_e32 v43, v37
	ds_read_b32 v44, v39 offset:4
.LBB23_116:
	s_or_b32 exec_lo, exec_lo, s13
	v_add_nc_u32_e32 v39, 1, v40
	v_add_nc_u32_e32 v42, 1, v41
	s_waitcnt lgkmcnt(0)
	v_cmp_lt_i32_e64 s14, v44, v43
	v_cndmask_b32_e64 v45, v39, v40, s12
	v_cndmask_b32_e64 v46, v41, v42, s12
                                        ; implicit-def: $vgpr39
	v_cmp_ge_i32_e64 s13, v45, v15
	v_cmp_lt_i32_e64 s15, v46, v16
	s_or_b32 s13, s13, s14
	s_and_b32 s13, s15, s13
	s_xor_b32 s14, s13, -1
	s_and_saveexec_b32 s15, s14
	s_xor_b32 s14, exec_lo, s15
; %bb.117:
	v_lshl_add_u32 v39, v45, 2, v2
	ds_read_b32 v39, v39 offset:4
; %bb.118:
	s_or_saveexec_b32 s14, s14
	v_mov_b32_e32 v42, v44
	s_xor_b32 exec_lo, exec_lo, s14
	s_cbranch_execz .LBB23_120
; %bb.119:
	s_waitcnt lgkmcnt(0)
	v_lshl_add_u32 v39, v46, 2, v2
	ds_read_b32 v42, v39 offset:4
	v_mov_b32_e32 v39, v43
.LBB23_120:
	s_or_b32 exec_lo, exec_lo, s14
	v_add_nc_u32_e32 v47, 1, v46
	v_add_nc_u32_e32 v48, 1, v45
	v_cndmask_b32_e64 v43, v43, v44, s13
	v_cndmask_b32_e64 v44, v45, v46, s13
	;; [unrolled: 1-line block ×8, first 2 shown]
	v_cmp_lt_i32_e64 s12, v46, v16
	v_min_i32_e32 v16, 0, v6
	v_cmp_ge_i32_e64 s10, v45, v15
	v_cndmask_b32_e64 v15, v27, v28, s9
	v_cndmask_b32_e64 v33, v33, v34, s11
	v_cndmask_b32_e64 v34, v35, v36, s11
	v_add_nc_u32_e32 v27, 64, v16
	s_waitcnt lgkmcnt(0)
	v_cmp_lt_i32_e64 s11, v42, v39
	v_cndmask_b32_e64 v23, v24, v23, s7
	; wave barrier
	ds_write2_b32 v3, v4, v8 offset1:1
	ds_write2_b32 v3, v9, v10 offset0:2 offset1:3
	ds_write2_b32 v3, v11, v13 offset0:4 offset1:5
	v_min_i32_e32 v13, v6, v27
	v_cndmask_b32_e64 v25, v25, v26, s8
	s_or_b32 s10, s10, s11
	v_lshl_add_u32 v4, v23, 2, v2
	s_and_b32 s10, s12, s10
	v_add_nc_u32_e32 v8, 64, v13
	v_cndmask_b32_e64 v26, v45, v46, s10
	v_lshl_add_u32 v9, v25, 2, v2
	v_lshl_add_u32 v10, v15, 2, v2
	;; [unrolled: 1-line block ×3, first 2 shown]
	ds_write2_b32 v3, v12, v14 offset0:6 offset1:7
	v_lshl_add_u32 v12, v34, 2, v2
	; wave barrier
	v_min_i32_e32 v14, v6, v8
	v_lshl_add_u32 v23, v38, 2, v2
	v_lshl_add_u32 v25, v44, 2, v2
	;; [unrolled: 1-line block ×3, first 2 shown]
	v_min_i32_e32 v15, v6, v7
	ds_read_b32 v4, v4
	ds_read_b32 v6, v9
	;; [unrolled: 1-line block ×8, first 2 shown]
	v_sub_nc_u32_e32 v27, v14, v13
	v_cndmask_b32_e64 v21, v21, v22, s9
	v_cndmask_b32_e64 v20, v19, v20, s8
	;; [unrolled: 1-line block ×3, first 2 shown]
	v_sub_nc_u32_e32 v22, v13, v16
	v_sub_nc_u32_e32 v18, v15, v27
	v_cmp_ge_i32_e64 s7, v15, v27
	v_cndmask_b32_e64 v24, v39, v42, s10
	; wave barrier
	ds_write2_b32 v3, v17, v20 offset1:1
	ds_write2_b32 v3, v21, v29 offset0:2 offset1:3
	ds_write2_b32 v3, v33, v37 offset0:4 offset1:5
	v_cndmask_b32_e64 v19, 0, v18, s7
	v_min_i32_e32 v18, v15, v22
	v_lshl_add_u32 v17, v16, 2, v2
	s_mov_b32 s9, 0
	s_mov_b32 s8, exec_lo
	ds_write2_b32 v3, v43, v24 offset0:6 offset1:7
	; wave barrier
	v_cmpx_lt_i32_e64 v19, v18
	s_cbranch_execz .LBB23_124
; %bb.121:
	v_lshlrev_b32_e32 v20, 2, v13
	v_lshlrev_b32_e32 v21, 2, v15
	v_add3_u32 v20, v2, v20, v21
	.p2align	6
.LBB23_122:                             ; =>This Inner Loop Header: Depth=1
	v_sub_nc_u32_e32 v21, v18, v19
	v_lshrrev_b32_e32 v21, 1, v21
	v_add_nc_u32_e32 v21, v21, v19
	v_not_b32_e32 v22, v21
	v_lshl_add_u32 v23, v21, 2, v17
	v_add_nc_u32_e32 v24, 1, v21
	v_lshl_add_u32 v22, v22, 2, v20
	ds_read_b32 v23, v23
	ds_read_b32 v22, v22
	s_waitcnt lgkmcnt(0)
	v_cmp_lt_i32_e64 s7, v22, v23
	v_cndmask_b32_e64 v18, v18, v21, s7
	v_cndmask_b32_e64 v19, v24, v19, s7
	v_cmp_ge_i32_e64 s7, v19, v18
	s_or_b32 s9, s7, s9
	s_andn2_b32 exec_lo, exec_lo, s9
	s_cbranch_execnz .LBB23_122
; %bb.123:
	s_or_b32 exec_lo, exec_lo, s9
.LBB23_124:
	s_or_b32 exec_lo, exec_lo, s8
	v_add_nc_u32_e32 v15, v13, v15
	v_lshl_add_u32 v20, v19, 2, v17
	v_add_nc_u32_e32 v16, v19, v16
	v_sub_nc_u32_e32 v15, v15, v19
                                        ; implicit-def: $vgpr19
	v_cmp_le_i32_e64 s7, v13, v16
	v_lshl_add_u32 v21, v15, 2, v2
	v_cmp_gt_i32_e64 s9, v14, v15
	ds_read_b32 v17, v20
	ds_read_b32 v18, v21
	s_waitcnt lgkmcnt(0)
	v_cmp_lt_i32_e64 s8, v18, v17
	s_or_b32 s7, s7, s8
	s_and_b32 s7, s9, s7
	s_xor_b32 s8, s7, -1
	s_and_saveexec_b32 s9, s8
	s_xor_b32 s8, exec_lo, s9
; %bb.125:
	ds_read_b32 v19, v20 offset:4
                                        ; implicit-def: $vgpr21
; %bb.126:
	s_or_saveexec_b32 s8, s8
	v_mov_b32_e32 v20, v18
	s_xor_b32 exec_lo, exec_lo, s8
	s_cbranch_execz .LBB23_128
; %bb.127:
	ds_read_b32 v20, v21 offset:4
	s_waitcnt lgkmcnt(1)
	v_mov_b32_e32 v19, v17
.LBB23_128:
	s_or_b32 exec_lo, exec_lo, s8
	v_add_nc_u32_e32 v21, 1, v16
	v_add_nc_u32_e32 v22, 1, v15
	s_waitcnt lgkmcnt(0)
	v_cmp_lt_i32_e64 s9, v20, v19
	v_cndmask_b32_e64 v23, v21, v16, s7
	v_cndmask_b32_e64 v24, v15, v22, s7
                                        ; implicit-def: $vgpr21
	v_cmp_ge_i32_e64 s8, v23, v13
	v_cmp_lt_i32_e64 s10, v24, v14
	s_or_b32 s8, s8, s9
	s_and_b32 s8, s10, s8
	s_xor_b32 s9, s8, -1
	s_and_saveexec_b32 s10, s9
	s_xor_b32 s9, exec_lo, s10
; %bb.129:
	v_lshl_add_u32 v21, v23, 2, v2
	ds_read_b32 v21, v21 offset:4
; %bb.130:
	s_or_saveexec_b32 s9, s9
	v_mov_b32_e32 v22, v20
	s_xor_b32 exec_lo, exec_lo, s9
	s_cbranch_execz .LBB23_132
; %bb.131:
	s_waitcnt lgkmcnt(0)
	v_lshl_add_u32 v21, v24, 2, v2
	ds_read_b32 v22, v21 offset:4
	v_mov_b32_e32 v21, v19
.LBB23_132:
	s_or_b32 exec_lo, exec_lo, s9
	v_add_nc_u32_e32 v25, 1, v23
	v_add_nc_u32_e32 v26, 1, v24
	s_waitcnt lgkmcnt(0)
	v_cmp_lt_i32_e64 s10, v22, v21
	v_cndmask_b32_e64 v27, v25, v23, s8
	v_cndmask_b32_e64 v28, v24, v26, s8
                                        ; implicit-def: $vgpr25
	v_cmp_ge_i32_e64 s9, v27, v13
	v_cmp_lt_i32_e64 s11, v28, v14
	s_or_b32 s9, s9, s10
	s_and_b32 s9, s11, s9
	s_xor_b32 s10, s9, -1
	s_and_saveexec_b32 s11, s10
	s_xor_b32 s10, exec_lo, s11
; %bb.133:
	v_lshl_add_u32 v25, v27, 2, v2
	ds_read_b32 v25, v25 offset:4
; %bb.134:
	s_or_saveexec_b32 s10, s10
	v_mov_b32_e32 v26, v22
	s_xor_b32 exec_lo, exec_lo, s10
	s_cbranch_execz .LBB23_136
; %bb.135:
	s_waitcnt lgkmcnt(0)
	v_lshl_add_u32 v25, v28, 2, v2
	ds_read_b32 v26, v25 offset:4
	v_mov_b32_e32 v25, v21
.LBB23_136:
	s_or_b32 exec_lo, exec_lo, s10
	v_add_nc_u32_e32 v29, 1, v27
	v_add_nc_u32_e32 v30, 1, v28
	s_waitcnt lgkmcnt(0)
	v_cmp_lt_i32_e64 s11, v26, v25
	v_cndmask_b32_e64 v31, v29, v27, s9
	v_cndmask_b32_e64 v32, v28, v30, s9
                                        ; implicit-def: $vgpr29
	v_cmp_ge_i32_e64 s10, v31, v13
	v_cmp_lt_i32_e64 s12, v32, v14
	s_or_b32 s10, s10, s11
	s_and_b32 s10, s12, s10
	s_xor_b32 s11, s10, -1
	s_and_saveexec_b32 s12, s11
	s_xor_b32 s11, exec_lo, s12
; %bb.137:
	v_lshl_add_u32 v29, v31, 2, v2
	ds_read_b32 v29, v29 offset:4
; %bb.138:
	s_or_saveexec_b32 s11, s11
	v_mov_b32_e32 v30, v26
	s_xor_b32 exec_lo, exec_lo, s11
	s_cbranch_execz .LBB23_140
; %bb.139:
	s_waitcnt lgkmcnt(0)
	v_lshl_add_u32 v29, v32, 2, v2
	ds_read_b32 v30, v29 offset:4
	v_mov_b32_e32 v29, v25
.LBB23_140:
	s_or_b32 exec_lo, exec_lo, s11
	v_add_nc_u32_e32 v33, 1, v31
	v_add_nc_u32_e32 v34, 1, v32
	s_waitcnt lgkmcnt(0)
	v_cmp_lt_i32_e64 s12, v30, v29
	v_cndmask_b32_e64 v35, v33, v31, s10
	v_cndmask_b32_e64 v36, v32, v34, s10
                                        ; implicit-def: $vgpr33
	v_cmp_ge_i32_e64 s11, v35, v13
	v_cmp_lt_i32_e64 s13, v36, v14
	s_or_b32 s11, s11, s12
	s_and_b32 s11, s13, s11
	s_xor_b32 s12, s11, -1
	s_and_saveexec_b32 s13, s12
	s_xor_b32 s12, exec_lo, s13
; %bb.141:
	v_lshl_add_u32 v33, v35, 2, v2
	ds_read_b32 v33, v33 offset:4
; %bb.142:
	s_or_saveexec_b32 s12, s12
	v_mov_b32_e32 v34, v30
	s_xor_b32 exec_lo, exec_lo, s12
	s_cbranch_execz .LBB23_144
; %bb.143:
	s_waitcnt lgkmcnt(0)
	v_lshl_add_u32 v33, v36, 2, v2
	ds_read_b32 v34, v33 offset:4
	v_mov_b32_e32 v33, v29
.LBB23_144:
	s_or_b32 exec_lo, exec_lo, s12
	v_add_nc_u32_e32 v37, 1, v35
	v_add_nc_u32_e32 v38, 1, v36
	s_waitcnt lgkmcnt(0)
	v_cmp_lt_i32_e64 s13, v34, v33
	v_cndmask_b32_e64 v39, v37, v35, s11
	v_cndmask_b32_e64 v40, v36, v38, s11
                                        ; implicit-def: $vgpr37
	v_cmp_ge_i32_e64 s12, v39, v13
	v_cmp_lt_i32_e64 s14, v40, v14
	s_or_b32 s12, s12, s13
	s_and_b32 s12, s14, s12
	s_xor_b32 s13, s12, -1
	s_and_saveexec_b32 s14, s13
	s_xor_b32 s13, exec_lo, s14
; %bb.145:
	v_lshl_add_u32 v37, v39, 2, v2
	ds_read_b32 v37, v37 offset:4
; %bb.146:
	s_or_saveexec_b32 s13, s13
	v_mov_b32_e32 v38, v34
	s_xor_b32 exec_lo, exec_lo, s13
	s_cbranch_execz .LBB23_148
; %bb.147:
	s_waitcnt lgkmcnt(0)
	v_lshl_add_u32 v37, v40, 2, v2
	ds_read_b32 v38, v37 offset:4
	v_mov_b32_e32 v37, v33
.LBB23_148:
	s_or_b32 exec_lo, exec_lo, s13
	v_add_nc_u32_e32 v41, 1, v39
	v_add_nc_u32_e32 v42, 1, v40
	s_waitcnt lgkmcnt(0)
	v_cmp_lt_i32_e64 s14, v38, v37
                                        ; implicit-def: $vgpr44
                                        ; implicit-def: $vgpr43
	v_cndmask_b32_e64 v45, v41, v39, s12
	v_cndmask_b32_e64 v41, v40, v42, s12
	v_cmp_ge_i32_e64 s13, v45, v13
	v_cmp_lt_i32_e64 s15, v41, v14
	s_or_b32 s13, s13, s14
	s_and_b32 s13, s15, s13
	s_xor_b32 s14, s13, -1
	s_and_saveexec_b32 s15, s14
	s_xor_b32 s14, exec_lo, s15
; %bb.149:
	v_lshl_add_u32 v42, v45, 2, v2
	v_add_nc_u32_e32 v43, 1, v45
	ds_read_b32 v44, v42 offset:4
; %bb.150:
	s_or_saveexec_b32 s14, s14
	v_mov_b32_e32 v42, v45
	v_mov_b32_e32 v46, v38
	s_xor_b32 exec_lo, exec_lo, s14
	s_cbranch_execz .LBB23_152
; %bb.151:
	v_lshl_add_u32 v42, v41, 2, v2
	s_waitcnt lgkmcnt(0)
	v_add_nc_u32_e32 v44, 1, v41
	v_mov_b32_e32 v43, v45
	ds_read_b32 v46, v42 offset:4
	v_mov_b32_e32 v42, v41
	v_mov_b32_e32 v41, v44
	;; [unrolled: 1-line block ×3, first 2 shown]
.LBB23_152:
	s_or_b32 exec_lo, exec_lo, s14
	v_cmp_ge_i32_e64 s14, v43, v13
	s_waitcnt lgkmcnt(0)
	v_cmp_lt_i32_e64 s15, v46, v44
	v_cmp_lt_i32_e64 s16, v41, v14
	v_cndmask_b32_e64 v23, v23, v24, s8
	v_cndmask_b32_e64 v27, v27, v28, s9
	v_cndmask_b32_e64 v14, v31, v32, s10
	s_or_b32 s14, s14, s15
	v_cndmask_b32_e64 v35, v35, v36, s11
	s_and_b32 s14, s16, s14
	v_cndmask_b32_e64 v39, v39, v40, s12
	v_cndmask_b32_e64 v24, v43, v41, s14
	; wave barrier
	ds_write2_b32 v3, v4, v6 offset1:1
	ds_write2_b32 v3, v7, v8 offset0:2 offset1:3
	ds_write2_b32 v3, v9, v10 offset0:4 offset1:5
	ds_write2_b32 v3, v11, v12 offset0:6 offset1:7
	v_lshl_add_u32 v3, v23, 2, v2
	v_lshl_add_u32 v4, v27, 2, v2
	;; [unrolled: 1-line block ×6, first 2 shown]
	; wave barrier
	v_lshl_add_u32 v11, v24, 2, v2
	ds_read_b32 v24, v3
	ds_read_b32 v23, v4
	;; [unrolled: 1-line block ×7, first 2 shown]
	v_cndmask_b32_e64 v13, v44, v46, s14
	v_cndmask_b32_e64 v6, v17, v18, s7
	;; [unrolled: 1-line block ×8, first 2 shown]
	s_and_saveexec_b32 s8, vcc_lo
	s_cbranch_execz .LBB23_154
; %bb.153:
	v_cndmask_b32_e64 v15, v16, v15, s7
	v_lshl_add_u32 v2, v15, 2, v2
	ds_read_b32 v2, v2
	s_waitcnt lgkmcnt(0)
	v_add_nc_u32_e32 v6, v2, v6
.LBB23_154:
	s_or_b32 exec_lo, exec_lo, s8
	s_waitcnt lgkmcnt(6)
	v_add_nc_u32_e32 v2, v18, v24
	v_add_co_u32 v0, s7, s18, v0
	s_waitcnt lgkmcnt(5)
	v_add_nc_u32_e32 v16, v8, v23
	s_waitcnt lgkmcnt(4)
	v_add_nc_u32_e32 v19, v11, v10
	v_cndmask_b32_e64 v15, v18, v2, s0
	s_waitcnt lgkmcnt(1)
	v_add_nc_u32_e32 v2, v17, v3
	v_add_nc_u32_e32 v7, v12, v7
	;; [unrolled: 1-line block ×3, first 2 shown]
	v_add_co_ci_u32_e64 v1, null, s19, v1, s7
	v_cndmask_b32_e64 v3, v17, v2, s5
	s_waitcnt lgkmcnt(0)
	v_add_nc_u32_e32 v2, v13, v9
	v_add_co_u32 v0, s7, v0, v5
	v_cndmask_b32_e64 v10, v8, v16, s1
	v_cndmask_b32_e64 v8, v11, v19, s2
	;; [unrolled: 1-line block ×5, first 2 shown]
	v_add_co_ci_u32_e64 v1, null, 0, v1, s7
	s_and_saveexec_b32 s7, vcc_lo
	s_xor_b32 s7, exec_lo, s7
	s_cbranch_execnz .LBB23_163
; %bb.155:
	s_or_b32 exec_lo, exec_lo, s7
	s_and_saveexec_b32 s7, s0
	s_cbranch_execnz .LBB23_164
.LBB23_156:
	s_or_b32 exec_lo, exec_lo, s7
	s_and_saveexec_b32 s0, s1
	s_cbranch_execnz .LBB23_165
.LBB23_157:
	s_or_b32 exec_lo, exec_lo, s0
	s_and_saveexec_b32 s0, s2
	s_cbranch_execnz .LBB23_166
.LBB23_158:
	s_or_b32 exec_lo, exec_lo, s0
	s_and_saveexec_b32 s0, s3
	s_cbranch_execnz .LBB23_167
.LBB23_159:
	s_or_b32 exec_lo, exec_lo, s0
	s_and_saveexec_b32 s0, s4
	s_cbranch_execnz .LBB23_168
.LBB23_160:
	s_or_b32 exec_lo, exec_lo, s0
	s_and_saveexec_b32 s0, s5
	s_cbranch_execnz .LBB23_169
.LBB23_161:
	s_or_b32 exec_lo, exec_lo, s0
	s_and_saveexec_b32 s0, s6
	s_cbranch_execnz .LBB23_170
.LBB23_162:
	s_endpgm
.LBB23_163:
	global_store_dword v[0:1], v6, off
	s_or_b32 exec_lo, exec_lo, s7
	s_and_saveexec_b32 s7, s0
	s_cbranch_execz .LBB23_156
.LBB23_164:
	global_store_dword v[0:1], v15, off offset:4
	s_or_b32 exec_lo, exec_lo, s7
	s_and_saveexec_b32 s0, s1
	s_cbranch_execz .LBB23_157
.LBB23_165:
	global_store_dword v[0:1], v10, off offset:8
	s_or_b32 exec_lo, exec_lo, s0
	s_and_saveexec_b32 s0, s2
	s_cbranch_execz .LBB23_158
.LBB23_166:
	global_store_dword v[0:1], v8, off offset:12
	s_or_b32 exec_lo, exec_lo, s0
	s_and_saveexec_b32 s0, s3
	s_cbranch_execz .LBB23_159
.LBB23_167:
	global_store_dword v[0:1], v7, off offset:16
	s_or_b32 exec_lo, exec_lo, s0
	s_and_saveexec_b32 s0, s4
	s_cbranch_execz .LBB23_160
.LBB23_168:
	global_store_dword v[0:1], v4, off offset:20
	s_or_b32 exec_lo, exec_lo, s0
	s_and_saveexec_b32 s0, s5
	s_cbranch_execz .LBB23_161
.LBB23_169:
	global_store_dword v[0:1], v3, off offset:24
	s_or_b32 exec_lo, exec_lo, s0
	s_and_saveexec_b32 s0, s6
	s_cbranch_execz .LBB23_162
.LBB23_170:
	global_store_dword v[0:1], v2, off offset:28
	s_endpgm
	.section	.rodata,"a",@progbits
	.p2align	6, 0x0
	.amdhsa_kernel _Z20sort_pairs_segmentedILj256ELj16ELj8EiN10test_utils4lessEEvPKT2_PS2_PKjT3_
		.amdhsa_group_segment_fixed_size 8256
		.amdhsa_private_segment_fixed_size 0
		.amdhsa_kernarg_size 28
		.amdhsa_user_sgpr_count 6
		.amdhsa_user_sgpr_private_segment_buffer 1
		.amdhsa_user_sgpr_dispatch_ptr 0
		.amdhsa_user_sgpr_queue_ptr 0
		.amdhsa_user_sgpr_kernarg_segment_ptr 1
		.amdhsa_user_sgpr_dispatch_id 0
		.amdhsa_user_sgpr_flat_scratch_init 0
		.amdhsa_user_sgpr_private_segment_size 0
		.amdhsa_wavefront_size32 1
		.amdhsa_uses_dynamic_stack 0
		.amdhsa_system_sgpr_private_segment_wavefront_offset 0
		.amdhsa_system_sgpr_workgroup_id_x 1
		.amdhsa_system_sgpr_workgroup_id_y 0
		.amdhsa_system_sgpr_workgroup_id_z 0
		.amdhsa_system_sgpr_workgroup_info 0
		.amdhsa_system_vgpr_workitem_id 0
		.amdhsa_next_free_vgpr 50
		.amdhsa_next_free_sgpr 20
		.amdhsa_reserve_vcc 1
		.amdhsa_reserve_flat_scratch 0
		.amdhsa_float_round_mode_32 0
		.amdhsa_float_round_mode_16_64 0
		.amdhsa_float_denorm_mode_32 3
		.amdhsa_float_denorm_mode_16_64 3
		.amdhsa_dx10_clamp 1
		.amdhsa_ieee_mode 1
		.amdhsa_fp16_overflow 0
		.amdhsa_workgroup_processor_mode 1
		.amdhsa_memory_ordered 1
		.amdhsa_forward_progress 1
		.amdhsa_shared_vgpr_count 0
		.amdhsa_exception_fp_ieee_invalid_op 0
		.amdhsa_exception_fp_denorm_src 0
		.amdhsa_exception_fp_ieee_div_zero 0
		.amdhsa_exception_fp_ieee_overflow 0
		.amdhsa_exception_fp_ieee_underflow 0
		.amdhsa_exception_fp_ieee_inexact 0
		.amdhsa_exception_int_div_zero 0
	.end_amdhsa_kernel
	.section	.text._Z20sort_pairs_segmentedILj256ELj16ELj8EiN10test_utils4lessEEvPKT2_PS2_PKjT3_,"axG",@progbits,_Z20sort_pairs_segmentedILj256ELj16ELj8EiN10test_utils4lessEEvPKT2_PS2_PKjT3_,comdat
.Lfunc_end23:
	.size	_Z20sort_pairs_segmentedILj256ELj16ELj8EiN10test_utils4lessEEvPKT2_PS2_PKjT3_, .Lfunc_end23-_Z20sort_pairs_segmentedILj256ELj16ELj8EiN10test_utils4lessEEvPKT2_PS2_PKjT3_
                                        ; -- End function
	.set _Z20sort_pairs_segmentedILj256ELj16ELj8EiN10test_utils4lessEEvPKT2_PS2_PKjT3_.num_vgpr, 50
	.set _Z20sort_pairs_segmentedILj256ELj16ELj8EiN10test_utils4lessEEvPKT2_PS2_PKjT3_.num_agpr, 0
	.set _Z20sort_pairs_segmentedILj256ELj16ELj8EiN10test_utils4lessEEvPKT2_PS2_PKjT3_.numbered_sgpr, 20
	.set _Z20sort_pairs_segmentedILj256ELj16ELj8EiN10test_utils4lessEEvPKT2_PS2_PKjT3_.num_named_barrier, 0
	.set _Z20sort_pairs_segmentedILj256ELj16ELj8EiN10test_utils4lessEEvPKT2_PS2_PKjT3_.private_seg_size, 0
	.set _Z20sort_pairs_segmentedILj256ELj16ELj8EiN10test_utils4lessEEvPKT2_PS2_PKjT3_.uses_vcc, 1
	.set _Z20sort_pairs_segmentedILj256ELj16ELj8EiN10test_utils4lessEEvPKT2_PS2_PKjT3_.uses_flat_scratch, 0
	.set _Z20sort_pairs_segmentedILj256ELj16ELj8EiN10test_utils4lessEEvPKT2_PS2_PKjT3_.has_dyn_sized_stack, 0
	.set _Z20sort_pairs_segmentedILj256ELj16ELj8EiN10test_utils4lessEEvPKT2_PS2_PKjT3_.has_recursion, 0
	.set _Z20sort_pairs_segmentedILj256ELj16ELj8EiN10test_utils4lessEEvPKT2_PS2_PKjT3_.has_indirect_call, 0
	.section	.AMDGPU.csdata,"",@progbits
; Kernel info:
; codeLenInByte = 8440
; TotalNumSgprs: 22
; NumVgprs: 50
; ScratchSize: 0
; MemoryBound: 0
; FloatMode: 240
; IeeeMode: 1
; LDSByteSize: 8256 bytes/workgroup (compile time only)
; SGPRBlocks: 0
; VGPRBlocks: 6
; NumSGPRsForWavesPerEU: 22
; NumVGPRsForWavesPerEU: 50
; Occupancy: 16
; WaveLimiterHint : 0
; COMPUTE_PGM_RSRC2:SCRATCH_EN: 0
; COMPUTE_PGM_RSRC2:USER_SGPR: 6
; COMPUTE_PGM_RSRC2:TRAP_HANDLER: 0
; COMPUTE_PGM_RSRC2:TGID_X_EN: 1
; COMPUTE_PGM_RSRC2:TGID_Y_EN: 0
; COMPUTE_PGM_RSRC2:TGID_Z_EN: 0
; COMPUTE_PGM_RSRC2:TIDIG_COMP_CNT: 0
	.section	.text._Z9sort_keysILj256ELj32ELj1EiN10test_utils4lessEEvPKT2_PS2_T3_,"axG",@progbits,_Z9sort_keysILj256ELj32ELj1EiN10test_utils4lessEEvPKT2_PS2_T3_,comdat
	.protected	_Z9sort_keysILj256ELj32ELj1EiN10test_utils4lessEEvPKT2_PS2_T3_ ; -- Begin function _Z9sort_keysILj256ELj32ELj1EiN10test_utils4lessEEvPKT2_PS2_T3_
	.globl	_Z9sort_keysILj256ELj32ELj1EiN10test_utils4lessEEvPKT2_PS2_T3_
	.p2align	8
	.type	_Z9sort_keysILj256ELj32ELj1EiN10test_utils4lessEEvPKT2_PS2_T3_,@function
_Z9sort_keysILj256ELj32ELj1EiN10test_utils4lessEEvPKT2_PS2_T3_: ; @_Z9sort_keysILj256ELj32ELj1EiN10test_utils4lessEEvPKT2_PS2_T3_
; %bb.0:
	s_load_dwordx4 s[0:3], s[4:5], 0x0
	s_mov_b32 s7, 0
	s_lshl_b32 s6, s6, 8
	v_lshlrev_b32_e32 v1, 2, v0
	s_lshl_b64 s[4:5], s[6:7], 2
	v_mbcnt_lo_u32_b32 v2, -1, 0
	v_lshrrev_b32_e32 v0, 5, v0
	v_mov_b32_e32 v7, 0
	v_and_b32_e32 v5, 30, v2
	v_and_b32_e32 v6, 1, v2
	v_lshlrev_b32_e32 v9, 2, v2
	v_or_b32_e32 v4, 1, v5
	v_sub_nc_u32_e32 v3, v4, v5
	s_waitcnt lgkmcnt(0)
	s_add_u32 s0, s0, s4
	s_addc_u32 s1, s1, s5
	global_load_dword v8, v1, s[0:1]
	v_min_i32_e32 v10, v6, v3
	v_mad_u32_u24 v3, 0x84, v0, v9
	v_mul_u32_u24_e32 v0, 0x84, v0
	s_mov_b32 s0, exec_lo
	; wave barrier
	s_waitcnt vmcnt(0)
	ds_write_b32 v3, v8
	; wave barrier
	v_cmpx_lt_i32_e32 0, v10
	s_cbranch_execz .LBB24_4
; %bb.1:
	v_lshl_add_u32 v8, v5, 2, v0
	v_mov_b32_e32 v9, 1
	v_mov_b32_e32 v7, 0
	v_lshl_add_u32 v10, v6, 2, v8
	.p2align	6
.LBB24_2:                               ; =>This Inner Loop Header: Depth=1
	v_sub_nc_u32_e32 v11, v9, v7
	v_lshrrev_b32_e32 v11, 1, v11
	v_add_nc_u32_e32 v11, v11, v7
	v_not_b32_e32 v12, v11
	v_lshl_add_u32 v13, v11, 2, v8
	v_add_nc_u32_e32 v14, 1, v11
	v_lshl_add_u32 v12, v12, 2, v10
	ds_read_b32 v13, v13
	ds_read_b32 v12, v12 offset:4
	s_waitcnt lgkmcnt(0)
	v_cmp_lt_i32_e32 vcc_lo, v12, v13
	v_cndmask_b32_e32 v9, v9, v11, vcc_lo
	v_cndmask_b32_e32 v7, v14, v7, vcc_lo
	v_cmp_ge_i32_e32 vcc_lo, v7, v9
	s_or_b32 s7, vcc_lo, s7
	s_andn2_b32 exec_lo, exec_lo, s7
	s_cbranch_execnz .LBB24_2
; %bb.3:
	s_or_b32 exec_lo, exec_lo, s7
.LBB24_4:
	s_or_b32 exec_lo, exec_lo, s0
	v_add_nc_u32_e32 v8, v5, v6
	v_lshlrev_b32_e32 v9, 2, v7
	v_lshlrev_b32_e32 v5, 2, v5
	v_cmp_lt_i32_e32 vcc_lo, 0, v7
	v_sub_nc_u32_e32 v8, v8, v7
	v_add3_u32 v5, v0, v9, v5
	v_lshl_add_u32 v8, v8, 2, v0
	ds_read_b32 v9, v5
	ds_read_b32 v10, v8 offset:4
	v_add_nc_u32_e32 v8, v4, v6
	v_and_b32_e32 v5, 28, v2
	; wave barrier
	v_sub_nc_u32_e32 v11, v8, v7
	v_or_b32_e32 v6, 2, v5
	v_and_b32_e32 v8, 3, v2
	v_cmp_ge_i32_e64 s1, v4, v11
	v_sub_nc_u32_e32 v12, v6, v5
	v_sub_nc_u32_e64 v7, v8, 2 clamp
	v_min_i32_e32 v4, v8, v12
	s_waitcnt lgkmcnt(0)
	v_cmp_lt_i32_e64 s0, v10, v9
	s_or_b32 s0, vcc_lo, s0
	s_and_b32 vcc_lo, s1, s0
	s_mov_b32 s0, 0
	v_cndmask_b32_e32 v9, v9, v10, vcc_lo
	s_mov_b32 s1, exec_lo
	ds_write_b32 v3, v9
	; wave barrier
	v_cmpx_lt_i32_e64 v7, v4
	s_cbranch_execz .LBB24_8
; %bb.5:
	v_lshl_add_u32 v9, v5, 2, v0
	v_lshl_add_u32 v10, v8, 2, v9
	.p2align	6
.LBB24_6:                               ; =>This Inner Loop Header: Depth=1
	v_sub_nc_u32_e32 v11, v4, v7
	v_lshrrev_b32_e32 v11, 1, v11
	v_add_nc_u32_e32 v11, v11, v7
	v_not_b32_e32 v12, v11
	v_lshl_add_u32 v13, v11, 2, v9
	v_add_nc_u32_e32 v14, 1, v11
	v_lshl_add_u32 v12, v12, 2, v10
	ds_read_b32 v13, v13
	ds_read_b32 v12, v12 offset:8
	s_waitcnt lgkmcnt(0)
	v_cmp_lt_i32_e32 vcc_lo, v12, v13
	v_cndmask_b32_e32 v4, v4, v11, vcc_lo
	v_cndmask_b32_e32 v7, v14, v7, vcc_lo
	v_cmp_ge_i32_e32 vcc_lo, v7, v4
	s_or_b32 s0, vcc_lo, s0
	s_andn2_b32 exec_lo, exec_lo, s0
	s_cbranch_execnz .LBB24_6
; %bb.7:
	s_or_b32 exec_lo, exec_lo, s0
.LBB24_8:
	s_or_b32 exec_lo, exec_lo, s1
	v_add_nc_u32_e32 v4, v5, v8
	v_lshlrev_b32_e32 v9, 2, v7
	v_lshlrev_b32_e32 v10, 2, v5
	v_add_nc_u32_e32 v6, v6, v8
	v_add_nc_u32_e32 v8, 4, v5
	v_sub_nc_u32_e32 v4, v4, v7
	v_cmp_lt_i32_e32 vcc_lo, 1, v7
	v_add3_u32 v9, v0, v9, v10
	v_sub_nc_u32_e32 v6, v6, v7
	v_and_b32_e32 v7, 7, v2
	v_lshl_add_u32 v4, v4, 2, v0
	ds_read_b32 v9, v9
	ds_read_b32 v10, v4 offset:8
	v_and_b32_e32 v4, 24, v2
	v_cmp_gt_i32_e64 s1, v8, v6
	v_sub_nc_u32_e64 v6, v7, 4 clamp
	; wave barrier
	v_or_b32_e32 v5, 4, v4
	v_sub_nc_u32_e32 v11, v5, v4
	v_min_i32_e32 v8, v7, v11
	s_waitcnt lgkmcnt(0)
	v_cmp_lt_i32_e64 s0, v10, v9
	s_or_b32 s0, vcc_lo, s0
	s_and_b32 vcc_lo, s1, s0
	s_mov_b32 s0, exec_lo
	v_cndmask_b32_e32 v9, v9, v10, vcc_lo
	ds_write_b32 v3, v9
	; wave barrier
	v_cmpx_lt_i32_e64 v6, v8
	s_cbranch_execz .LBB24_12
; %bb.9:
	v_lshl_add_u32 v9, v4, 2, v0
	s_mov_b32 s1, 0
	v_lshl_add_u32 v10, v7, 2, v9
	.p2align	6
.LBB24_10:                              ; =>This Inner Loop Header: Depth=1
	v_sub_nc_u32_e32 v11, v8, v6
	v_lshrrev_b32_e32 v11, 1, v11
	v_add_nc_u32_e32 v11, v11, v6
	v_not_b32_e32 v12, v11
	v_lshl_add_u32 v13, v11, 2, v9
	v_add_nc_u32_e32 v14, 1, v11
	v_lshl_add_u32 v12, v12, 2, v10
	ds_read_b32 v13, v13
	ds_read_b32 v12, v12 offset:16
	s_waitcnt lgkmcnt(0)
	v_cmp_lt_i32_e32 vcc_lo, v12, v13
	v_cndmask_b32_e32 v8, v8, v11, vcc_lo
	v_cndmask_b32_e32 v6, v14, v6, vcc_lo
	v_cmp_ge_i32_e32 vcc_lo, v6, v8
	s_or_b32 s1, vcc_lo, s1
	s_andn2_b32 exec_lo, exec_lo, s1
	s_cbranch_execnz .LBB24_10
; %bb.11:
	s_or_b32 exec_lo, exec_lo, s1
.LBB24_12:
	s_or_b32 exec_lo, exec_lo, s0
	v_add_nc_u32_e32 v8, v4, v7
	v_lshlrev_b32_e32 v9, 2, v6
	v_lshlrev_b32_e32 v10, 2, v4
	v_add_nc_u32_e32 v5, v5, v7
	v_add_nc_u32_e32 v7, 8, v4
	v_sub_nc_u32_e32 v8, v8, v6
	v_cmp_lt_i32_e32 vcc_lo, 3, v6
	v_add3_u32 v9, v0, v9, v10
	v_sub_nc_u32_e32 v11, v5, v6
	v_and_b32_e32 v5, 15, v2
	v_lshl_add_u32 v8, v8, 2, v0
	ds_read_b32 v9, v9
	ds_read_b32 v10, v8 offset:16
	v_and_b32_e32 v8, 16, v2
	v_cmp_gt_i32_e64 s1, v7, v11
	v_sub_nc_u32_e64 v6, v5, 8 clamp
	; wave barrier
	v_or_b32_e32 v4, 8, v8
	v_sub_nc_u32_e32 v12, v4, v8
	v_min_i32_e32 v7, v5, v12
	s_waitcnt lgkmcnt(0)
	v_cmp_lt_i32_e64 s0, v10, v9
	s_or_b32 s0, vcc_lo, s0
	s_and_b32 vcc_lo, s1, s0
	s_mov_b32 s0, exec_lo
	v_cndmask_b32_e32 v9, v9, v10, vcc_lo
	ds_write_b32 v3, v9
	; wave barrier
	v_cmpx_lt_i32_e64 v6, v7
	s_cbranch_execz .LBB24_16
; %bb.13:
	v_lshl_add_u32 v9, v8, 2, v0
	s_mov_b32 s1, 0
	v_lshl_add_u32 v10, v5, 2, v9
	.p2align	6
.LBB24_14:                              ; =>This Inner Loop Header: Depth=1
	v_sub_nc_u32_e32 v11, v7, v6
	v_lshrrev_b32_e32 v11, 1, v11
	v_add_nc_u32_e32 v11, v11, v6
	v_not_b32_e32 v12, v11
	v_lshl_add_u32 v13, v11, 2, v9
	v_add_nc_u32_e32 v14, 1, v11
	v_lshl_add_u32 v12, v12, 2, v10
	ds_read_b32 v13, v13
	ds_read_b32 v12, v12 offset:32
	s_waitcnt lgkmcnt(0)
	v_cmp_lt_i32_e32 vcc_lo, v12, v13
	v_cndmask_b32_e32 v7, v7, v11, vcc_lo
	v_cndmask_b32_e32 v6, v14, v6, vcc_lo
	v_cmp_ge_i32_e32 vcc_lo, v6, v7
	s_or_b32 s1, vcc_lo, s1
	s_andn2_b32 exec_lo, exec_lo, s1
	s_cbranch_execnz .LBB24_14
; %bb.15:
	s_or_b32 exec_lo, exec_lo, s1
.LBB24_16:
	s_or_b32 exec_lo, exec_lo, s0
	v_add_nc_u32_e32 v7, v8, v5
	v_lshlrev_b32_e32 v9, 2, v6
	v_lshlrev_b32_e32 v10, 2, v8
	v_add_nc_u32_e32 v4, v4, v5
	v_add_nc_u32_e32 v5, 16, v8
	v_sub_nc_u32_e32 v7, v7, v6
	v_cmp_lt_i32_e32 vcc_lo, 7, v6
	v_add3_u32 v9, v0, v9, v10
	v_sub_nc_u32_e32 v4, v4, v6
	v_lshl_add_u32 v7, v7, 2, v0
	ds_read_b32 v9, v9
	ds_read_b32 v7, v7 offset:32
	v_cmp_gt_i32_e64 s1, v5, v4
	v_sub_nc_u32_e64 v4, v2, 16 clamp
	v_min_u32_e32 v5, 16, v2
	; wave barrier
	s_waitcnt lgkmcnt(0)
	v_cmp_lt_i32_e64 s0, v7, v9
	s_or_b32 s0, vcc_lo, s0
	s_and_b32 vcc_lo, s1, s0
	s_mov_b32 s0, exec_lo
	v_cndmask_b32_e32 v6, v9, v7, vcc_lo
	ds_write_b32 v3, v6
	; wave barrier
	v_cmpx_lt_u32_e64 v4, v5
	s_cbranch_execz .LBB24_20
; %bb.17:
	s_mov_b32 s1, 0
	.p2align	6
.LBB24_18:                              ; =>This Inner Loop Header: Depth=1
	v_sub_nc_u32_e32 v6, v5, v4
	v_lshrrev_b32_e32 v6, 1, v6
	v_add_nc_u32_e32 v6, v6, v4
	v_not_b32_e32 v7, v6
	v_lshl_add_u32 v8, v6, 2, v0
	v_add_nc_u32_e32 v9, 1, v6
	v_lshl_add_u32 v7, v7, 2, v3
	ds_read_b32 v8, v8
	ds_read_b32 v7, v7 offset:64
	s_waitcnt lgkmcnt(0)
	v_cmp_lt_i32_e32 vcc_lo, v7, v8
	v_cndmask_b32_e32 v5, v5, v6, vcc_lo
	v_cndmask_b32_e32 v4, v9, v4, vcc_lo
	v_cmp_ge_i32_e32 vcc_lo, v4, v5
	s_or_b32 s1, vcc_lo, s1
	s_andn2_b32 exec_lo, exec_lo, s1
	s_cbranch_execnz .LBB24_18
; %bb.19:
	s_or_b32 exec_lo, exec_lo, s1
.LBB24_20:
	s_or_b32 exec_lo, exec_lo, s0
	v_sub_nc_u32_e32 v2, v2, v4
	v_lshl_add_u32 v3, v4, 2, v0
	v_cmp_lt_i32_e32 vcc_lo, 15, v4
	v_lshl_add_u32 v0, v2, 2, v0
	v_add_nc_u32_e32 v2, 16, v2
	ds_read_b32 v3, v3
	ds_read_b32 v0, v0 offset:64
	v_cmp_gt_i32_e64 s1, 32, v2
	s_waitcnt lgkmcnt(0)
	v_cmp_lt_i32_e64 s0, v0, v3
	s_or_b32 s0, vcc_lo, s0
	s_and_b32 vcc_lo, s1, s0
	s_add_u32 s0, s2, s4
	v_cndmask_b32_e32 v0, v3, v0, vcc_lo
	s_addc_u32 s1, s3, s5
	global_store_dword v1, v0, s[0:1]
	s_endpgm
	.section	.rodata,"a",@progbits
	.p2align	6, 0x0
	.amdhsa_kernel _Z9sort_keysILj256ELj32ELj1EiN10test_utils4lessEEvPKT2_PS2_T3_
		.amdhsa_group_segment_fixed_size 1056
		.amdhsa_private_segment_fixed_size 0
		.amdhsa_kernarg_size 20
		.amdhsa_user_sgpr_count 6
		.amdhsa_user_sgpr_private_segment_buffer 1
		.amdhsa_user_sgpr_dispatch_ptr 0
		.amdhsa_user_sgpr_queue_ptr 0
		.amdhsa_user_sgpr_kernarg_segment_ptr 1
		.amdhsa_user_sgpr_dispatch_id 0
		.amdhsa_user_sgpr_flat_scratch_init 0
		.amdhsa_user_sgpr_private_segment_size 0
		.amdhsa_wavefront_size32 1
		.amdhsa_uses_dynamic_stack 0
		.amdhsa_system_sgpr_private_segment_wavefront_offset 0
		.amdhsa_system_sgpr_workgroup_id_x 1
		.amdhsa_system_sgpr_workgroup_id_y 0
		.amdhsa_system_sgpr_workgroup_id_z 0
		.amdhsa_system_sgpr_workgroup_info 0
		.amdhsa_system_vgpr_workitem_id 0
		.amdhsa_next_free_vgpr 15
		.amdhsa_next_free_sgpr 8
		.amdhsa_reserve_vcc 1
		.amdhsa_reserve_flat_scratch 0
		.amdhsa_float_round_mode_32 0
		.amdhsa_float_round_mode_16_64 0
		.amdhsa_float_denorm_mode_32 3
		.amdhsa_float_denorm_mode_16_64 3
		.amdhsa_dx10_clamp 1
		.amdhsa_ieee_mode 1
		.amdhsa_fp16_overflow 0
		.amdhsa_workgroup_processor_mode 1
		.amdhsa_memory_ordered 1
		.amdhsa_forward_progress 1
		.amdhsa_shared_vgpr_count 0
		.amdhsa_exception_fp_ieee_invalid_op 0
		.amdhsa_exception_fp_denorm_src 0
		.amdhsa_exception_fp_ieee_div_zero 0
		.amdhsa_exception_fp_ieee_overflow 0
		.amdhsa_exception_fp_ieee_underflow 0
		.amdhsa_exception_fp_ieee_inexact 0
		.amdhsa_exception_int_div_zero 0
	.end_amdhsa_kernel
	.section	.text._Z9sort_keysILj256ELj32ELj1EiN10test_utils4lessEEvPKT2_PS2_T3_,"axG",@progbits,_Z9sort_keysILj256ELj32ELj1EiN10test_utils4lessEEvPKT2_PS2_T3_,comdat
.Lfunc_end24:
	.size	_Z9sort_keysILj256ELj32ELj1EiN10test_utils4lessEEvPKT2_PS2_T3_, .Lfunc_end24-_Z9sort_keysILj256ELj32ELj1EiN10test_utils4lessEEvPKT2_PS2_T3_
                                        ; -- End function
	.set _Z9sort_keysILj256ELj32ELj1EiN10test_utils4lessEEvPKT2_PS2_T3_.num_vgpr, 15
	.set _Z9sort_keysILj256ELj32ELj1EiN10test_utils4lessEEvPKT2_PS2_T3_.num_agpr, 0
	.set _Z9sort_keysILj256ELj32ELj1EiN10test_utils4lessEEvPKT2_PS2_T3_.numbered_sgpr, 8
	.set _Z9sort_keysILj256ELj32ELj1EiN10test_utils4lessEEvPKT2_PS2_T3_.num_named_barrier, 0
	.set _Z9sort_keysILj256ELj32ELj1EiN10test_utils4lessEEvPKT2_PS2_T3_.private_seg_size, 0
	.set _Z9sort_keysILj256ELj32ELj1EiN10test_utils4lessEEvPKT2_PS2_T3_.uses_vcc, 1
	.set _Z9sort_keysILj256ELj32ELj1EiN10test_utils4lessEEvPKT2_PS2_T3_.uses_flat_scratch, 0
	.set _Z9sort_keysILj256ELj32ELj1EiN10test_utils4lessEEvPKT2_PS2_T3_.has_dyn_sized_stack, 0
	.set _Z9sort_keysILj256ELj32ELj1EiN10test_utils4lessEEvPKT2_PS2_T3_.has_recursion, 0
	.set _Z9sort_keysILj256ELj32ELj1EiN10test_utils4lessEEvPKT2_PS2_T3_.has_indirect_call, 0
	.section	.AMDGPU.csdata,"",@progbits
; Kernel info:
; codeLenInByte = 1532
; TotalNumSgprs: 10
; NumVgprs: 15
; ScratchSize: 0
; MemoryBound: 0
; FloatMode: 240
; IeeeMode: 1
; LDSByteSize: 1056 bytes/workgroup (compile time only)
; SGPRBlocks: 0
; VGPRBlocks: 1
; NumSGPRsForWavesPerEU: 10
; NumVGPRsForWavesPerEU: 15
; Occupancy: 16
; WaveLimiterHint : 0
; COMPUTE_PGM_RSRC2:SCRATCH_EN: 0
; COMPUTE_PGM_RSRC2:USER_SGPR: 6
; COMPUTE_PGM_RSRC2:TRAP_HANDLER: 0
; COMPUTE_PGM_RSRC2:TGID_X_EN: 1
; COMPUTE_PGM_RSRC2:TGID_Y_EN: 0
; COMPUTE_PGM_RSRC2:TGID_Z_EN: 0
; COMPUTE_PGM_RSRC2:TIDIG_COMP_CNT: 0
	.section	.text._Z10sort_pairsILj256ELj32ELj1EiN10test_utils4lessEEvPKT2_PS2_T3_,"axG",@progbits,_Z10sort_pairsILj256ELj32ELj1EiN10test_utils4lessEEvPKT2_PS2_T3_,comdat
	.protected	_Z10sort_pairsILj256ELj32ELj1EiN10test_utils4lessEEvPKT2_PS2_T3_ ; -- Begin function _Z10sort_pairsILj256ELj32ELj1EiN10test_utils4lessEEvPKT2_PS2_T3_
	.globl	_Z10sort_pairsILj256ELj32ELj1EiN10test_utils4lessEEvPKT2_PS2_T3_
	.p2align	8
	.type	_Z10sort_pairsILj256ELj32ELj1EiN10test_utils4lessEEvPKT2_PS2_T3_,@function
_Z10sort_pairsILj256ELj32ELj1EiN10test_utils4lessEEvPKT2_PS2_T3_: ; @_Z10sort_pairsILj256ELj32ELj1EiN10test_utils4lessEEvPKT2_PS2_T3_
; %bb.0:
	s_load_dwordx4 s[0:3], s[4:5], 0x0
	s_mov_b32 s7, 0
	s_lshl_b32 s6, s6, 8
	v_lshlrev_b32_e32 v1, 2, v0
	s_lshl_b64 s[4:5], s[6:7], 2
	v_mbcnt_lo_u32_b32 v2, -1, 0
	v_lshrrev_b32_e32 v3, 5, v0
	v_and_b32_e32 v5, 30, v2
	v_and_b32_e32 v7, 1, v2
	v_lshlrev_b32_e32 v0, 2, v2
	v_or_b32_e32 v6, 1, v5
	v_lshlrev_b32_e32 v9, 2, v5
	v_mad_u32_u24 v0, 0x84, v3, v0
	v_sub_nc_u32_e32 v8, v6, v5
	s_waitcnt lgkmcnt(0)
	s_add_u32 s0, s0, s4
	s_addc_u32 s1, s1, s5
	v_mad_u32_u24 v9, 0x84, v3, v9
	global_load_dword v4, v1, s[0:1]
	v_min_i32_e32 v10, v7, v8
	v_mov_b32_e32 v8, 0
	s_mov_b32 s0, exec_lo
	; wave barrier
	s_waitcnt vmcnt(0)
	ds_write_b32 v0, v4
	; wave barrier
	v_cmpx_lt_i32_e32 0, v10
	s_cbranch_execz .LBB25_4
; %bb.1:
	v_lshl_add_u32 v10, v7, 2, v9
	v_mov_b32_e32 v11, 1
	v_mov_b32_e32 v8, 0
	.p2align	6
.LBB25_2:                               ; =>This Inner Loop Header: Depth=1
	v_sub_nc_u32_e32 v12, v11, v8
	v_lshrrev_b32_e32 v12, 1, v12
	v_add_nc_u32_e32 v12, v12, v8
	v_not_b32_e32 v13, v12
	v_lshl_add_u32 v14, v12, 2, v9
	v_add_nc_u32_e32 v15, 1, v12
	v_lshl_add_u32 v13, v13, 2, v10
	ds_read_b32 v14, v14
	ds_read_b32 v13, v13 offset:4
	s_waitcnt lgkmcnt(0)
	v_cmp_lt_i32_e32 vcc_lo, v13, v14
	v_cndmask_b32_e32 v11, v11, v12, vcc_lo
	v_cndmask_b32_e32 v8, v15, v8, vcc_lo
	v_cmp_ge_i32_e32 vcc_lo, v8, v11
	s_or_b32 s7, vcc_lo, s7
	s_andn2_b32 exec_lo, exec_lo, s7
	s_cbranch_execnz .LBB25_2
; %bb.3:
	s_or_b32 exec_lo, exec_lo, s7
.LBB25_4:
	s_or_b32 exec_lo, exec_lo, s0
	v_add_nc_u32_e32 v10, v5, v7
	v_mul_u32_u24_e32 v3, 0x84, v3
	v_lshl_add_u32 v9, v8, 2, v9
	v_add_nc_u32_e32 v7, v6, v7
	v_cmp_lt_i32_e32 vcc_lo, 0, v8
	v_sub_nc_u32_e32 v10, v10, v8
	v_add_nc_u32_e32 v5, v8, v5
	v_add_nc_u32_e32 v4, 1, v4
	v_sub_nc_u32_e32 v7, v7, v8
	v_and_b32_e32 v8, 3, v2
	v_lshl_add_u32 v10, v10, 2, v3
	ds_read_b32 v9, v9
	ds_read_b32 v10, v10 offset:4
	v_cmp_ge_i32_e64 s1, v6, v7
	; wave barrier
	ds_write_b32 v0, v4
	; wave barrier
	s_waitcnt lgkmcnt(1)
	v_cmp_lt_i32_e64 s0, v10, v9
	s_or_b32 s0, vcc_lo, s0
	s_and_b32 vcc_lo, s1, s0
	s_mov_b32 s0, 0
	v_cndmask_b32_e32 v6, v5, v7, vcc_lo
	v_and_b32_e32 v5, 28, v2
	v_cndmask_b32_e32 v11, v9, v10, vcc_lo
	s_mov_b32 s1, exec_lo
	v_lshl_add_u32 v6, v6, 2, v3
	v_or_b32_e32 v7, 2, v5
	ds_read_b32 v4, v6
	v_sub_nc_u32_e32 v9, v7, v5
	v_sub_nc_u32_e64 v6, v8, 2 clamp
	; wave barrier
	ds_write_b32 v0, v11
	v_min_i32_e32 v10, v8, v9
	v_lshl_add_u32 v9, v5, 2, v3
	; wave barrier
	v_cmpx_lt_i32_e64 v6, v10
	s_cbranch_execz .LBB25_8
; %bb.5:
	v_lshl_add_u32 v11, v8, 2, v9
	.p2align	6
.LBB25_6:                               ; =>This Inner Loop Header: Depth=1
	v_sub_nc_u32_e32 v12, v10, v6
	v_lshrrev_b32_e32 v12, 1, v12
	v_add_nc_u32_e32 v12, v12, v6
	v_not_b32_e32 v13, v12
	v_lshl_add_u32 v14, v12, 2, v9
	v_add_nc_u32_e32 v15, 1, v12
	v_lshl_add_u32 v13, v13, 2, v11
	ds_read_b32 v14, v14
	ds_read_b32 v13, v13 offset:8
	s_waitcnt lgkmcnt(0)
	v_cmp_lt_i32_e32 vcc_lo, v13, v14
	v_cndmask_b32_e32 v10, v10, v12, vcc_lo
	v_cndmask_b32_e32 v6, v15, v6, vcc_lo
	v_cmp_ge_i32_e32 vcc_lo, v6, v10
	s_or_b32 s0, vcc_lo, s0
	s_andn2_b32 exec_lo, exec_lo, s0
	s_cbranch_execnz .LBB25_6
; %bb.7:
	s_or_b32 exec_lo, exec_lo, s0
.LBB25_8:
	s_or_b32 exec_lo, exec_lo, s1
	v_add_nc_u32_e32 v10, v5, v8
	v_lshl_add_u32 v9, v6, 2, v9
	v_add_nc_u32_e32 v7, v7, v8
	v_add_nc_u32_e32 v8, 4, v5
	v_cmp_lt_i32_e32 vcc_lo, 1, v6
	v_sub_nc_u32_e32 v10, v10, v6
	v_add_nc_u32_e32 v5, v6, v5
	v_sub_nc_u32_e32 v7, v7, v6
	v_lshl_add_u32 v10, v10, 2, v3
	ds_read_b32 v9, v9
	ds_read_b32 v10, v10 offset:8
	v_cmp_gt_i32_e64 s1, v8, v7
	; wave barrier
	s_waitcnt lgkmcnt(3)
	ds_write_b32 v0, v4
	; wave barrier
	v_and_b32_e32 v8, 7, v2
	s_waitcnt lgkmcnt(1)
	v_cmp_lt_i32_e64 s0, v10, v9
	s_or_b32 s0, vcc_lo, s0
	s_and_b32 vcc_lo, s1, s0
	s_mov_b32 s0, exec_lo
	v_cndmask_b32_e32 v6, v5, v7, vcc_lo
	v_and_b32_e32 v5, 24, v2
	v_cndmask_b32_e32 v11, v9, v10, vcc_lo
	v_lshl_add_u32 v6, v6, 2, v3
	v_or_b32_e32 v7, 4, v5
	ds_read_b32 v4, v6
	v_sub_nc_u32_e32 v9, v7, v5
	v_sub_nc_u32_e64 v6, v8, 4 clamp
	; wave barrier
	ds_write_b32 v0, v11
	v_min_i32_e32 v10, v8, v9
	v_lshl_add_u32 v9, v5, 2, v3
	; wave barrier
	v_cmpx_lt_i32_e64 v6, v10
	s_cbranch_execz .LBB25_12
; %bb.9:
	v_lshl_add_u32 v11, v8, 2, v9
	s_mov_b32 s1, 0
	.p2align	6
.LBB25_10:                              ; =>This Inner Loop Header: Depth=1
	v_sub_nc_u32_e32 v12, v10, v6
	v_lshrrev_b32_e32 v12, 1, v12
	v_add_nc_u32_e32 v12, v12, v6
	v_not_b32_e32 v13, v12
	v_lshl_add_u32 v14, v12, 2, v9
	v_add_nc_u32_e32 v15, 1, v12
	v_lshl_add_u32 v13, v13, 2, v11
	ds_read_b32 v14, v14
	ds_read_b32 v13, v13 offset:16
	s_waitcnt lgkmcnt(0)
	v_cmp_lt_i32_e32 vcc_lo, v13, v14
	v_cndmask_b32_e32 v10, v10, v12, vcc_lo
	v_cndmask_b32_e32 v6, v15, v6, vcc_lo
	v_cmp_ge_i32_e32 vcc_lo, v6, v10
	s_or_b32 s1, vcc_lo, s1
	s_andn2_b32 exec_lo, exec_lo, s1
	s_cbranch_execnz .LBB25_10
; %bb.11:
	s_or_b32 exec_lo, exec_lo, s1
.LBB25_12:
	s_or_b32 exec_lo, exec_lo, s0
	v_add_nc_u32_e32 v10, v5, v8
	v_lshl_add_u32 v9, v6, 2, v9
	v_add_nc_u32_e32 v7, v7, v8
	v_add_nc_u32_e32 v8, 8, v5
	v_cmp_lt_i32_e32 vcc_lo, 3, v6
	v_sub_nc_u32_e32 v10, v10, v6
	v_add_nc_u32_e32 v5, v6, v5
	v_sub_nc_u32_e32 v7, v7, v6
	v_lshl_add_u32 v10, v10, 2, v3
	ds_read_b32 v9, v9
	ds_read_b32 v10, v10 offset:16
	v_cmp_gt_i32_e64 s1, v8, v7
	; wave barrier
	s_waitcnt lgkmcnt(3)
	ds_write_b32 v0, v4
	; wave barrier
	v_and_b32_e32 v8, 15, v2
	s_waitcnt lgkmcnt(1)
	v_cmp_lt_i32_e64 s0, v10, v9
	s_or_b32 s0, vcc_lo, s0
	s_and_b32 vcc_lo, s1, s0
	s_mov_b32 s0, exec_lo
	v_cndmask_b32_e32 v6, v5, v7, vcc_lo
	v_and_b32_e32 v5, 16, v2
	v_cndmask_b32_e32 v11, v9, v10, vcc_lo
	v_lshl_add_u32 v6, v6, 2, v3
	v_or_b32_e32 v7, 8, v5
	ds_read_b32 v4, v6
	v_sub_nc_u32_e32 v9, v7, v5
	v_sub_nc_u32_e64 v6, v8, 8 clamp
	; wave barrier
	ds_write_b32 v0, v11
	v_min_i32_e32 v10, v8, v9
	v_lshl_add_u32 v9, v5, 2, v3
	; wave barrier
	v_cmpx_lt_i32_e64 v6, v10
	s_cbranch_execz .LBB25_16
; %bb.13:
	v_lshl_add_u32 v11, v8, 2, v9
	s_mov_b32 s1, 0
	.p2align	6
.LBB25_14:                              ; =>This Inner Loop Header: Depth=1
	v_sub_nc_u32_e32 v12, v10, v6
	v_lshrrev_b32_e32 v12, 1, v12
	v_add_nc_u32_e32 v12, v12, v6
	v_not_b32_e32 v13, v12
	v_lshl_add_u32 v14, v12, 2, v9
	v_add_nc_u32_e32 v15, 1, v12
	v_lshl_add_u32 v13, v13, 2, v11
	ds_read_b32 v14, v14
	ds_read_b32 v13, v13 offset:32
	s_waitcnt lgkmcnt(0)
	v_cmp_lt_i32_e32 vcc_lo, v13, v14
	v_cndmask_b32_e32 v10, v10, v12, vcc_lo
	v_cndmask_b32_e32 v6, v15, v6, vcc_lo
	v_cmp_ge_i32_e32 vcc_lo, v6, v10
	s_or_b32 s1, vcc_lo, s1
	s_andn2_b32 exec_lo, exec_lo, s1
	s_cbranch_execnz .LBB25_14
; %bb.15:
	s_or_b32 exec_lo, exec_lo, s1
.LBB25_16:
	s_or_b32 exec_lo, exec_lo, s0
	v_add_nc_u32_e32 v10, v5, v8
	v_lshl_add_u32 v9, v6, 2, v9
	v_add_nc_u32_e32 v7, v7, v8
	v_add_nc_u32_e32 v8, 16, v5
	v_cmp_lt_i32_e32 vcc_lo, 7, v6
	v_sub_nc_u32_e32 v10, v10, v6
	v_add_nc_u32_e32 v5, v6, v5
	v_sub_nc_u32_e32 v7, v7, v6
	v_min_u32_e32 v6, 16, v2
	v_lshl_add_u32 v10, v10, 2, v3
	ds_read_b32 v9, v9
	ds_read_b32 v10, v10 offset:32
	v_cmp_gt_i32_e64 s1, v8, v7
	; wave barrier
	s_waitcnt lgkmcnt(3)
	ds_write_b32 v0, v4
	; wave barrier
	s_waitcnt lgkmcnt(1)
	v_cmp_lt_i32_e64 s0, v10, v9
	s_or_b32 s0, vcc_lo, s0
	s_and_b32 vcc_lo, s1, s0
	s_mov_b32 s0, exec_lo
	v_cndmask_b32_e32 v5, v5, v7, vcc_lo
	v_cndmask_b32_e32 v8, v9, v10, vcc_lo
	v_lshl_add_u32 v5, v5, 2, v3
	ds_read_b32 v4, v5
	v_sub_nc_u32_e64 v5, v2, 16 clamp
	; wave barrier
	ds_write_b32 v0, v8
	; wave barrier
	v_cmpx_lt_u32_e64 v5, v6
	s_cbranch_execz .LBB25_20
; %bb.17:
	s_mov_b32 s1, 0
	.p2align	6
.LBB25_18:                              ; =>This Inner Loop Header: Depth=1
	v_sub_nc_u32_e32 v7, v6, v5
	v_lshrrev_b32_e32 v7, 1, v7
	v_add_nc_u32_e32 v7, v7, v5
	v_not_b32_e32 v8, v7
	v_lshl_add_u32 v9, v7, 2, v3
	v_add_nc_u32_e32 v10, 1, v7
	v_lshl_add_u32 v8, v8, 2, v0
	ds_read_b32 v9, v9
	ds_read_b32 v8, v8 offset:64
	s_waitcnt lgkmcnt(0)
	v_cmp_lt_i32_e32 vcc_lo, v8, v9
	v_cndmask_b32_e32 v6, v6, v7, vcc_lo
	v_cndmask_b32_e32 v5, v10, v5, vcc_lo
	v_cmp_ge_i32_e32 vcc_lo, v5, v6
	s_or_b32 s1, vcc_lo, s1
	s_andn2_b32 exec_lo, exec_lo, s1
	s_cbranch_execnz .LBB25_18
; %bb.19:
	s_or_b32 exec_lo, exec_lo, s1
.LBB25_20:
	s_or_b32 exec_lo, exec_lo, s0
	v_sub_nc_u32_e32 v2, v2, v5
	v_lshl_add_u32 v6, v5, 2, v3
	v_cmp_lt_i32_e32 vcc_lo, 15, v5
	v_lshl_add_u32 v7, v2, 2, v3
	v_add_nc_u32_e32 v2, 16, v2
	ds_read_b32 v6, v6
	ds_read_b32 v7, v7 offset:64
	v_cmp_gt_i32_e64 s1, 32, v2
	; wave barrier
	s_waitcnt lgkmcnt(3)
	ds_write_b32 v0, v4
	; wave barrier
	s_waitcnt lgkmcnt(1)
	v_cmp_lt_i32_e64 s0, v7, v6
	s_or_b32 s0, vcc_lo, s0
	s_and_b32 vcc_lo, s1, s0
	s_add_u32 s0, s2, s4
	v_cndmask_b32_e32 v2, v5, v2, vcc_lo
	v_cndmask_b32_e32 v6, v6, v7, vcc_lo
	s_addc_u32 s1, s3, s5
	v_lshl_add_u32 v2, v2, 2, v3
	ds_read_b32 v0, v2
	s_waitcnt lgkmcnt(0)
	v_add_nc_u32_e32 v0, v0, v6
	global_store_dword v1, v0, s[0:1]
	s_endpgm
	.section	.rodata,"a",@progbits
	.p2align	6, 0x0
	.amdhsa_kernel _Z10sort_pairsILj256ELj32ELj1EiN10test_utils4lessEEvPKT2_PS2_T3_
		.amdhsa_group_segment_fixed_size 1056
		.amdhsa_private_segment_fixed_size 0
		.amdhsa_kernarg_size 20
		.amdhsa_user_sgpr_count 6
		.amdhsa_user_sgpr_private_segment_buffer 1
		.amdhsa_user_sgpr_dispatch_ptr 0
		.amdhsa_user_sgpr_queue_ptr 0
		.amdhsa_user_sgpr_kernarg_segment_ptr 1
		.amdhsa_user_sgpr_dispatch_id 0
		.amdhsa_user_sgpr_flat_scratch_init 0
		.amdhsa_user_sgpr_private_segment_size 0
		.amdhsa_wavefront_size32 1
		.amdhsa_uses_dynamic_stack 0
		.amdhsa_system_sgpr_private_segment_wavefront_offset 0
		.amdhsa_system_sgpr_workgroup_id_x 1
		.amdhsa_system_sgpr_workgroup_id_y 0
		.amdhsa_system_sgpr_workgroup_id_z 0
		.amdhsa_system_sgpr_workgroup_info 0
		.amdhsa_system_vgpr_workitem_id 0
		.amdhsa_next_free_vgpr 16
		.amdhsa_next_free_sgpr 8
		.amdhsa_reserve_vcc 1
		.amdhsa_reserve_flat_scratch 0
		.amdhsa_float_round_mode_32 0
		.amdhsa_float_round_mode_16_64 0
		.amdhsa_float_denorm_mode_32 3
		.amdhsa_float_denorm_mode_16_64 3
		.amdhsa_dx10_clamp 1
		.amdhsa_ieee_mode 1
		.amdhsa_fp16_overflow 0
		.amdhsa_workgroup_processor_mode 1
		.amdhsa_memory_ordered 1
		.amdhsa_forward_progress 1
		.amdhsa_shared_vgpr_count 0
		.amdhsa_exception_fp_ieee_invalid_op 0
		.amdhsa_exception_fp_denorm_src 0
		.amdhsa_exception_fp_ieee_div_zero 0
		.amdhsa_exception_fp_ieee_overflow 0
		.amdhsa_exception_fp_ieee_underflow 0
		.amdhsa_exception_fp_ieee_inexact 0
		.amdhsa_exception_int_div_zero 0
	.end_amdhsa_kernel
	.section	.text._Z10sort_pairsILj256ELj32ELj1EiN10test_utils4lessEEvPKT2_PS2_T3_,"axG",@progbits,_Z10sort_pairsILj256ELj32ELj1EiN10test_utils4lessEEvPKT2_PS2_T3_,comdat
.Lfunc_end25:
	.size	_Z10sort_pairsILj256ELj32ELj1EiN10test_utils4lessEEvPKT2_PS2_T3_, .Lfunc_end25-_Z10sort_pairsILj256ELj32ELj1EiN10test_utils4lessEEvPKT2_PS2_T3_
                                        ; -- End function
	.set _Z10sort_pairsILj256ELj32ELj1EiN10test_utils4lessEEvPKT2_PS2_T3_.num_vgpr, 16
	.set _Z10sort_pairsILj256ELj32ELj1EiN10test_utils4lessEEvPKT2_PS2_T3_.num_agpr, 0
	.set _Z10sort_pairsILj256ELj32ELj1EiN10test_utils4lessEEvPKT2_PS2_T3_.numbered_sgpr, 8
	.set _Z10sort_pairsILj256ELj32ELj1EiN10test_utils4lessEEvPKT2_PS2_T3_.num_named_barrier, 0
	.set _Z10sort_pairsILj256ELj32ELj1EiN10test_utils4lessEEvPKT2_PS2_T3_.private_seg_size, 0
	.set _Z10sort_pairsILj256ELj32ELj1EiN10test_utils4lessEEvPKT2_PS2_T3_.uses_vcc, 1
	.set _Z10sort_pairsILj256ELj32ELj1EiN10test_utils4lessEEvPKT2_PS2_T3_.uses_flat_scratch, 0
	.set _Z10sort_pairsILj256ELj32ELj1EiN10test_utils4lessEEvPKT2_PS2_T3_.has_dyn_sized_stack, 0
	.set _Z10sort_pairsILj256ELj32ELj1EiN10test_utils4lessEEvPKT2_PS2_T3_.has_recursion, 0
	.set _Z10sort_pairsILj256ELj32ELj1EiN10test_utils4lessEEvPKT2_PS2_T3_.has_indirect_call, 0
	.section	.AMDGPU.csdata,"",@progbits
; Kernel info:
; codeLenInByte = 1636
; TotalNumSgprs: 10
; NumVgprs: 16
; ScratchSize: 0
; MemoryBound: 0
; FloatMode: 240
; IeeeMode: 1
; LDSByteSize: 1056 bytes/workgroup (compile time only)
; SGPRBlocks: 0
; VGPRBlocks: 1
; NumSGPRsForWavesPerEU: 10
; NumVGPRsForWavesPerEU: 16
; Occupancy: 16
; WaveLimiterHint : 0
; COMPUTE_PGM_RSRC2:SCRATCH_EN: 0
; COMPUTE_PGM_RSRC2:USER_SGPR: 6
; COMPUTE_PGM_RSRC2:TRAP_HANDLER: 0
; COMPUTE_PGM_RSRC2:TGID_X_EN: 1
; COMPUTE_PGM_RSRC2:TGID_Y_EN: 0
; COMPUTE_PGM_RSRC2:TGID_Z_EN: 0
; COMPUTE_PGM_RSRC2:TIDIG_COMP_CNT: 0
	.section	.text._Z19sort_keys_segmentedILj256ELj32ELj1EiN10test_utils4lessEEvPKT2_PS2_PKjT3_,"axG",@progbits,_Z19sort_keys_segmentedILj256ELj32ELj1EiN10test_utils4lessEEvPKT2_PS2_PKjT3_,comdat
	.protected	_Z19sort_keys_segmentedILj256ELj32ELj1EiN10test_utils4lessEEvPKT2_PS2_PKjT3_ ; -- Begin function _Z19sort_keys_segmentedILj256ELj32ELj1EiN10test_utils4lessEEvPKT2_PS2_PKjT3_
	.globl	_Z19sort_keys_segmentedILj256ELj32ELj1EiN10test_utils4lessEEvPKT2_PS2_PKjT3_
	.p2align	8
	.type	_Z19sort_keys_segmentedILj256ELj32ELj1EiN10test_utils4lessEEvPKT2_PS2_PKjT3_,@function
_Z19sort_keys_segmentedILj256ELj32ELj1EiN10test_utils4lessEEvPKT2_PS2_PKjT3_: ; @_Z19sort_keys_segmentedILj256ELj32ELj1EiN10test_utils4lessEEvPKT2_PS2_PKjT3_
; %bb.0:
	s_load_dwordx2 s[0:1], s[4:5], 0x10
	v_lshrrev_b32_e32 v7, 5, v0
	v_mov_b32_e32 v1, 0
	v_mbcnt_lo_u32_b32 v5, -1, 0
	v_lshl_or_b32 v0, s6, 3, v7
	s_load_dwordx4 s[4:7], s[4:5], 0x0
	v_lshlrev_b64 v[2:3], 2, v[0:1]
	v_lshlrev_b32_e32 v0, 5, v0
	s_waitcnt lgkmcnt(0)
	v_add_co_u32 v2, vcc_lo, s0, v2
	v_add_co_ci_u32_e64 v3, null, s1, v3, vcc_lo
	global_load_dword v4, v[2:3], off
	s_waitcnt vmcnt(0)
	v_cmp_ge_u32_e64 s0, v5, v4
	v_cmp_lt_u32_e32 vcc_lo, v5, v4
	s_and_saveexec_b32 s1, s0
	s_xor_b32 s0, exec_lo, s1
	s_or_saveexec_b32 s1, s0
	v_lshlrev_b64 v[0:1], 2, v[0:1]
                                        ; implicit-def: $vgpr15
	s_xor_b32 exec_lo, exec_lo, s1
	s_cbranch_execz .LBB26_2
; %bb.1:
	v_lshlrev_b32_e32 v2, 2, v5
	v_add_co_u32 v3, s0, s4, v0
	v_add_co_ci_u32_e64 v6, null, s5, v1, s0
	v_add_co_u32 v2, s0, v3, v2
	v_add_co_ci_u32_e64 v3, null, 0, v6, s0
	global_load_dword v15, v[2:3], off
.LBB26_2:
	s_or_b32 exec_lo, exec_lo, s1
	v_and_b32_e32 v2, 30, v5
	v_and_b32_e32 v3, 1, v5
	s_mov_b32 s2, 0
	s_mov_b32 s1, exec_lo
	v_min_i32_e32 v12, v4, v2
	v_min_i32_e32 v11, v4, v3
	v_mul_u32_u24_e32 v3, 0x84, v7
	; wave barrier
	v_add_nc_u32_e32 v2, 1, v12
	v_lshlrev_b32_e32 v16, 2, v12
	v_min_i32_e32 v10, v4, v2
	v_add_nc_u32_e32 v2, 1, v10
	v_sub_nc_u32_e32 v14, v10, v12
	v_min_i32_e32 v9, v4, v2
	v_lshlrev_b32_e32 v2, 2, v5
	v_min_i32_e32 v14, v11, v14
	v_sub_nc_u32_e32 v6, v9, v10
	v_sub_nc_u32_e32 v8, v11, v6
	v_cmp_ge_i32_e64 s0, v11, v6
	v_mad_u32_u24 v6, 0x84, v7, v2
	v_cndmask_b32_e64 v13, 0, v8, s0
	v_mad_u32_u24 v8, 0x84, v7, v16
	s_waitcnt vmcnt(0)
	ds_write_b32 v6, v15
	; wave barrier
	v_cmpx_lt_i32_e64 v13, v14
	s_cbranch_execz .LBB26_6
; %bb.3:
	v_lshlrev_b32_e32 v7, 2, v10
	v_lshlrev_b32_e32 v15, 2, v11
	v_add3_u32 v7, v3, v7, v15
	.p2align	6
.LBB26_4:                               ; =>This Inner Loop Header: Depth=1
	v_sub_nc_u32_e32 v15, v14, v13
	v_lshrrev_b32_e32 v15, 1, v15
	v_add_nc_u32_e32 v15, v15, v13
	v_not_b32_e32 v16, v15
	v_lshl_add_u32 v17, v15, 2, v8
	v_add_nc_u32_e32 v18, 1, v15
	v_lshl_add_u32 v16, v16, 2, v7
	ds_read_b32 v17, v17
	ds_read_b32 v16, v16
	s_waitcnt lgkmcnt(0)
	v_cmp_lt_i32_e64 s0, v16, v17
	v_cndmask_b32_e64 v14, v14, v15, s0
	v_cndmask_b32_e64 v13, v18, v13, s0
	v_cmp_ge_i32_e64 s0, v13, v14
	s_or_b32 s2, s0, s2
	s_andn2_b32 exec_lo, exec_lo, s2
	s_cbranch_execnz .LBB26_4
; %bb.5:
	s_or_b32 exec_lo, exec_lo, s2
.LBB26_6:
	s_or_b32 exec_lo, exec_lo, s1
	v_add_nc_u32_e32 v7, v10, v11
	v_and_b32_e32 v11, 28, v5
	v_lshl_add_u32 v8, v13, 2, v8
	v_sub_nc_u32_e32 v14, v7, v13
	v_min_i32_e32 v7, v4, v11
	v_add_nc_u32_e32 v13, v13, v12
	v_lshl_add_u32 v11, v14, 2, v3
	v_add_nc_u32_e32 v15, 2, v7
	v_cmp_le_i32_e64 s0, v10, v13
	v_cmp_gt_i32_e64 s2, v9, v14
	ds_read_b32 v16, v8
	ds_read_b32 v17, v11
	v_min_i32_e32 v11, v4, v15
	v_and_b32_e32 v15, 3, v5
	; wave barrier
	v_add_nc_u32_e32 v8, 2, v11
	v_min_i32_e32 v12, v4, v15
	v_sub_nc_u32_e32 v10, v11, v7
	v_min_i32_e32 v8, v4, v8
	v_min_i32_e32 v9, v12, v10
	v_lshl_add_u32 v10, v7, 2, v3
	v_sub_nc_u32_e32 v15, v8, v11
	s_waitcnt lgkmcnt(0)
	v_cmp_lt_i32_e64 s1, v17, v16
	v_sub_nc_u32_e32 v13, v12, v15
	s_or_b32 s1, s0, s1
	v_cmp_ge_i32_e64 s0, v12, v15
	v_cndmask_b32_e64 v13, 0, v13, s0
	s_and_b32 s0, s2, s1
	s_mov_b32 s2, 0
	v_cndmask_b32_e64 v14, v16, v17, s0
	s_mov_b32 s1, exec_lo
	ds_write_b32 v6, v14
	; wave barrier
	v_cmpx_lt_i32_e64 v13, v9
	s_cbranch_execz .LBB26_10
; %bb.7:
	v_lshlrev_b32_e32 v14, 2, v11
	v_lshlrev_b32_e32 v15, 2, v12
	v_add3_u32 v14, v3, v14, v15
	.p2align	6
.LBB26_8:                               ; =>This Inner Loop Header: Depth=1
	v_sub_nc_u32_e32 v15, v9, v13
	v_lshrrev_b32_e32 v15, 1, v15
	v_add_nc_u32_e32 v15, v15, v13
	v_not_b32_e32 v16, v15
	v_lshl_add_u32 v17, v15, 2, v10
	v_add_nc_u32_e32 v18, 1, v15
	v_lshl_add_u32 v16, v16, 2, v14
	ds_read_b32 v17, v17
	ds_read_b32 v16, v16
	s_waitcnt lgkmcnt(0)
	v_cmp_lt_i32_e64 s0, v16, v17
	v_cndmask_b32_e64 v9, v9, v15, s0
	v_cndmask_b32_e64 v13, v18, v13, s0
	v_cmp_ge_i32_e64 s0, v13, v9
	s_or_b32 s2, s0, s2
	s_andn2_b32 exec_lo, exec_lo, s2
	s_cbranch_execnz .LBB26_8
; %bb.9:
	s_or_b32 exec_lo, exec_lo, s2
.LBB26_10:
	s_or_b32 exec_lo, exec_lo, s1
	v_add_nc_u32_e32 v9, v11, v12
	v_and_b32_e32 v12, 24, v5
	v_lshl_add_u32 v10, v13, 2, v10
	v_add_nc_u32_e32 v7, v13, v7
	v_sub_nc_u32_e32 v15, v9, v13
	v_min_i32_e32 v9, v4, v12
	v_cmp_le_i32_e64 s0, v11, v7
	v_lshl_add_u32 v12, v15, 2, v3
	v_add_nc_u32_e32 v14, 4, v9
	v_cmp_gt_i32_e64 s2, v8, v15
	ds_read_b32 v16, v10
	ds_read_b32 v17, v12
	v_min_i32_e32 v12, v4, v14
	v_and_b32_e32 v14, 7, v5
	; wave barrier
	v_add_nc_u32_e32 v10, 4, v12
	v_min_i32_e32 v14, v4, v14
	v_sub_nc_u32_e32 v7, v12, v9
	v_min_i32_e32 v10, v4, v10
	v_min_i32_e32 v8, v14, v7
	v_lshl_add_u32 v7, v9, 2, v3
	v_sub_nc_u32_e32 v13, v10, v12
	s_waitcnt lgkmcnt(0)
	v_cmp_lt_i32_e64 s1, v17, v16
	v_sub_nc_u32_e32 v11, v14, v13
	s_or_b32 s1, s0, s1
	v_cmp_ge_i32_e64 s0, v14, v13
	v_cndmask_b32_e64 v13, 0, v11, s0
	s_and_b32 s0, s2, s1
	s_mov_b32 s2, 0
	v_cndmask_b32_e64 v11, v16, v17, s0
	s_mov_b32 s1, exec_lo
	ds_write_b32 v6, v11
	; wave barrier
	v_cmpx_lt_i32_e64 v13, v8
	s_cbranch_execz .LBB26_14
; %bb.11:
	v_lshlrev_b32_e32 v11, 2, v12
	v_lshlrev_b32_e32 v15, 2, v14
	v_add3_u32 v11, v3, v11, v15
	.p2align	6
.LBB26_12:                              ; =>This Inner Loop Header: Depth=1
	v_sub_nc_u32_e32 v15, v8, v13
	v_lshrrev_b32_e32 v15, 1, v15
	v_add_nc_u32_e32 v15, v15, v13
	v_not_b32_e32 v16, v15
	v_lshl_add_u32 v17, v15, 2, v7
	v_add_nc_u32_e32 v18, 1, v15
	v_lshl_add_u32 v16, v16, 2, v11
	ds_read_b32 v17, v17
	ds_read_b32 v16, v16
	s_waitcnt lgkmcnt(0)
	v_cmp_lt_i32_e64 s0, v16, v17
	v_cndmask_b32_e64 v8, v8, v15, s0
	v_cndmask_b32_e64 v13, v18, v13, s0
	v_cmp_ge_i32_e64 s0, v13, v8
	s_or_b32 s2, s0, s2
	s_andn2_b32 exec_lo, exec_lo, s2
	s_cbranch_execnz .LBB26_12
; %bb.13:
	s_or_b32 exec_lo, exec_lo, s2
.LBB26_14:
	s_or_b32 exec_lo, exec_lo, s1
	v_add_nc_u32_e32 v8, v12, v14
	v_and_b32_e32 v11, 16, v5
	v_lshl_add_u32 v7, v13, 2, v7
	v_sub_nc_u32_e32 v14, v8, v13
	v_min_i32_e32 v8, v4, v11
	v_add_nc_u32_e32 v13, v13, v9
	v_lshl_add_u32 v11, v14, 2, v3
	v_add_nc_u32_e32 v15, 8, v8
	v_cmp_le_i32_e64 s0, v12, v13
	v_cmp_gt_i32_e64 s2, v10, v14
	ds_read_b32 v16, v7
	ds_read_b32 v17, v11
	v_lshl_add_u32 v10, v8, 2, v3
	v_min_i32_e32 v11, v4, v15
	v_and_b32_e32 v15, 15, v5
	; wave barrier
	v_add_nc_u32_e32 v7, 8, v11
	v_min_i32_e32 v9, v4, v15
	v_sub_nc_u32_e32 v12, v11, v8
	v_min_i32_e32 v7, v4, v7
	v_min_i32_e32 v12, v9, v12
	v_sub_nc_u32_e32 v15, v7, v11
	s_waitcnt lgkmcnt(0)
	v_cmp_lt_i32_e64 s1, v17, v16
	v_sub_nc_u32_e32 v13, v9, v15
	s_or_b32 s1, s0, s1
	v_cmp_ge_i32_e64 s0, v9, v15
	v_cndmask_b32_e64 v13, 0, v13, s0
	s_and_b32 s0, s2, s1
	s_mov_b32 s2, 0
	v_cndmask_b32_e64 v14, v16, v17, s0
	s_mov_b32 s1, exec_lo
	ds_write_b32 v6, v14
	; wave barrier
	v_cmpx_lt_i32_e64 v13, v12
	s_cbranch_execz .LBB26_18
; %bb.15:
	v_lshlrev_b32_e32 v14, 2, v11
	v_lshlrev_b32_e32 v15, 2, v9
	v_add3_u32 v14, v3, v14, v15
	.p2align	6
.LBB26_16:                              ; =>This Inner Loop Header: Depth=1
	v_sub_nc_u32_e32 v15, v12, v13
	v_lshrrev_b32_e32 v15, 1, v15
	v_add_nc_u32_e32 v15, v15, v13
	v_not_b32_e32 v16, v15
	v_lshl_add_u32 v17, v15, 2, v10
	v_add_nc_u32_e32 v18, 1, v15
	v_lshl_add_u32 v16, v16, 2, v14
	ds_read_b32 v17, v17
	ds_read_b32 v16, v16
	s_waitcnt lgkmcnt(0)
	v_cmp_lt_i32_e64 s0, v16, v17
	v_cndmask_b32_e64 v12, v12, v15, s0
	v_cndmask_b32_e64 v13, v18, v13, s0
	v_cmp_ge_i32_e64 s0, v13, v12
	s_or_b32 s2, s0, s2
	s_andn2_b32 exec_lo, exec_lo, s2
	s_cbranch_execnz .LBB26_16
; %bb.17:
	s_or_b32 exec_lo, exec_lo, s2
.LBB26_18:
	s_or_b32 exec_lo, exec_lo, s1
	v_add_nc_u32_e32 v9, v11, v9
	v_lshl_add_u32 v10, v13, 2, v10
	v_add_nc_u32_e32 v8, v13, v8
	s_mov_b32 s3, 0
	v_sub_nc_u32_e32 v14, v9, v13
	v_min_i32_e32 v9, 0, v4
	v_cmp_le_i32_e64 s0, v11, v8
	v_lshl_add_u32 v12, v14, 2, v3
	v_add_nc_u32_e32 v15, 16, v9
	v_cmp_gt_i32_e64 s2, v7, v14
	v_lshl_add_u32 v7, v9, 2, v3
	ds_read_b32 v16, v10
	ds_read_b32 v17, v12
	v_min_i32_e32 v12, v4, v15
	; wave barrier
	v_add_nc_u32_e32 v10, 16, v12
	v_sub_nc_u32_e32 v8, v12, v9
	v_min_i32_e32 v10, v4, v10
	v_min_i32_e32 v4, v4, v5
	v_sub_nc_u32_e32 v5, v10, v12
	v_min_i32_e32 v8, v4, v8
	s_waitcnt lgkmcnt(0)
	v_cmp_lt_i32_e64 s1, v17, v16
	v_sub_nc_u32_e32 v11, v4, v5
	s_or_b32 s1, s0, s1
	v_cmp_ge_i32_e64 s0, v4, v5
	v_cndmask_b32_e64 v5, 0, v11, s0
	s_and_b32 s0, s2, s1
	s_mov_b32 s1, exec_lo
	v_cndmask_b32_e64 v11, v16, v17, s0
	ds_write_b32 v6, v11
	; wave barrier
	v_cmpx_lt_i32_e64 v5, v8
	s_cbranch_execnz .LBB26_21
; %bb.19:
	s_or_b32 exec_lo, exec_lo, s1
	s_and_saveexec_b32 s0, vcc_lo
	s_cbranch_execnz .LBB26_24
.LBB26_20:
	s_endpgm
.LBB26_21:
	v_lshlrev_b32_e32 v6, 2, v12
	v_lshlrev_b32_e32 v11, 2, v4
	v_add3_u32 v6, v3, v6, v11
	.p2align	6
.LBB26_22:                              ; =>This Inner Loop Header: Depth=1
	v_sub_nc_u32_e32 v11, v8, v5
	v_lshrrev_b32_e32 v11, 1, v11
	v_add_nc_u32_e32 v11, v11, v5
	v_not_b32_e32 v13, v11
	v_lshl_add_u32 v14, v11, 2, v7
	v_add_nc_u32_e32 v15, 1, v11
	v_lshl_add_u32 v13, v13, 2, v6
	ds_read_b32 v14, v14
	ds_read_b32 v13, v13
	s_waitcnt lgkmcnt(0)
	v_cmp_lt_i32_e64 s0, v13, v14
	v_cndmask_b32_e64 v8, v8, v11, s0
	v_cndmask_b32_e64 v5, v15, v5, s0
	v_cmp_ge_i32_e64 s0, v5, v8
	s_or_b32 s3, s0, s3
	s_andn2_b32 exec_lo, exec_lo, s3
	s_cbranch_execnz .LBB26_22
; %bb.23:
	s_or_b32 exec_lo, exec_lo, s3
	s_or_b32 exec_lo, exec_lo, s1
	s_and_saveexec_b32 s0, vcc_lo
	s_cbranch_execz .LBB26_20
.LBB26_24:
	v_add_nc_u32_e32 v4, v12, v4
	v_lshl_add_u32 v6, v5, 2, v7
	v_add_co_u32 v0, s1, s6, v0
	v_add_co_ci_u32_e64 v1, null, s7, v1, s1
	v_sub_nc_u32_e32 v4, v4, v5
	v_add_nc_u32_e32 v5, v5, v9
	v_lshl_add_u32 v3, v4, 2, v3
	v_cmp_le_i32_e32 vcc_lo, v12, v5
	v_cmp_gt_i32_e64 s1, v10, v4
	ds_read_b32 v3, v3
	ds_read_b32 v6, v6
	s_waitcnt lgkmcnt(0)
	v_cmp_lt_i32_e64 s0, v3, v6
	s_or_b32 s0, vcc_lo, s0
	v_add_co_u32 v0, vcc_lo, v0, v2
	v_add_co_ci_u32_e64 v1, null, 0, v1, vcc_lo
	s_and_b32 vcc_lo, s1, s0
	v_cndmask_b32_e32 v2, v6, v3, vcc_lo
	global_store_dword v[0:1], v2, off
	s_endpgm
	.section	.rodata,"a",@progbits
	.p2align	6, 0x0
	.amdhsa_kernel _Z19sort_keys_segmentedILj256ELj32ELj1EiN10test_utils4lessEEvPKT2_PS2_PKjT3_
		.amdhsa_group_segment_fixed_size 1056
		.amdhsa_private_segment_fixed_size 0
		.amdhsa_kernarg_size 28
		.amdhsa_user_sgpr_count 6
		.amdhsa_user_sgpr_private_segment_buffer 1
		.amdhsa_user_sgpr_dispatch_ptr 0
		.amdhsa_user_sgpr_queue_ptr 0
		.amdhsa_user_sgpr_kernarg_segment_ptr 1
		.amdhsa_user_sgpr_dispatch_id 0
		.amdhsa_user_sgpr_flat_scratch_init 0
		.amdhsa_user_sgpr_private_segment_size 0
		.amdhsa_wavefront_size32 1
		.amdhsa_uses_dynamic_stack 0
		.amdhsa_system_sgpr_private_segment_wavefront_offset 0
		.amdhsa_system_sgpr_workgroup_id_x 1
		.amdhsa_system_sgpr_workgroup_id_y 0
		.amdhsa_system_sgpr_workgroup_id_z 0
		.amdhsa_system_sgpr_workgroup_info 0
		.amdhsa_system_vgpr_workitem_id 0
		.amdhsa_next_free_vgpr 19
		.amdhsa_next_free_sgpr 8
		.amdhsa_reserve_vcc 1
		.amdhsa_reserve_flat_scratch 0
		.amdhsa_float_round_mode_32 0
		.amdhsa_float_round_mode_16_64 0
		.amdhsa_float_denorm_mode_32 3
		.amdhsa_float_denorm_mode_16_64 3
		.amdhsa_dx10_clamp 1
		.amdhsa_ieee_mode 1
		.amdhsa_fp16_overflow 0
		.amdhsa_workgroup_processor_mode 1
		.amdhsa_memory_ordered 1
		.amdhsa_forward_progress 1
		.amdhsa_shared_vgpr_count 0
		.amdhsa_exception_fp_ieee_invalid_op 0
		.amdhsa_exception_fp_denorm_src 0
		.amdhsa_exception_fp_ieee_div_zero 0
		.amdhsa_exception_fp_ieee_overflow 0
		.amdhsa_exception_fp_ieee_underflow 0
		.amdhsa_exception_fp_ieee_inexact 0
		.amdhsa_exception_int_div_zero 0
	.end_amdhsa_kernel
	.section	.text._Z19sort_keys_segmentedILj256ELj32ELj1EiN10test_utils4lessEEvPKT2_PS2_PKjT3_,"axG",@progbits,_Z19sort_keys_segmentedILj256ELj32ELj1EiN10test_utils4lessEEvPKT2_PS2_PKjT3_,comdat
.Lfunc_end26:
	.size	_Z19sort_keys_segmentedILj256ELj32ELj1EiN10test_utils4lessEEvPKT2_PS2_PKjT3_, .Lfunc_end26-_Z19sort_keys_segmentedILj256ELj32ELj1EiN10test_utils4lessEEvPKT2_PS2_PKjT3_
                                        ; -- End function
	.set _Z19sort_keys_segmentedILj256ELj32ELj1EiN10test_utils4lessEEvPKT2_PS2_PKjT3_.num_vgpr, 19
	.set _Z19sort_keys_segmentedILj256ELj32ELj1EiN10test_utils4lessEEvPKT2_PS2_PKjT3_.num_agpr, 0
	.set _Z19sort_keys_segmentedILj256ELj32ELj1EiN10test_utils4lessEEvPKT2_PS2_PKjT3_.numbered_sgpr, 8
	.set _Z19sort_keys_segmentedILj256ELj32ELj1EiN10test_utils4lessEEvPKT2_PS2_PKjT3_.num_named_barrier, 0
	.set _Z19sort_keys_segmentedILj256ELj32ELj1EiN10test_utils4lessEEvPKT2_PS2_PKjT3_.private_seg_size, 0
	.set _Z19sort_keys_segmentedILj256ELj32ELj1EiN10test_utils4lessEEvPKT2_PS2_PKjT3_.uses_vcc, 1
	.set _Z19sort_keys_segmentedILj256ELj32ELj1EiN10test_utils4lessEEvPKT2_PS2_PKjT3_.uses_flat_scratch, 0
	.set _Z19sort_keys_segmentedILj256ELj32ELj1EiN10test_utils4lessEEvPKT2_PS2_PKjT3_.has_dyn_sized_stack, 0
	.set _Z19sort_keys_segmentedILj256ELj32ELj1EiN10test_utils4lessEEvPKT2_PS2_PKjT3_.has_recursion, 0
	.set _Z19sort_keys_segmentedILj256ELj32ELj1EiN10test_utils4lessEEvPKT2_PS2_PKjT3_.has_indirect_call, 0
	.section	.AMDGPU.csdata,"",@progbits
; Kernel info:
; codeLenInByte = 1904
; TotalNumSgprs: 10
; NumVgprs: 19
; ScratchSize: 0
; MemoryBound: 0
; FloatMode: 240
; IeeeMode: 1
; LDSByteSize: 1056 bytes/workgroup (compile time only)
; SGPRBlocks: 0
; VGPRBlocks: 2
; NumSGPRsForWavesPerEU: 10
; NumVGPRsForWavesPerEU: 19
; Occupancy: 16
; WaveLimiterHint : 0
; COMPUTE_PGM_RSRC2:SCRATCH_EN: 0
; COMPUTE_PGM_RSRC2:USER_SGPR: 6
; COMPUTE_PGM_RSRC2:TRAP_HANDLER: 0
; COMPUTE_PGM_RSRC2:TGID_X_EN: 1
; COMPUTE_PGM_RSRC2:TGID_Y_EN: 0
; COMPUTE_PGM_RSRC2:TGID_Z_EN: 0
; COMPUTE_PGM_RSRC2:TIDIG_COMP_CNT: 0
	.section	.text._Z20sort_pairs_segmentedILj256ELj32ELj1EiN10test_utils4lessEEvPKT2_PS2_PKjT3_,"axG",@progbits,_Z20sort_pairs_segmentedILj256ELj32ELj1EiN10test_utils4lessEEvPKT2_PS2_PKjT3_,comdat
	.protected	_Z20sort_pairs_segmentedILj256ELj32ELj1EiN10test_utils4lessEEvPKT2_PS2_PKjT3_ ; -- Begin function _Z20sort_pairs_segmentedILj256ELj32ELj1EiN10test_utils4lessEEvPKT2_PS2_PKjT3_
	.globl	_Z20sort_pairs_segmentedILj256ELj32ELj1EiN10test_utils4lessEEvPKT2_PS2_PKjT3_
	.p2align	8
	.type	_Z20sort_pairs_segmentedILj256ELj32ELj1EiN10test_utils4lessEEvPKT2_PS2_PKjT3_,@function
_Z20sort_pairs_segmentedILj256ELj32ELj1EiN10test_utils4lessEEvPKT2_PS2_PKjT3_: ; @_Z20sort_pairs_segmentedILj256ELj32ELj1EiN10test_utils4lessEEvPKT2_PS2_PKjT3_
; %bb.0:
	s_load_dwordx2 s[0:1], s[4:5], 0x10
	v_lshrrev_b32_e32 v8, 5, v0
	v_mov_b32_e32 v1, 0
	v_mbcnt_lo_u32_b32 v6, -1, 0
	v_lshl_or_b32 v0, s6, 3, v8
	s_load_dwordx4 s[4:7], s[4:5], 0x0
	v_lshlrev_b64 v[2:3], 2, v[0:1]
	v_lshlrev_b32_e32 v0, 5, v0
	s_waitcnt lgkmcnt(0)
	v_add_co_u32 v2, vcc_lo, s0, v2
	v_add_co_ci_u32_e64 v3, null, s1, v3, vcc_lo
	global_load_dword v4, v[2:3], off
	s_waitcnt vmcnt(0)
	v_cmp_ge_u32_e64 s0, v6, v4
	v_cmp_lt_u32_e32 vcc_lo, v6, v4
	s_and_saveexec_b32 s1, s0
	s_xor_b32 s0, exec_lo, s1
	s_or_saveexec_b32 s1, s0
	v_lshlrev_b64 v[0:1], 2, v[0:1]
                                        ; implicit-def: $vgpr7
	s_xor_b32 exec_lo, exec_lo, s1
	s_cbranch_execz .LBB27_2
; %bb.1:
	v_lshlrev_b32_e32 v2, 2, v6
	v_add_co_u32 v3, s0, s4, v0
	v_add_co_ci_u32_e64 v5, null, s5, v1, s0
	v_add_co_u32 v2, s0, v3, v2
	v_add_co_ci_u32_e64 v3, null, 0, v5, s0
	global_load_dword v7, v[2:3], off
.LBB27_2:
	s_or_b32 exec_lo, exec_lo, s1
	v_and_b32_e32 v2, 30, v6
	v_and_b32_e32 v3, 1, v6
	s_mov_b32 s2, 0
	s_mov_b32 s1, exec_lo
	v_min_i32_e32 v9, v4, v2
	v_min_i32_e32 v13, v4, v3
	v_mul_u32_u24_e32 v3, 0x84, v8
	; wave barrier
	v_add_nc_u32_e32 v2, 1, v9
	v_lshlrev_b32_e32 v15, 2, v9
	v_min_i32_e32 v10, v4, v2
	v_add_nc_u32_e32 v2, 1, v10
	v_sub_nc_u32_e32 v14, v10, v9
	v_min_i32_e32 v11, v4, v2
	v_lshlrev_b32_e32 v2, 2, v6
	v_min_i32_e32 v14, v13, v14
	v_sub_nc_u32_e32 v5, v11, v10
	v_sub_nc_u32_e32 v12, v13, v5
	v_cmp_ge_i32_e64 s0, v13, v5
	v_mad_u32_u24 v5, 0x84, v8, v2
	v_mad_u32_u24 v8, 0x84, v8, v15
	v_cndmask_b32_e64 v12, 0, v12, s0
	s_waitcnt vmcnt(0)
	ds_write_b32 v5, v7
	; wave barrier
	v_cmpx_lt_i32_e64 v12, v14
	s_cbranch_execz .LBB27_6
; %bb.3:
	v_lshlrev_b32_e32 v15, 2, v10
	v_lshlrev_b32_e32 v16, 2, v13
	v_add3_u32 v15, v3, v15, v16
	.p2align	6
.LBB27_4:                               ; =>This Inner Loop Header: Depth=1
	v_sub_nc_u32_e32 v16, v14, v12
	v_lshrrev_b32_e32 v16, 1, v16
	v_add_nc_u32_e32 v16, v16, v12
	v_not_b32_e32 v17, v16
	v_lshl_add_u32 v18, v16, 2, v8
	v_add_nc_u32_e32 v19, 1, v16
	v_lshl_add_u32 v17, v17, 2, v15
	ds_read_b32 v18, v18
	ds_read_b32 v17, v17
	s_waitcnt lgkmcnt(0)
	v_cmp_lt_i32_e64 s0, v17, v18
	v_cndmask_b32_e64 v14, v14, v16, s0
	v_cndmask_b32_e64 v12, v19, v12, s0
	v_cmp_ge_i32_e64 s0, v12, v14
	s_or_b32 s2, s0, s2
	s_andn2_b32 exec_lo, exec_lo, s2
	s_cbranch_execnz .LBB27_4
; %bb.5:
	s_or_b32 exec_lo, exec_lo, s2
.LBB27_6:
	s_or_b32 exec_lo, exec_lo, s1
	v_add_nc_u32_e32 v13, v10, v13
	v_lshl_add_u32 v8, v12, 2, v8
	v_add_nc_u32_e32 v7, 1, v7
	v_sub_nc_u32_e32 v13, v13, v12
	v_add_nc_u32_e32 v12, v12, v9
	v_lshl_add_u32 v14, v13, 2, v3
	v_cmp_le_i32_e64 s0, v10, v12
	v_cmp_gt_i32_e64 s2, v11, v13
	ds_read_b32 v15, v8
	ds_read_b32 v14, v14
	v_and_b32_e32 v8, 28, v6
	; wave barrier
	ds_write_b32 v5, v7
	v_and_b32_e32 v7, 3, v6
	v_min_i32_e32 v8, v4, v8
	; wave barrier
	v_min_i32_e32 v7, v4, v7
	v_add_nc_u32_e32 v9, 2, v8
	v_min_i32_e32 v9, v4, v9
	s_waitcnt lgkmcnt(1)
	v_cmp_lt_i32_e64 s1, v14, v15
	v_add_nc_u32_e32 v10, 2, v9
	s_or_b32 s0, s0, s1
	v_min_i32_e32 v11, v4, v10
	s_and_b32 s0, s2, s0
	s_mov_b32 s2, 0
	v_cndmask_b32_e64 v12, v12, v13, s0
	v_cndmask_b32_e64 v15, v15, v14, s0
	v_sub_nc_u32_e32 v14, v9, v8
	s_mov_b32 s1, exec_lo
	v_lshl_add_u32 v10, v12, 2, v3
	v_sub_nc_u32_e32 v12, v11, v9
	v_min_i32_e32 v14, v7, v14
	ds_read_b32 v10, v10
	v_sub_nc_u32_e32 v13, v7, v12
	v_cmp_ge_i32_e64 s0, v7, v12
	; wave barrier
	ds_write_b32 v5, v15
	v_cndmask_b32_e64 v12, 0, v13, s0
	v_lshl_add_u32 v13, v8, 2, v3
	; wave barrier
	v_cmpx_lt_i32_e64 v12, v14
	s_cbranch_execz .LBB27_10
; %bb.7:
	v_lshlrev_b32_e32 v15, 2, v9
	v_lshlrev_b32_e32 v16, 2, v7
	v_add3_u32 v15, v3, v15, v16
	.p2align	6
.LBB27_8:                               ; =>This Inner Loop Header: Depth=1
	v_sub_nc_u32_e32 v16, v14, v12
	v_lshrrev_b32_e32 v16, 1, v16
	v_add_nc_u32_e32 v16, v16, v12
	v_not_b32_e32 v17, v16
	v_lshl_add_u32 v18, v16, 2, v13
	v_add_nc_u32_e32 v19, 1, v16
	v_lshl_add_u32 v17, v17, 2, v15
	ds_read_b32 v18, v18
	ds_read_b32 v17, v17
	s_waitcnt lgkmcnt(0)
	v_cmp_lt_i32_e64 s0, v17, v18
	v_cndmask_b32_e64 v14, v14, v16, s0
	v_cndmask_b32_e64 v12, v19, v12, s0
	v_cmp_ge_i32_e64 s0, v12, v14
	s_or_b32 s2, s0, s2
	s_andn2_b32 exec_lo, exec_lo, s2
	s_cbranch_execnz .LBB27_8
; %bb.9:
	s_or_b32 exec_lo, exec_lo, s2
.LBB27_10:
	s_or_b32 exec_lo, exec_lo, s1
	v_add_nc_u32_e32 v7, v9, v7
	v_sub_nc_u32_e32 v14, v7, v12
	v_lshl_add_u32 v7, v12, 2, v13
	v_add_nc_u32_e32 v12, v12, v8
	v_lshl_add_u32 v13, v14, 2, v3
	v_cmp_gt_i32_e64 s2, v11, v14
	v_cmp_le_i32_e64 s0, v9, v12
	ds_read_b32 v15, v7
	ds_read_b32 v13, v13
	v_and_b32_e32 v7, 24, v6
	; wave barrier
	s_waitcnt lgkmcnt(3)
	ds_write_b32 v5, v10
	v_min_i32_e32 v7, v4, v7
	; wave barrier
	v_add_nc_u32_e32 v8, 4, v7
	v_min_i32_e32 v8, v4, v8
	s_waitcnt lgkmcnt(1)
	v_cmp_lt_i32_e64 s1, v13, v15
	v_add_nc_u32_e32 v9, 4, v8
	s_or_b32 s0, s0, s1
	v_min_i32_e32 v10, v4, v9
	s_and_b32 s0, s2, s0
	s_mov_b32 s2, 0
	v_cndmask_b32_e64 v11, v12, v14, s0
	v_and_b32_e32 v12, 7, v6
	v_cndmask_b32_e64 v15, v15, v13, s0
	v_sub_nc_u32_e32 v14, v8, v7
	s_mov_b32 s1, exec_lo
	v_lshl_add_u32 v9, v11, 2, v3
	v_min_i32_e32 v11, v4, v12
	v_sub_nc_u32_e32 v12, v10, v8
	ds_read_b32 v9, v9
	v_min_i32_e32 v14, v11, v14
	v_sub_nc_u32_e32 v13, v11, v12
	v_cmp_ge_i32_e64 s0, v11, v12
	; wave barrier
	ds_write_b32 v5, v15
	v_cndmask_b32_e64 v12, 0, v13, s0
	v_lshl_add_u32 v13, v7, 2, v3
	; wave barrier
	v_cmpx_lt_i32_e64 v12, v14
	s_cbranch_execz .LBB27_14
; %bb.11:
	v_lshlrev_b32_e32 v15, 2, v8
	v_lshlrev_b32_e32 v16, 2, v11
	v_add3_u32 v15, v3, v15, v16
	.p2align	6
.LBB27_12:                              ; =>This Inner Loop Header: Depth=1
	v_sub_nc_u32_e32 v16, v14, v12
	v_lshrrev_b32_e32 v16, 1, v16
	v_add_nc_u32_e32 v16, v16, v12
	v_not_b32_e32 v17, v16
	v_lshl_add_u32 v18, v16, 2, v13
	v_add_nc_u32_e32 v19, 1, v16
	v_lshl_add_u32 v17, v17, 2, v15
	ds_read_b32 v18, v18
	ds_read_b32 v17, v17
	s_waitcnt lgkmcnt(0)
	v_cmp_lt_i32_e64 s0, v17, v18
	v_cndmask_b32_e64 v14, v14, v16, s0
	v_cndmask_b32_e64 v12, v19, v12, s0
	v_cmp_ge_i32_e64 s0, v12, v14
	s_or_b32 s2, s0, s2
	s_andn2_b32 exec_lo, exec_lo, s2
	s_cbranch_execnz .LBB27_12
; %bb.13:
	s_or_b32 exec_lo, exec_lo, s2
.LBB27_14:
	s_or_b32 exec_lo, exec_lo, s1
	v_add_nc_u32_e32 v11, v8, v11
	v_sub_nc_u32_e32 v14, v11, v12
	v_lshl_add_u32 v11, v12, 2, v13
	v_add_nc_u32_e32 v12, v12, v7
	v_lshl_add_u32 v13, v14, 2, v3
	v_cmp_gt_i32_e64 s2, v10, v14
	v_cmp_le_i32_e64 s0, v8, v12
	ds_read_b32 v15, v11
	ds_read_b32 v13, v13
	v_and_b32_e32 v11, 16, v6
	; wave barrier
	s_waitcnt lgkmcnt(3)
	ds_write_b32 v5, v9
	v_min_i32_e32 v11, v4, v11
	; wave barrier
	v_add_nc_u32_e32 v7, 8, v11
	v_min_i32_e32 v7, v4, v7
	s_waitcnt lgkmcnt(1)
	v_cmp_lt_i32_e64 s1, v13, v15
	v_add_nc_u32_e32 v8, 8, v7
	s_or_b32 s0, s0, s1
	v_min_i32_e32 v9, v4, v8
	s_and_b32 s0, s2, s0
	s_mov_b32 s2, 0
	v_cndmask_b32_e64 v10, v12, v14, s0
	v_and_b32_e32 v12, 15, v6
	v_cndmask_b32_e64 v15, v15, v13, s0
	v_sub_nc_u32_e32 v14, v7, v11
	s_mov_b32 s1, exec_lo
	v_lshl_add_u32 v8, v10, 2, v3
	v_min_i32_e32 v10, v4, v12
	v_sub_nc_u32_e32 v12, v9, v7
	ds_read_b32 v8, v8
	v_min_i32_e32 v14, v10, v14
	v_sub_nc_u32_e32 v13, v10, v12
	v_cmp_ge_i32_e64 s0, v10, v12
	; wave barrier
	ds_write_b32 v5, v15
	v_cndmask_b32_e64 v12, 0, v13, s0
	v_lshl_add_u32 v13, v11, 2, v3
	; wave barrier
	v_cmpx_lt_i32_e64 v12, v14
	s_cbranch_execz .LBB27_18
; %bb.15:
	v_lshlrev_b32_e32 v15, 2, v7
	v_lshlrev_b32_e32 v16, 2, v10
	v_add3_u32 v15, v3, v15, v16
	.p2align	6
.LBB27_16:                              ; =>This Inner Loop Header: Depth=1
	v_sub_nc_u32_e32 v16, v14, v12
	v_lshrrev_b32_e32 v16, 1, v16
	v_add_nc_u32_e32 v16, v16, v12
	v_not_b32_e32 v17, v16
	v_lshl_add_u32 v18, v16, 2, v13
	v_add_nc_u32_e32 v19, 1, v16
	v_lshl_add_u32 v17, v17, 2, v15
	ds_read_b32 v18, v18
	ds_read_b32 v17, v17
	s_waitcnt lgkmcnt(0)
	v_cmp_lt_i32_e64 s0, v17, v18
	v_cndmask_b32_e64 v14, v14, v16, s0
	v_cndmask_b32_e64 v12, v19, v12, s0
	v_cmp_ge_i32_e64 s0, v12, v14
	s_or_b32 s2, s0, s2
	s_andn2_b32 exec_lo, exec_lo, s2
	s_cbranch_execnz .LBB27_16
; %bb.17:
	s_or_b32 exec_lo, exec_lo, s2
.LBB27_18:
	s_or_b32 exec_lo, exec_lo, s1
	v_add_nc_u32_e32 v10, v7, v10
	v_add_nc_u32_e32 v11, v12, v11
	v_sub_nc_u32_e32 v14, v10, v12
	v_lshl_add_u32 v10, v12, 2, v13
	v_cmp_le_i32_e64 s0, v7, v11
	v_lshl_add_u32 v13, v14, 2, v3
	v_cmp_gt_i32_e64 s2, v9, v14
	ds_read_b32 v15, v10
	ds_read_b32 v13, v13
	v_min_i32_e32 v10, 0, v4
	; wave barrier
	s_waitcnt lgkmcnt(3)
	ds_write_b32 v5, v8
	v_add_nc_u32_e32 v7, 16, v10
	; wave barrier
	v_min_i32_e32 v7, v4, v7
	v_add_nc_u32_e32 v9, 16, v7
	v_sub_nc_u32_e32 v12, v7, v10
	s_waitcnt lgkmcnt(1)
	v_cmp_lt_i32_e64 s1, v13, v15
	v_min_i32_e32 v8, v4, v9
	v_min_i32_e32 v9, v4, v6
	s_or_b32 s0, s0, s1
	v_sub_nc_u32_e32 v4, v8, v7
	s_and_b32 s0, s2, s0
	v_min_i32_e32 v12, v9, v12
	v_cndmask_b32_e64 v11, v11, v14, s0
	v_cndmask_b32_e64 v13, v15, v13, s0
	v_cmp_ge_i32_e64 s0, v9, v4
	s_mov_b32 s2, 0
	s_mov_b32 s1, exec_lo
	v_lshl_add_u32 v11, v11, 2, v3
	ds_read_b32 v6, v11
	v_sub_nc_u32_e32 v11, v9, v4
	; wave barrier
	ds_write_b32 v5, v13
	v_cndmask_b32_e64 v4, 0, v11, s0
	v_lshl_add_u32 v11, v10, 2, v3
	; wave barrier
	v_cmpx_lt_i32_e64 v4, v12
	s_cbranch_execz .LBB27_22
; %bb.19:
	v_lshlrev_b32_e32 v13, 2, v7
	v_lshlrev_b32_e32 v14, 2, v9
	v_add3_u32 v13, v3, v13, v14
	.p2align	6
.LBB27_20:                              ; =>This Inner Loop Header: Depth=1
	v_sub_nc_u32_e32 v14, v12, v4
	v_lshrrev_b32_e32 v14, 1, v14
	v_add_nc_u32_e32 v14, v14, v4
	v_not_b32_e32 v15, v14
	v_lshl_add_u32 v16, v14, 2, v11
	v_add_nc_u32_e32 v17, 1, v14
	v_lshl_add_u32 v15, v15, 2, v13
	ds_read_b32 v16, v16
	ds_read_b32 v15, v15
	s_waitcnt lgkmcnt(0)
	v_cmp_lt_i32_e64 s0, v15, v16
	v_cndmask_b32_e64 v12, v12, v14, s0
	v_cndmask_b32_e64 v4, v17, v4, s0
	v_cmp_ge_i32_e64 s0, v4, v12
	s_or_b32 s2, s0, s2
	s_andn2_b32 exec_lo, exec_lo, s2
	s_cbranch_execnz .LBB27_20
; %bb.21:
	s_or_b32 exec_lo, exec_lo, s2
.LBB27_22:
	s_or_b32 exec_lo, exec_lo, s1
	v_add_nc_u32_e32 v9, v7, v9
	v_lshl_add_u32 v11, v4, 2, v11
	v_sub_nc_u32_e32 v9, v9, v4
	v_lshl_add_u32 v12, v9, 2, v3
	ds_read_b32 v11, v11
	ds_read_b32 v12, v12
	; wave barrier
	s_waitcnt lgkmcnt(3)
	ds_write_b32 v5, v6
	; wave barrier
	s_and_saveexec_b32 s0, vcc_lo
	s_cbranch_execz .LBB27_24
; %bb.23:
	v_add_nc_u32_e32 v4, v4, v10
	s_waitcnt lgkmcnt(1)
	v_cmp_lt_i32_e32 vcc_lo, v12, v11
	v_cmp_gt_i32_e64 s1, v8, v9
	v_cmp_le_i32_e64 s0, v7, v4
	s_or_b32 s0, s0, vcc_lo
	s_and_b32 vcc_lo, s1, s0
	v_cndmask_b32_e32 v4, v4, v9, vcc_lo
	v_cndmask_b32_e32 v5, v11, v12, vcc_lo
	v_add_co_u32 v0, vcc_lo, s6, v0
	v_add_co_ci_u32_e64 v1, null, s7, v1, vcc_lo
	v_lshl_add_u32 v3, v4, 2, v3
	v_add_co_u32 v0, vcc_lo, v0, v2
	v_add_co_ci_u32_e64 v1, null, 0, v1, vcc_lo
	ds_read_b32 v3, v3
	s_waitcnt lgkmcnt(0)
	v_add_nc_u32_e32 v3, v3, v5
	global_store_dword v[0:1], v3, off
.LBB27_24:
	s_endpgm
	.section	.rodata,"a",@progbits
	.p2align	6, 0x0
	.amdhsa_kernel _Z20sort_pairs_segmentedILj256ELj32ELj1EiN10test_utils4lessEEvPKT2_PS2_PKjT3_
		.amdhsa_group_segment_fixed_size 1056
		.amdhsa_private_segment_fixed_size 0
		.amdhsa_kernarg_size 28
		.amdhsa_user_sgpr_count 6
		.amdhsa_user_sgpr_private_segment_buffer 1
		.amdhsa_user_sgpr_dispatch_ptr 0
		.amdhsa_user_sgpr_queue_ptr 0
		.amdhsa_user_sgpr_kernarg_segment_ptr 1
		.amdhsa_user_sgpr_dispatch_id 0
		.amdhsa_user_sgpr_flat_scratch_init 0
		.amdhsa_user_sgpr_private_segment_size 0
		.amdhsa_wavefront_size32 1
		.amdhsa_uses_dynamic_stack 0
		.amdhsa_system_sgpr_private_segment_wavefront_offset 0
		.amdhsa_system_sgpr_workgroup_id_x 1
		.amdhsa_system_sgpr_workgroup_id_y 0
		.amdhsa_system_sgpr_workgroup_id_z 0
		.amdhsa_system_sgpr_workgroup_info 0
		.amdhsa_system_vgpr_workitem_id 0
		.amdhsa_next_free_vgpr 20
		.amdhsa_next_free_sgpr 8
		.amdhsa_reserve_vcc 1
		.amdhsa_reserve_flat_scratch 0
		.amdhsa_float_round_mode_32 0
		.amdhsa_float_round_mode_16_64 0
		.amdhsa_float_denorm_mode_32 3
		.amdhsa_float_denorm_mode_16_64 3
		.amdhsa_dx10_clamp 1
		.amdhsa_ieee_mode 1
		.amdhsa_fp16_overflow 0
		.amdhsa_workgroup_processor_mode 1
		.amdhsa_memory_ordered 1
		.amdhsa_forward_progress 1
		.amdhsa_shared_vgpr_count 0
		.amdhsa_exception_fp_ieee_invalid_op 0
		.amdhsa_exception_fp_denorm_src 0
		.amdhsa_exception_fp_ieee_div_zero 0
		.amdhsa_exception_fp_ieee_overflow 0
		.amdhsa_exception_fp_ieee_underflow 0
		.amdhsa_exception_fp_ieee_inexact 0
		.amdhsa_exception_int_div_zero 0
	.end_amdhsa_kernel
	.section	.text._Z20sort_pairs_segmentedILj256ELj32ELj1EiN10test_utils4lessEEvPKT2_PS2_PKjT3_,"axG",@progbits,_Z20sort_pairs_segmentedILj256ELj32ELj1EiN10test_utils4lessEEvPKT2_PS2_PKjT3_,comdat
.Lfunc_end27:
	.size	_Z20sort_pairs_segmentedILj256ELj32ELj1EiN10test_utils4lessEEvPKT2_PS2_PKjT3_, .Lfunc_end27-_Z20sort_pairs_segmentedILj256ELj32ELj1EiN10test_utils4lessEEvPKT2_PS2_PKjT3_
                                        ; -- End function
	.set _Z20sort_pairs_segmentedILj256ELj32ELj1EiN10test_utils4lessEEvPKT2_PS2_PKjT3_.num_vgpr, 20
	.set _Z20sort_pairs_segmentedILj256ELj32ELj1EiN10test_utils4lessEEvPKT2_PS2_PKjT3_.num_agpr, 0
	.set _Z20sort_pairs_segmentedILj256ELj32ELj1EiN10test_utils4lessEEvPKT2_PS2_PKjT3_.numbered_sgpr, 8
	.set _Z20sort_pairs_segmentedILj256ELj32ELj1EiN10test_utils4lessEEvPKT2_PS2_PKjT3_.num_named_barrier, 0
	.set _Z20sort_pairs_segmentedILj256ELj32ELj1EiN10test_utils4lessEEvPKT2_PS2_PKjT3_.private_seg_size, 0
	.set _Z20sort_pairs_segmentedILj256ELj32ELj1EiN10test_utils4lessEEvPKT2_PS2_PKjT3_.uses_vcc, 1
	.set _Z20sort_pairs_segmentedILj256ELj32ELj1EiN10test_utils4lessEEvPKT2_PS2_PKjT3_.uses_flat_scratch, 0
	.set _Z20sort_pairs_segmentedILj256ELj32ELj1EiN10test_utils4lessEEvPKT2_PS2_PKjT3_.has_dyn_sized_stack, 0
	.set _Z20sort_pairs_segmentedILj256ELj32ELj1EiN10test_utils4lessEEvPKT2_PS2_PKjT3_.has_recursion, 0
	.set _Z20sort_pairs_segmentedILj256ELj32ELj1EiN10test_utils4lessEEvPKT2_PS2_PKjT3_.has_indirect_call, 0
	.section	.AMDGPU.csdata,"",@progbits
; Kernel info:
; codeLenInByte = 2200
; TotalNumSgprs: 10
; NumVgprs: 20
; ScratchSize: 0
; MemoryBound: 0
; FloatMode: 240
; IeeeMode: 1
; LDSByteSize: 1056 bytes/workgroup (compile time only)
; SGPRBlocks: 0
; VGPRBlocks: 2
; NumSGPRsForWavesPerEU: 10
; NumVGPRsForWavesPerEU: 20
; Occupancy: 16
; WaveLimiterHint : 0
; COMPUTE_PGM_RSRC2:SCRATCH_EN: 0
; COMPUTE_PGM_RSRC2:USER_SGPR: 6
; COMPUTE_PGM_RSRC2:TRAP_HANDLER: 0
; COMPUTE_PGM_RSRC2:TGID_X_EN: 1
; COMPUTE_PGM_RSRC2:TGID_Y_EN: 0
; COMPUTE_PGM_RSRC2:TGID_Z_EN: 0
; COMPUTE_PGM_RSRC2:TIDIG_COMP_CNT: 0
	.section	.text._Z9sort_keysILj256ELj32ELj4EiN10test_utils4lessEEvPKT2_PS2_T3_,"axG",@progbits,_Z9sort_keysILj256ELj32ELj4EiN10test_utils4lessEEvPKT2_PS2_T3_,comdat
	.protected	_Z9sort_keysILj256ELj32ELj4EiN10test_utils4lessEEvPKT2_PS2_T3_ ; -- Begin function _Z9sort_keysILj256ELj32ELj4EiN10test_utils4lessEEvPKT2_PS2_T3_
	.globl	_Z9sort_keysILj256ELj32ELj4EiN10test_utils4lessEEvPKT2_PS2_T3_
	.p2align	8
	.type	_Z9sort_keysILj256ELj32ELj4EiN10test_utils4lessEEvPKT2_PS2_T3_,@function
_Z9sort_keysILj256ELj32ELj4EiN10test_utils4lessEEvPKT2_PS2_T3_: ; @_Z9sort_keysILj256ELj32ELj4EiN10test_utils4lessEEvPKT2_PS2_T3_
; %bb.0:
	s_load_dwordx4 s[8:11], s[4:5], 0x0
	s_mov_b32 s3, 0
	s_lshl_b32 s2, s6, 10
	v_lshlrev_b32_e32 v1, 4, v0
	s_lshl_b64 s[4:5], s[2:3], 2
	v_mbcnt_lo_u32_b32 v2, -1, 0
	v_lshlrev_b32_e32 v4, 2, v0
	v_lshrrev_b32_e32 v0, 5, v0
	v_mov_b32_e32 v9, 0
	s_waitcnt lgkmcnt(0)
	s_add_u32 s0, s8, s4
	s_addc_u32 s1, s9, s5
	global_load_dwordx4 v[10:13], v1, s[0:1]
	v_lshlrev_b32_e32 v1, 2, v2
	v_lshlrev_b32_e32 v2, 4, v2
	; wave barrier
	v_and_b32_e32 v5, 0x78, v1
	v_mad_u32_u24 v2, 0x204, v0, v2
	v_or_b32_e32 v3, 4, v5
	s_waitcnt vmcnt(0)
	v_cmp_lt_i32_e32 vcc_lo, v11, v10
	v_min_i32_e32 v7, v11, v10
	v_max_i32_e32 v8, v11, v10
	v_cmp_lt_i32_e64 s0, v13, v12
	v_min_i32_e32 v14, v13, v12
	v_max_i32_e32 v16, v13, v12
	v_cndmask_b32_e32 v6, v10, v11, vcc_lo
	v_cndmask_b32_e32 v10, v11, v10, vcc_lo
	v_cndmask_b32_e64 v15, v13, v12, s0
	v_cndmask_b32_e64 v11, v12, v13, s0
	v_cmp_lt_i32_e32 vcc_lo, v14, v8
	v_max_i32_e32 v12, v14, v8
	v_min_i32_e32 v13, v14, v8
	v_cmp_lt_i32_e64 s0, v14, v7
	v_cmp_gt_i32_e64 s1, v8, v16
	v_cndmask_b32_e32 v11, v11, v8, vcc_lo
	v_cndmask_b32_e32 v10, v10, v14, vcc_lo
	v_and_b32_e32 v8, 4, v1
	v_cndmask_b32_e64 v14, v6, v13, s0
	v_cndmask_b32_e64 v6, v13, v7, s0
	;; [unrolled: 1-line block ×4, first 2 shown]
	v_sub_nc_u32_e32 v15, v3, v5
	v_cndmask_b32_e64 v10, v10, v7, s0
	v_cndmask_b32_e64 v11, v11, v16, s1
	v_lshlrev_b32_e32 v16, 2, v5
	v_cmp_lt_i32_e32 vcc_lo, v12, v6
	v_min_i32_e32 v7, v8, v15
	s_mov_b32 s0, exec_lo
	v_cndmask_b32_e32 v11, v11, v6, vcc_lo
	v_cndmask_b32_e32 v10, v10, v12, vcc_lo
	v_mad_u32_u24 v6, 0x204, v0, v16
	ds_write2_b32 v2, v14, v10 offset1:1
	ds_write2_b32 v2, v11, v13 offset0:2 offset1:3
	; wave barrier
	v_cmpx_lt_i32_e32 0, v7
	s_cbranch_execz .LBB28_4
; %bb.1:
	v_lshl_add_u32 v10, v8, 2, v6
	v_mov_b32_e32 v9, 0
	.p2align	6
.LBB28_2:                               ; =>This Inner Loop Header: Depth=1
	v_sub_nc_u32_e32 v11, v7, v9
	v_lshrrev_b32_e32 v11, 1, v11
	v_add_nc_u32_e32 v11, v11, v9
	v_not_b32_e32 v12, v11
	v_lshl_add_u32 v13, v11, 2, v6
	v_add_nc_u32_e32 v14, 1, v11
	v_lshl_add_u32 v12, v12, 2, v10
	ds_read_b32 v13, v13
	ds_read_b32 v12, v12 offset:16
	s_waitcnt lgkmcnt(0)
	v_cmp_lt_i32_e32 vcc_lo, v12, v13
	v_cndmask_b32_e32 v7, v7, v11, vcc_lo
	v_cndmask_b32_e32 v9, v14, v9, vcc_lo
	v_cmp_ge_i32_e32 vcc_lo, v9, v7
	s_or_b32 s3, vcc_lo, s3
	s_andn2_b32 exec_lo, exec_lo, s3
	s_cbranch_execnz .LBB28_2
; %bb.3:
	s_or_b32 exec_lo, exec_lo, s3
.LBB28_4:
	s_or_b32 exec_lo, exec_lo, s0
	v_add_nc_u32_e32 v7, v5, v8
	v_mul_u32_u24_e32 v0, 0x204, v0
	v_lshl_add_u32 v11, v9, 2, v6
	v_add_nc_u32_e32 v10, v3, v8
	v_add_nc_u32_e32 v8, 8, v5
	v_sub_nc_u32_e32 v7, v7, v9
	v_cmp_lt_i32_e32 vcc_lo, 3, v9
	v_sub_nc_u32_e32 v12, v10, v9
                                        ; implicit-def: $vgpr10
	v_lshl_add_u32 v13, v7, 2, v0
	ds_read_b32 v6, v11
	ds_read_b32 v7, v13 offset:16
	v_cmp_gt_i32_e64 s1, v8, v12
	s_waitcnt lgkmcnt(0)
	v_cmp_lt_i32_e64 s0, v7, v6
	s_or_b32 s0, vcc_lo, s0
	s_and_b32 vcc_lo, s1, s0
	s_xor_b32 s0, vcc_lo, -1
	s_and_saveexec_b32 s1, s0
	s_xor_b32 s0, exec_lo, s1
; %bb.5:
	ds_read_b32 v10, v11 offset:4
                                        ; implicit-def: $vgpr13
; %bb.6:
	s_or_saveexec_b32 s0, s0
	v_mov_b32_e32 v11, v7
	s_xor_b32 exec_lo, exec_lo, s0
	s_cbranch_execz .LBB28_8
; %bb.7:
	ds_read_b32 v11, v13 offset:20
	s_waitcnt lgkmcnt(1)
	v_mov_b32_e32 v10, v6
.LBB28_8:
	s_or_b32 exec_lo, exec_lo, s0
	v_add_nc_u32_e32 v5, v9, v5
	v_add_nc_u32_e32 v14, 1, v12
	s_waitcnt lgkmcnt(0)
	v_cmp_lt_i32_e64 s1, v11, v10
	v_add_nc_u32_e32 v9, 1, v5
	v_cndmask_b32_e32 v13, v9, v5, vcc_lo
	v_cndmask_b32_e32 v9, v12, v14, vcc_lo
                                        ; implicit-def: $vgpr5
	v_cmp_ge_i32_e64 s0, v13, v3
	v_cmp_lt_i32_e64 s2, v9, v8
	s_or_b32 s0, s0, s1
	s_and_b32 s0, s2, s0
	s_xor_b32 s1, s0, -1
	s_and_saveexec_b32 s2, s1
	s_xor_b32 s1, exec_lo, s2
; %bb.9:
	v_lshl_add_u32 v5, v13, 2, v0
	ds_read_b32 v5, v5 offset:4
; %bb.10:
	s_or_saveexec_b32 s1, s1
	v_mov_b32_e32 v12, v11
	s_xor_b32 exec_lo, exec_lo, s1
	s_cbranch_execz .LBB28_12
; %bb.11:
	s_waitcnt lgkmcnt(0)
	v_lshl_add_u32 v5, v9, 2, v0
	ds_read_b32 v12, v5 offset:4
	v_mov_b32_e32 v5, v10
.LBB28_12:
	s_or_b32 exec_lo, exec_lo, s1
	v_add_nc_u32_e32 v14, 1, v13
	v_add_nc_u32_e32 v16, 1, v9
	s_waitcnt lgkmcnt(0)
	v_cmp_lt_i32_e64 s2, v12, v5
	v_cndmask_b32_e64 v15, v14, v13, s0
	v_cndmask_b32_e64 v13, v9, v16, s0
                                        ; implicit-def: $vgpr14
	v_cmp_ge_i32_e64 s1, v15, v3
	v_cmp_lt_i32_e64 s3, v13, v8
	s_or_b32 s1, s1, s2
	s_and_b32 s1, s3, s1
	s_xor_b32 s2, s1, -1
	s_and_saveexec_b32 s3, s2
	s_xor_b32 s2, exec_lo, s3
; %bb.13:
	v_lshl_add_u32 v9, v15, 2, v0
	ds_read_b32 v14, v9 offset:4
; %bb.14:
	s_or_saveexec_b32 s2, s2
	v_mov_b32_e32 v16, v12
	s_xor_b32 exec_lo, exec_lo, s2
	s_cbranch_execz .LBB28_16
; %bb.15:
	v_lshl_add_u32 v9, v13, 2, v0
	s_waitcnt lgkmcnt(0)
	v_mov_b32_e32 v14, v5
	ds_read_b32 v16, v9 offset:4
.LBB28_16:
	s_or_b32 exec_lo, exec_lo, s2
	v_add_nc_u32_e32 v17, 1, v15
	v_add_nc_u32_e32 v18, 1, v13
	v_and_b32_e32 v9, 0x70, v1
	v_cndmask_b32_e64 v19, v10, v11, s0
	v_cndmask_b32_e64 v12, v5, v12, s1
	;; [unrolled: 1-line block ×4, first 2 shown]
	v_or_b32_e32 v5, 8, v9
	s_waitcnt lgkmcnt(0)
	v_cmp_lt_i32_e64 s0, v16, v14
	v_and_b32_e32 v10, 12, v1
	v_cmp_ge_i32_e64 s1, v11, v3
	v_cmp_lt_i32_e64 s2, v13, v8
	v_sub_nc_u32_e32 v3, v5, v9
	v_cndmask_b32_e32 v7, v6, v7, vcc_lo
	v_sub_nc_u32_e64 v11, v10, 8 clamp
	s_or_b32 s0, s1, s0
	s_and_b32 vcc_lo, s2, s0
	v_min_i32_e32 v6, v10, v3
	v_lshl_add_u32 v3, v9, 2, v0
	v_cndmask_b32_e32 v8, v14, v16, vcc_lo
	s_mov_b32 s0, exec_lo
	; wave barrier
	ds_write2_b32 v2, v7, v19 offset1:1
	ds_write2_b32 v2, v12, v8 offset0:2 offset1:3
	; wave barrier
	v_cmpx_lt_i32_e64 v11, v6
	s_cbranch_execz .LBB28_20
; %bb.17:
	v_lshl_add_u32 v7, v10, 2, v3
	s_mov_b32 s1, 0
	.p2align	6
.LBB28_18:                              ; =>This Inner Loop Header: Depth=1
	v_sub_nc_u32_e32 v8, v6, v11
	v_lshrrev_b32_e32 v8, 1, v8
	v_add_nc_u32_e32 v8, v8, v11
	v_not_b32_e32 v12, v8
	v_lshl_add_u32 v13, v8, 2, v3
	v_add_nc_u32_e32 v14, 1, v8
	v_lshl_add_u32 v12, v12, 2, v7
	ds_read_b32 v13, v13
	ds_read_b32 v12, v12 offset:32
	s_waitcnt lgkmcnt(0)
	v_cmp_lt_i32_e32 vcc_lo, v12, v13
	v_cndmask_b32_e32 v6, v6, v8, vcc_lo
	v_cndmask_b32_e32 v11, v14, v11, vcc_lo
	v_cmp_ge_i32_e32 vcc_lo, v11, v6
	s_or_b32 s1, vcc_lo, s1
	s_andn2_b32 exec_lo, exec_lo, s1
	s_cbranch_execnz .LBB28_18
; %bb.19:
	s_or_b32 exec_lo, exec_lo, s1
.LBB28_20:
	s_or_b32 exec_lo, exec_lo, s0
	v_add_nc_u32_e32 v6, v9, v10
	v_lshl_add_u32 v14, v11, 2, v3
	v_add_nc_u32_e32 v3, v5, v10
	v_add_nc_u32_e32 v8, 16, v9
	v_cmp_lt_i32_e32 vcc_lo, 7, v11
	v_sub_nc_u32_e32 v6, v6, v11
	v_sub_nc_u32_e32 v12, v3, v11
                                        ; implicit-def: $vgpr3
	v_lshl_add_u32 v13, v6, 2, v0
	ds_read_b32 v6, v14
	ds_read_b32 v7, v13 offset:32
	v_cmp_gt_i32_e64 s1, v8, v12
	s_waitcnt lgkmcnt(0)
	v_cmp_lt_i32_e64 s0, v7, v6
	s_or_b32 s0, vcc_lo, s0
	s_and_b32 vcc_lo, s1, s0
	s_xor_b32 s0, vcc_lo, -1
	s_and_saveexec_b32 s1, s0
	s_xor_b32 s0, exec_lo, s1
; %bb.21:
	ds_read_b32 v3, v14 offset:4
                                        ; implicit-def: $vgpr13
; %bb.22:
	s_or_saveexec_b32 s0, s0
	v_mov_b32_e32 v10, v7
	s_xor_b32 exec_lo, exec_lo, s0
	s_cbranch_execz .LBB28_24
; %bb.23:
	ds_read_b32 v10, v13 offset:36
	s_waitcnt lgkmcnt(1)
	v_mov_b32_e32 v3, v6
.LBB28_24:
	s_or_b32 exec_lo, exec_lo, s0
	v_add_nc_u32_e32 v9, v11, v9
	v_add_nc_u32_e32 v14, 1, v12
	s_waitcnt lgkmcnt(0)
	v_cmp_lt_i32_e64 s1, v10, v3
	v_add_nc_u32_e32 v11, 1, v9
	v_cndmask_b32_e32 v13, v11, v9, vcc_lo
	v_cndmask_b32_e32 v9, v12, v14, vcc_lo
                                        ; implicit-def: $vgpr11
	v_cmp_ge_i32_e64 s0, v13, v5
	v_cmp_lt_i32_e64 s2, v9, v8
	s_or_b32 s0, s0, s1
	s_and_b32 s0, s2, s0
	s_xor_b32 s1, s0, -1
	s_and_saveexec_b32 s2, s1
	s_xor_b32 s1, exec_lo, s2
; %bb.25:
	v_lshl_add_u32 v11, v13, 2, v0
	ds_read_b32 v11, v11 offset:4
; %bb.26:
	s_or_saveexec_b32 s1, s1
	v_mov_b32_e32 v12, v10
	s_xor_b32 exec_lo, exec_lo, s1
	s_cbranch_execz .LBB28_28
; %bb.27:
	s_waitcnt lgkmcnt(0)
	v_lshl_add_u32 v11, v9, 2, v0
	ds_read_b32 v12, v11 offset:4
	v_mov_b32_e32 v11, v3
.LBB28_28:
	s_or_b32 exec_lo, exec_lo, s1
	v_add_nc_u32_e32 v14, 1, v13
	v_add_nc_u32_e32 v16, 1, v9
	s_waitcnt lgkmcnt(0)
	v_cmp_lt_i32_e64 s2, v12, v11
	v_cndmask_b32_e64 v15, v14, v13, s0
	v_cndmask_b32_e64 v13, v9, v16, s0
                                        ; implicit-def: $vgpr14
	v_cmp_ge_i32_e64 s1, v15, v5
	v_cmp_lt_i32_e64 s3, v13, v8
	s_or_b32 s1, s1, s2
	s_and_b32 s1, s3, s1
	s_xor_b32 s2, s1, -1
	s_and_saveexec_b32 s3, s2
	s_xor_b32 s2, exec_lo, s3
; %bb.29:
	v_lshl_add_u32 v9, v15, 2, v0
	ds_read_b32 v14, v9 offset:4
; %bb.30:
	s_or_saveexec_b32 s2, s2
	v_mov_b32_e32 v16, v12
	s_xor_b32 exec_lo, exec_lo, s2
	s_cbranch_execz .LBB28_32
; %bb.31:
	v_lshl_add_u32 v9, v13, 2, v0
	s_waitcnt lgkmcnt(0)
	v_mov_b32_e32 v14, v11
	ds_read_b32 v16, v9 offset:4
.LBB28_32:
	s_or_b32 exec_lo, exec_lo, s2
	v_add_nc_u32_e32 v17, 1, v15
	v_add_nc_u32_e32 v18, 1, v13
	v_and_b32_e32 v9, 0x60, v1
	v_cndmask_b32_e64 v12, v11, v12, s1
	v_cndmask_b32_e64 v19, v3, v10, s0
	;; [unrolled: 1-line block ×4, first 2 shown]
	v_or_b32_e32 v3, 16, v9
	s_waitcnt lgkmcnt(0)
	v_cmp_lt_i32_e64 s0, v16, v14
	v_and_b32_e32 v10, 28, v1
	v_cmp_ge_i32_e64 s1, v11, v5
	v_cmp_lt_i32_e64 s2, v13, v8
	v_sub_nc_u32_e32 v5, v3, v9
	v_cndmask_b32_e32 v7, v6, v7, vcc_lo
	v_sub_nc_u32_e64 v11, v10, 16 clamp
	s_or_b32 s0, s1, s0
	s_and_b32 vcc_lo, s2, s0
	v_min_i32_e32 v6, v10, v5
	v_lshl_add_u32 v5, v9, 2, v0
	v_cndmask_b32_e32 v8, v14, v16, vcc_lo
	s_mov_b32 s0, exec_lo
	; wave barrier
	ds_write2_b32 v2, v7, v19 offset1:1
	ds_write2_b32 v2, v12, v8 offset0:2 offset1:3
	; wave barrier
	v_cmpx_lt_i32_e64 v11, v6
	s_cbranch_execz .LBB28_36
; %bb.33:
	v_lshl_add_u32 v7, v10, 2, v5
	s_mov_b32 s1, 0
	.p2align	6
.LBB28_34:                              ; =>This Inner Loop Header: Depth=1
	v_sub_nc_u32_e32 v8, v6, v11
	v_lshrrev_b32_e32 v8, 1, v8
	v_add_nc_u32_e32 v8, v8, v11
	v_not_b32_e32 v12, v8
	v_lshl_add_u32 v13, v8, 2, v5
	v_add_nc_u32_e32 v14, 1, v8
	v_lshl_add_u32 v12, v12, 2, v7
	ds_read_b32 v13, v13
	ds_read_b32 v12, v12 offset:64
	s_waitcnt lgkmcnt(0)
	v_cmp_lt_i32_e32 vcc_lo, v12, v13
	v_cndmask_b32_e32 v6, v6, v8, vcc_lo
	v_cndmask_b32_e32 v11, v14, v11, vcc_lo
	v_cmp_ge_i32_e32 vcc_lo, v11, v6
	s_or_b32 s1, vcc_lo, s1
	s_andn2_b32 exec_lo, exec_lo, s1
	s_cbranch_execnz .LBB28_34
; %bb.35:
	s_or_b32 exec_lo, exec_lo, s1
.LBB28_36:
	s_or_b32 exec_lo, exec_lo, s0
	v_add_nc_u32_e32 v6, v9, v10
	v_lshl_add_u32 v14, v11, 2, v5
	v_add_nc_u32_e32 v5, v3, v10
	v_add_nc_u32_e32 v8, 32, v9
	v_cmp_lt_i32_e32 vcc_lo, 15, v11
	v_sub_nc_u32_e32 v6, v6, v11
	v_sub_nc_u32_e32 v12, v5, v11
                                        ; implicit-def: $vgpr5
	v_lshl_add_u32 v13, v6, 2, v0
	ds_read_b32 v6, v14
	ds_read_b32 v7, v13 offset:64
	v_cmp_gt_i32_e64 s1, v8, v12
	s_waitcnt lgkmcnt(0)
	v_cmp_lt_i32_e64 s0, v7, v6
	s_or_b32 s0, vcc_lo, s0
	s_and_b32 vcc_lo, s1, s0
	s_xor_b32 s0, vcc_lo, -1
	s_and_saveexec_b32 s1, s0
	s_xor_b32 s0, exec_lo, s1
; %bb.37:
	ds_read_b32 v5, v14 offset:4
                                        ; implicit-def: $vgpr13
; %bb.38:
	s_or_saveexec_b32 s0, s0
	v_mov_b32_e32 v10, v7
	s_xor_b32 exec_lo, exec_lo, s0
	s_cbranch_execz .LBB28_40
; %bb.39:
	ds_read_b32 v10, v13 offset:68
	s_waitcnt lgkmcnt(1)
	v_mov_b32_e32 v5, v6
.LBB28_40:
	s_or_b32 exec_lo, exec_lo, s0
	v_add_nc_u32_e32 v9, v11, v9
	v_add_nc_u32_e32 v14, 1, v12
	s_waitcnt lgkmcnt(0)
	v_cmp_lt_i32_e64 s1, v10, v5
	v_add_nc_u32_e32 v11, 1, v9
	v_cndmask_b32_e32 v13, v11, v9, vcc_lo
	v_cndmask_b32_e32 v9, v12, v14, vcc_lo
                                        ; implicit-def: $vgpr11
	v_cmp_ge_i32_e64 s0, v13, v3
	v_cmp_lt_i32_e64 s2, v9, v8
	s_or_b32 s0, s0, s1
	s_and_b32 s0, s2, s0
	s_xor_b32 s1, s0, -1
	s_and_saveexec_b32 s2, s1
	s_xor_b32 s1, exec_lo, s2
; %bb.41:
	v_lshl_add_u32 v11, v13, 2, v0
	ds_read_b32 v11, v11 offset:4
; %bb.42:
	s_or_saveexec_b32 s1, s1
	v_mov_b32_e32 v12, v10
	s_xor_b32 exec_lo, exec_lo, s1
	s_cbranch_execz .LBB28_44
; %bb.43:
	s_waitcnt lgkmcnt(0)
	v_lshl_add_u32 v11, v9, 2, v0
	ds_read_b32 v12, v11 offset:4
	v_mov_b32_e32 v11, v5
.LBB28_44:
	s_or_b32 exec_lo, exec_lo, s1
	v_add_nc_u32_e32 v14, 1, v13
	v_add_nc_u32_e32 v16, 1, v9
	s_waitcnt lgkmcnt(0)
	v_cmp_lt_i32_e64 s2, v12, v11
	v_cndmask_b32_e64 v15, v14, v13, s0
	v_cndmask_b32_e64 v13, v9, v16, s0
                                        ; implicit-def: $vgpr14
	v_cmp_ge_i32_e64 s1, v15, v3
	v_cmp_lt_i32_e64 s3, v13, v8
	s_or_b32 s1, s1, s2
	s_and_b32 s1, s3, s1
	s_xor_b32 s2, s1, -1
	s_and_saveexec_b32 s3, s2
	s_xor_b32 s2, exec_lo, s3
; %bb.45:
	v_lshl_add_u32 v9, v15, 2, v0
	ds_read_b32 v14, v9 offset:4
; %bb.46:
	s_or_saveexec_b32 s2, s2
	v_mov_b32_e32 v16, v12
	s_xor_b32 exec_lo, exec_lo, s2
	s_cbranch_execz .LBB28_48
; %bb.47:
	v_lshl_add_u32 v9, v13, 2, v0
	s_waitcnt lgkmcnt(0)
	v_mov_b32_e32 v14, v11
	ds_read_b32 v16, v9 offset:4
.LBB28_48:
	s_or_b32 exec_lo, exec_lo, s2
	v_add_nc_u32_e32 v17, 1, v15
	v_add_nc_u32_e32 v18, 1, v13
	v_and_b32_e32 v9, 64, v1
	v_cndmask_b32_e64 v19, v5, v10, s0
	v_cndmask_b32_e64 v12, v11, v12, s1
	;; [unrolled: 1-line block ×4, first 2 shown]
	v_or_b32_e32 v5, 32, v9
	s_waitcnt lgkmcnt(0)
	v_cmp_lt_i32_e64 s0, v16, v14
	v_and_b32_e32 v11, 60, v1
	v_cmp_ge_i32_e64 s1, v10, v3
	v_cmp_lt_i32_e64 s2, v13, v8
	v_sub_nc_u32_e32 v3, v5, v9
	v_cndmask_b32_e32 v7, v6, v7, vcc_lo
	v_sub_nc_u32_e64 v10, v11, 32 clamp
	s_or_b32 s0, s1, s0
	s_and_b32 vcc_lo, s2, s0
	v_min_i32_e32 v6, v11, v3
	v_lshl_add_u32 v3, v9, 2, v0
	v_cndmask_b32_e32 v8, v14, v16, vcc_lo
	s_mov_b32 s0, exec_lo
	; wave barrier
	ds_write2_b32 v2, v7, v19 offset1:1
	ds_write2_b32 v2, v12, v8 offset0:2 offset1:3
	; wave barrier
	v_cmpx_lt_i32_e64 v10, v6
	s_cbranch_execz .LBB28_52
; %bb.49:
	v_lshl_add_u32 v7, v11, 2, v3
	s_mov_b32 s1, 0
	.p2align	6
.LBB28_50:                              ; =>This Inner Loop Header: Depth=1
	v_sub_nc_u32_e32 v8, v6, v10
	v_lshrrev_b32_e32 v8, 1, v8
	v_add_nc_u32_e32 v8, v8, v10
	v_not_b32_e32 v12, v8
	v_lshl_add_u32 v13, v8, 2, v3
	v_add_nc_u32_e32 v14, 1, v8
	v_lshl_add_u32 v12, v12, 2, v7
	ds_read_b32 v13, v13
	ds_read_b32 v12, v12 offset:128
	s_waitcnt lgkmcnt(0)
	v_cmp_lt_i32_e32 vcc_lo, v12, v13
	v_cndmask_b32_e32 v6, v6, v8, vcc_lo
	v_cndmask_b32_e32 v10, v14, v10, vcc_lo
	v_cmp_ge_i32_e32 vcc_lo, v10, v6
	s_or_b32 s1, vcc_lo, s1
	s_andn2_b32 exec_lo, exec_lo, s1
	s_cbranch_execnz .LBB28_50
; %bb.51:
	s_or_b32 exec_lo, exec_lo, s1
.LBB28_52:
	s_or_b32 exec_lo, exec_lo, s0
	v_add_nc_u32_e32 v6, v9, v11
	v_lshl_add_u32 v14, v10, 2, v3
	v_add_nc_u32_e32 v8, v5, v11
	v_add_nc_u32_e32 v7, 64, v9
	v_cmp_lt_i32_e32 vcc_lo, 31, v10
	v_sub_nc_u32_e32 v6, v6, v10
	v_sub_nc_u32_e32 v12, v8, v10
                                        ; implicit-def: $vgpr8
	v_lshl_add_u32 v13, v6, 2, v0
	ds_read_b32 v3, v14
	ds_read_b32 v6, v13 offset:128
	v_cmp_gt_i32_e64 s1, v7, v12
	s_waitcnt lgkmcnt(0)
	v_cmp_lt_i32_e64 s0, v6, v3
	s_or_b32 s0, vcc_lo, s0
	s_and_b32 vcc_lo, s1, s0
	s_xor_b32 s0, vcc_lo, -1
	s_and_saveexec_b32 s1, s0
	s_xor_b32 s0, exec_lo, s1
; %bb.53:
	ds_read_b32 v8, v14 offset:4
                                        ; implicit-def: $vgpr13
; %bb.54:
	s_or_saveexec_b32 s0, s0
	v_mov_b32_e32 v11, v6
	s_xor_b32 exec_lo, exec_lo, s0
	s_cbranch_execz .LBB28_56
; %bb.55:
	ds_read_b32 v11, v13 offset:132
	s_waitcnt lgkmcnt(1)
	v_mov_b32_e32 v8, v3
.LBB28_56:
	s_or_b32 exec_lo, exec_lo, s0
	v_add_nc_u32_e32 v9, v10, v9
	v_add_nc_u32_e32 v14, 1, v12
	s_waitcnt lgkmcnt(0)
	v_cmp_lt_i32_e64 s1, v11, v8
	v_add_nc_u32_e32 v10, 1, v9
	v_cndmask_b32_e32 v12, v12, v14, vcc_lo
	v_cndmask_b32_e32 v13, v10, v9, vcc_lo
	v_cmp_lt_i32_e64 s2, v12, v7
                                        ; implicit-def: $vgpr9
	v_cmp_ge_i32_e64 s0, v13, v5
	s_or_b32 s0, s0, s1
	s_and_b32 s0, s2, s0
	s_xor_b32 s1, s0, -1
	s_and_saveexec_b32 s2, s1
	s_xor_b32 s1, exec_lo, s2
; %bb.57:
	v_lshl_add_u32 v9, v13, 2, v0
	ds_read_b32 v9, v9 offset:4
; %bb.58:
	s_or_saveexec_b32 s1, s1
	v_mov_b32_e32 v10, v11
	s_xor_b32 exec_lo, exec_lo, s1
	s_cbranch_execz .LBB28_60
; %bb.59:
	s_waitcnt lgkmcnt(0)
	v_lshl_add_u32 v9, v12, 2, v0
	ds_read_b32 v10, v9 offset:4
	v_mov_b32_e32 v9, v8
.LBB28_60:
	s_or_b32 exec_lo, exec_lo, s1
	v_add_nc_u32_e32 v14, 1, v13
	v_add_nc_u32_e32 v16, 1, v12
	s_waitcnt lgkmcnt(0)
	v_cmp_lt_i32_e64 s2, v10, v9
	v_cndmask_b32_e64 v15, v14, v13, s0
	v_cndmask_b32_e64 v14, v12, v16, s0
                                        ; implicit-def: $vgpr12
	v_cmp_ge_i32_e64 s1, v15, v5
	v_cmp_lt_i32_e64 s3, v14, v7
	s_or_b32 s1, s1, s2
	s_and_b32 s1, s3, s1
	s_xor_b32 s2, s1, -1
	s_and_saveexec_b32 s3, s2
	s_xor_b32 s2, exec_lo, s3
; %bb.61:
	v_lshl_add_u32 v12, v15, 2, v0
	ds_read_b32 v12, v12 offset:4
; %bb.62:
	s_or_saveexec_b32 s2, s2
	v_mov_b32_e32 v13, v10
	s_xor_b32 exec_lo, exec_lo, s2
	s_cbranch_execz .LBB28_64
; %bb.63:
	s_waitcnt lgkmcnt(0)
	v_lshl_add_u32 v12, v14, 2, v0
	ds_read_b32 v13, v12 offset:4
	v_mov_b32_e32 v12, v9
.LBB28_64:
	s_or_b32 exec_lo, exec_lo, s2
	v_add_nc_u32_e32 v16, 1, v15
	v_add_nc_u32_e32 v17, 1, v14
	v_cndmask_b32_e64 v9, v9, v10, s1
	v_cndmask_b32_e32 v6, v3, v6, vcc_lo
	v_min_u32_e32 v3, 64, v1
	v_cndmask_b32_e64 v15, v16, v15, s1
	v_cndmask_b32_e64 v14, v14, v17, s1
	s_waitcnt lgkmcnt(0)
	v_cmp_lt_i32_e64 s1, v13, v12
	; wave barrier
	v_cmp_ge_i32_e64 s2, v15, v5
	v_cndmask_b32_e64 v5, v8, v11, s0
	v_cmp_lt_i32_e64 s0, v14, v7
	v_sub_nc_u32_e64 v7, v1, 64 clamp
	s_or_b32 s1, s2, s1
	s_and_b32 vcc_lo, s0, s1
	s_mov_b32 s0, exec_lo
	v_cndmask_b32_e32 v8, v12, v13, vcc_lo
	ds_write2_b32 v2, v6, v5 offset1:1
	ds_write2_b32 v2, v9, v8 offset0:2 offset1:3
	; wave barrier
	v_cmpx_lt_u32_e64 v7, v3
	s_cbranch_execz .LBB28_68
; %bb.65:
	s_mov_b32 s1, 0
	.p2align	6
.LBB28_66:                              ; =>This Inner Loop Header: Depth=1
	v_sub_nc_u32_e32 v5, v3, v7
	v_lshrrev_b32_e32 v5, 1, v5
	v_add_nc_u32_e32 v5, v5, v7
	v_not_b32_e32 v6, v5
	v_lshl_add_u32 v8, v5, 2, v0
	v_add_nc_u32_e32 v9, 1, v5
	v_lshl_add_u32 v6, v6, 2, v2
	ds_read_b32 v8, v8
	ds_read_b32 v6, v6 offset:256
	s_waitcnt lgkmcnt(0)
	v_cmp_lt_i32_e32 vcc_lo, v6, v8
	v_cndmask_b32_e32 v3, v3, v5, vcc_lo
	v_cndmask_b32_e32 v7, v9, v7, vcc_lo
	v_cmp_ge_i32_e32 vcc_lo, v7, v3
	s_or_b32 s1, vcc_lo, s1
	s_andn2_b32 exec_lo, exec_lo, s1
	s_cbranch_execnz .LBB28_66
; %bb.67:
	s_or_b32 exec_lo, exec_lo, s1
.LBB28_68:
	s_or_b32 exec_lo, exec_lo, s0
	v_sub_nc_u32_e32 v1, v1, v7
	v_lshl_add_u32 v6, v7, 2, v0
	v_cmp_lt_i32_e32 vcc_lo, 63, v7
	v_lshl_add_u32 v8, v1, 2, v0
	v_add_nc_u32_e32 v2, 64, v1
                                        ; implicit-def: $vgpr1
	ds_read_b32 v3, v6
	ds_read_b32 v5, v8 offset:256
	v_cmp_gt_i32_e64 s1, 0x80, v2
	s_waitcnt lgkmcnt(0)
	v_cmp_lt_i32_e64 s0, v5, v3
	s_or_b32 s0, vcc_lo, s0
	s_and_b32 vcc_lo, s1, s0
	s_xor_b32 s0, vcc_lo, -1
	s_and_saveexec_b32 s1, s0
	s_xor_b32 s0, exec_lo, s1
; %bb.69:
	ds_read_b32 v1, v6 offset:4
                                        ; implicit-def: $vgpr8
; %bb.70:
	s_or_saveexec_b32 s0, s0
	v_mov_b32_e32 v6, v5
	s_xor_b32 exec_lo, exec_lo, s0
	s_cbranch_execz .LBB28_72
; %bb.71:
	ds_read_b32 v6, v8 offset:260
	s_waitcnt lgkmcnt(1)
	v_mov_b32_e32 v1, v3
.LBB28_72:
	s_or_b32 exec_lo, exec_lo, s0
	v_add_nc_u32_e32 v8, 1, v7
	v_add_nc_u32_e32 v10, 1, v2
	s_waitcnt lgkmcnt(0)
	v_cmp_lt_i32_e64 s1, v6, v1
	v_cndmask_b32_e32 v9, v8, v7, vcc_lo
	v_cndmask_b32_e32 v2, v2, v10, vcc_lo
                                        ; implicit-def: $vgpr8
	v_cmp_lt_i32_e64 s0, 63, v9
	v_cmp_gt_i32_e64 s2, 0x80, v2
	s_or_b32 s0, s0, s1
	s_and_b32 s0, s2, s0
	s_xor_b32 s1, s0, -1
	s_and_saveexec_b32 s2, s1
	s_xor_b32 s1, exec_lo, s2
; %bb.73:
	v_lshl_add_u32 v7, v9, 2, v0
	ds_read_b32 v8, v7 offset:4
; %bb.74:
	s_or_saveexec_b32 s1, s1
	v_mov_b32_e32 v7, v6
	s_xor_b32 exec_lo, exec_lo, s1
	s_cbranch_execz .LBB28_76
; %bb.75:
	v_lshl_add_u32 v7, v2, 2, v0
	s_waitcnt lgkmcnt(0)
	v_mov_b32_e32 v8, v1
	ds_read_b32 v7, v7 offset:4
.LBB28_76:
	s_or_b32 exec_lo, exec_lo, s1
	v_add_nc_u32_e32 v10, 1, v9
	v_add_nc_u32_e32 v12, 1, v2
	s_waitcnt lgkmcnt(0)
	v_cmp_ge_i32_e64 s2, v7, v8
	v_cndmask_b32_e64 v11, v10, v9, s0
	v_cndmask_b32_e64 v9, v2, v12, s0
                                        ; implicit-def: $vgpr10
                                        ; implicit-def: $vgpr12
	v_cmp_gt_i32_e64 s1, 64, v11
	v_cmp_lt_i32_e64 s3, 0x7f, v9
	s_and_b32 s1, s1, s2
	s_or_b32 s1, s3, s1
	s_and_saveexec_b32 s2, s1
	s_xor_b32 s1, exec_lo, s2
; %bb.77:
	v_lshl_add_u32 v0, v11, 2, v0
	v_add_nc_u32_e32 v12, 1, v11
                                        ; implicit-def: $vgpr11
	ds_read_b32 v10, v0 offset:4
                                        ; implicit-def: $vgpr0
; %bb.78:
	s_or_saveexec_b32 s1, s1
	v_mov_b32_e32 v2, v8
	s_xor_b32 exec_lo, exec_lo, s1
	s_cbranch_execz .LBB28_80
; %bb.79:
	v_lshl_add_u32 v0, v9, 2, v0
	v_add_nc_u32_e32 v9, 1, v9
	v_mov_b32_e32 v2, v7
	v_mov_b32_e32 v12, v11
	s_waitcnt lgkmcnt(0)
	v_mov_b32_e32 v10, v8
	ds_read_b32 v0, v0 offset:4
	s_waitcnt lgkmcnt(0)
	v_mov_b32_e32 v7, v0
.LBB28_80:
	s_or_b32 exec_lo, exec_lo, s1
	v_cmp_lt_i32_e64 s1, 63, v12
	s_waitcnt lgkmcnt(0)
	v_cmp_lt_i32_e64 s2, v7, v10
	v_cmp_gt_i32_e64 s3, 0x80, v9
	v_cndmask_b32_e64 v1, v1, v6, s0
	v_cndmask_b32_e32 v0, v3, v5, vcc_lo
	v_lshlrev_b32_e32 v4, 2, v4
	s_or_b32 s0, s1, s2
	s_and_b32 vcc_lo, s3, s0
	s_add_u32 s0, s10, s4
	v_cndmask_b32_e32 v3, v10, v7, vcc_lo
	s_addc_u32 s1, s11, s5
	global_store_dwordx4 v4, v[0:3], s[0:1]
	s_endpgm
	.section	.rodata,"a",@progbits
	.p2align	6, 0x0
	.amdhsa_kernel _Z9sort_keysILj256ELj32ELj4EiN10test_utils4lessEEvPKT2_PS2_T3_
		.amdhsa_group_segment_fixed_size 4128
		.amdhsa_private_segment_fixed_size 0
		.amdhsa_kernarg_size 20
		.amdhsa_user_sgpr_count 6
		.amdhsa_user_sgpr_private_segment_buffer 1
		.amdhsa_user_sgpr_dispatch_ptr 0
		.amdhsa_user_sgpr_queue_ptr 0
		.amdhsa_user_sgpr_kernarg_segment_ptr 1
		.amdhsa_user_sgpr_dispatch_id 0
		.amdhsa_user_sgpr_flat_scratch_init 0
		.amdhsa_user_sgpr_private_segment_size 0
		.amdhsa_wavefront_size32 1
		.amdhsa_uses_dynamic_stack 0
		.amdhsa_system_sgpr_private_segment_wavefront_offset 0
		.amdhsa_system_sgpr_workgroup_id_x 1
		.amdhsa_system_sgpr_workgroup_id_y 0
		.amdhsa_system_sgpr_workgroup_id_z 0
		.amdhsa_system_sgpr_workgroup_info 0
		.amdhsa_system_vgpr_workitem_id 0
		.amdhsa_next_free_vgpr 20
		.amdhsa_next_free_sgpr 12
		.amdhsa_reserve_vcc 1
		.amdhsa_reserve_flat_scratch 0
		.amdhsa_float_round_mode_32 0
		.amdhsa_float_round_mode_16_64 0
		.amdhsa_float_denorm_mode_32 3
		.amdhsa_float_denorm_mode_16_64 3
		.amdhsa_dx10_clamp 1
		.amdhsa_ieee_mode 1
		.amdhsa_fp16_overflow 0
		.amdhsa_workgroup_processor_mode 1
		.amdhsa_memory_ordered 1
		.amdhsa_forward_progress 1
		.amdhsa_shared_vgpr_count 0
		.amdhsa_exception_fp_ieee_invalid_op 0
		.amdhsa_exception_fp_denorm_src 0
		.amdhsa_exception_fp_ieee_div_zero 0
		.amdhsa_exception_fp_ieee_overflow 0
		.amdhsa_exception_fp_ieee_underflow 0
		.amdhsa_exception_fp_ieee_inexact 0
		.amdhsa_exception_int_div_zero 0
	.end_amdhsa_kernel
	.section	.text._Z9sort_keysILj256ELj32ELj4EiN10test_utils4lessEEvPKT2_PS2_T3_,"axG",@progbits,_Z9sort_keysILj256ELj32ELj4EiN10test_utils4lessEEvPKT2_PS2_T3_,comdat
.Lfunc_end28:
	.size	_Z9sort_keysILj256ELj32ELj4EiN10test_utils4lessEEvPKT2_PS2_T3_, .Lfunc_end28-_Z9sort_keysILj256ELj32ELj4EiN10test_utils4lessEEvPKT2_PS2_T3_
                                        ; -- End function
	.set _Z9sort_keysILj256ELj32ELj4EiN10test_utils4lessEEvPKT2_PS2_T3_.num_vgpr, 20
	.set _Z9sort_keysILj256ELj32ELj4EiN10test_utils4lessEEvPKT2_PS2_T3_.num_agpr, 0
	.set _Z9sort_keysILj256ELj32ELj4EiN10test_utils4lessEEvPKT2_PS2_T3_.numbered_sgpr, 12
	.set _Z9sort_keysILj256ELj32ELj4EiN10test_utils4lessEEvPKT2_PS2_T3_.num_named_barrier, 0
	.set _Z9sort_keysILj256ELj32ELj4EiN10test_utils4lessEEvPKT2_PS2_T3_.private_seg_size, 0
	.set _Z9sort_keysILj256ELj32ELj4EiN10test_utils4lessEEvPKT2_PS2_T3_.uses_vcc, 1
	.set _Z9sort_keysILj256ELj32ELj4EiN10test_utils4lessEEvPKT2_PS2_T3_.uses_flat_scratch, 0
	.set _Z9sort_keysILj256ELj32ELj4EiN10test_utils4lessEEvPKT2_PS2_T3_.has_dyn_sized_stack, 0
	.set _Z9sort_keysILj256ELj32ELj4EiN10test_utils4lessEEvPKT2_PS2_T3_.has_recursion, 0
	.set _Z9sort_keysILj256ELj32ELj4EiN10test_utils4lessEEvPKT2_PS2_T3_.has_indirect_call, 0
	.section	.AMDGPU.csdata,"",@progbits
; Kernel info:
; codeLenInByte = 3660
; TotalNumSgprs: 14
; NumVgprs: 20
; ScratchSize: 0
; MemoryBound: 0
; FloatMode: 240
; IeeeMode: 1
; LDSByteSize: 4128 bytes/workgroup (compile time only)
; SGPRBlocks: 0
; VGPRBlocks: 2
; NumSGPRsForWavesPerEU: 14
; NumVGPRsForWavesPerEU: 20
; Occupancy: 16
; WaveLimiterHint : 0
; COMPUTE_PGM_RSRC2:SCRATCH_EN: 0
; COMPUTE_PGM_RSRC2:USER_SGPR: 6
; COMPUTE_PGM_RSRC2:TRAP_HANDLER: 0
; COMPUTE_PGM_RSRC2:TGID_X_EN: 1
; COMPUTE_PGM_RSRC2:TGID_Y_EN: 0
; COMPUTE_PGM_RSRC2:TGID_Z_EN: 0
; COMPUTE_PGM_RSRC2:TIDIG_COMP_CNT: 0
	.section	.text._Z10sort_pairsILj256ELj32ELj4EiN10test_utils4lessEEvPKT2_PS2_T3_,"axG",@progbits,_Z10sort_pairsILj256ELj32ELj4EiN10test_utils4lessEEvPKT2_PS2_T3_,comdat
	.protected	_Z10sort_pairsILj256ELj32ELj4EiN10test_utils4lessEEvPKT2_PS2_T3_ ; -- Begin function _Z10sort_pairsILj256ELj32ELj4EiN10test_utils4lessEEvPKT2_PS2_T3_
	.globl	_Z10sort_pairsILj256ELj32ELj4EiN10test_utils4lessEEvPKT2_PS2_T3_
	.p2align	8
	.type	_Z10sort_pairsILj256ELj32ELj4EiN10test_utils4lessEEvPKT2_PS2_T3_,@function
_Z10sort_pairsILj256ELj32ELj4EiN10test_utils4lessEEvPKT2_PS2_T3_: ; @_Z10sort_pairsILj256ELj32ELj4EiN10test_utils4lessEEvPKT2_PS2_T3_
; %bb.0:
	s_load_dwordx4 s[8:11], s[4:5], 0x0
	s_mov_b32 s7, 0
	s_lshl_b32 s6, s6, 10
	v_lshlrev_b32_e32 v1, 4, v0
	s_lshl_b64 s[12:13], s[6:7], 2
	v_mbcnt_lo_u32_b32 v8, -1, 0
	v_lshlrev_b32_e32 v5, 2, v0
	v_lshrrev_b32_e32 v6, 5, v0
	v_mov_b32_e32 v13, 0
	s_mov_b32 s6, exec_lo
	v_lshlrev_b32_e32 v7, 2, v8
	v_lshlrev_b32_e32 v12, 4, v8
	v_and_b32_e32 v16, 0x78, v7
	v_and_b32_e32 v11, 4, v7
	s_waitcnt lgkmcnt(0)
	s_add_u32 s0, s8, s12
	s_addc_u32 s1, s9, s13
	global_load_dwordx4 v[1:4], v1, s[0:1]
	; wave barrier
	s_waitcnt vmcnt(0)
	v_cmp_lt_i32_e32 vcc_lo, v2, v1
	v_cmp_lt_i32_e64 s0, v4, v3
	v_min_i32_e32 v9, v4, v3
	v_cndmask_b32_e32 v10, v2, v1, vcc_lo
	v_cndmask_b32_e32 v0, v1, v2, vcc_lo
	v_cndmask_b32_e64 v8, v3, v4, s0
	v_cndmask_b32_e64 v14, v4, v3, s0
	v_cmp_lt_i32_e64 s2, v9, v10
	v_min_i32_e32 v15, v9, v10
	v_cndmask_b32_e64 v17, v8, v10, s2
	v_cndmask_b32_e64 v9, v10, v9, s2
	v_cmp_lt_i32_e64 s1, v15, v0
	v_or_b32_e32 v8, 4, v16
	v_cmp_lt_i32_e64 s3, v14, v17
	v_min_i32_e32 v18, v14, v17
	v_cndmask_b32_e64 v19, v9, v0, s1
	v_lshlrev_b32_e32 v9, 2, v16
	v_sub_nc_u32_e32 v10, v8, v16
	v_cndmask_b32_e64 v20, v14, v17, s3
	v_cndmask_b32_e64 v14, v17, v14, s3
	v_cmp_lt_i32_e64 s4, v18, v19
	v_cndmask_b32_e64 v15, v0, v15, s1
	v_mad_u32_u24 v0, 0x204, v6, v12
	v_mad_u32_u24 v9, 0x204, v6, v9
	v_min_i32_e32 v10, v11, v10
	v_cndmask_b32_e64 v12, v14, v19, s4
	v_cndmask_b32_e64 v14, v19, v18, s4
	ds_write2_b32 v0, v12, v20 offset0:2 offset1:3
	ds_write2_b32 v0, v15, v14 offset1:1
	; wave barrier
	v_cmpx_lt_i32_e32 0, v10
	s_cbranch_execz .LBB29_4
; %bb.1:
	v_lshl_add_u32 v12, v11, 2, v9
	v_mov_b32_e32 v13, 0
	.p2align	6
.LBB29_2:                               ; =>This Inner Loop Header: Depth=1
	v_sub_nc_u32_e32 v14, v10, v13
	v_lshrrev_b32_e32 v14, 1, v14
	v_add_nc_u32_e32 v14, v14, v13
	v_not_b32_e32 v15, v14
	v_lshl_add_u32 v17, v14, 2, v9
	v_add_nc_u32_e32 v18, 1, v14
	v_lshl_add_u32 v15, v15, 2, v12
	ds_read_b32 v17, v17
	ds_read_b32 v15, v15 offset:16
	s_waitcnt lgkmcnt(0)
	v_cmp_lt_i32_e64 s5, v15, v17
	v_cndmask_b32_e64 v10, v10, v14, s5
	v_cndmask_b32_e64 v13, v18, v13, s5
	v_cmp_ge_i32_e64 s5, v13, v10
	s_or_b32 s7, s5, s7
	s_andn2_b32 exec_lo, exec_lo, s7
	s_cbranch_execnz .LBB29_2
; %bb.3:
	s_or_b32 exec_lo, exec_lo, s7
.LBB29_4:
	s_or_b32 exec_lo, exec_lo, s6
	v_add_nc_u32_e32 v10, v16, v11
	v_mul_u32_u24_e32 v6, 0x204, v6
	v_lshl_add_u32 v12, v13, 2, v9
	v_add_nc_u32_e32 v11, v8, v11
	v_add_nc_u32_e32 v14, 8, v16
	v_sub_nc_u32_e32 v10, v10, v13
	v_cmp_lt_i32_e64 s5, 3, v13
	v_sub_nc_u32_e32 v15, v11, v13
                                        ; implicit-def: $vgpr11
	v_lshl_add_u32 v17, v10, 2, v6
	ds_read_b32 v9, v12
	ds_read_b32 v10, v17 offset:16
	v_cmp_gt_i32_e64 s7, v14, v15
	s_waitcnt lgkmcnt(0)
	v_cmp_lt_i32_e64 s6, v10, v9
	s_or_b32 s5, s5, s6
	s_and_b32 s5, s7, s5
	s_xor_b32 s6, s5, -1
	s_and_saveexec_b32 s7, s6
	s_xor_b32 s6, exec_lo, s7
; %bb.5:
	ds_read_b32 v11, v12 offset:4
                                        ; implicit-def: $vgpr17
; %bb.6:
	s_or_saveexec_b32 s6, s6
	v_mov_b32_e32 v12, v10
	s_xor_b32 exec_lo, exec_lo, s6
	s_cbranch_execz .LBB29_8
; %bb.7:
	ds_read_b32 v12, v17 offset:20
	s_waitcnt lgkmcnt(1)
	v_mov_b32_e32 v11, v9
.LBB29_8:
	s_or_b32 exec_lo, exec_lo, s6
	v_add_nc_u32_e32 v17, v13, v16
	v_add_nc_u32_e32 v16, 1, v15
	s_waitcnt lgkmcnt(0)
	v_cmp_lt_i32_e64 s7, v12, v11
	v_add_nc_u32_e32 v13, 1, v17
	v_cndmask_b32_e64 v19, v15, v16, s5
	v_cndmask_b32_e64 v18, v13, v17, s5
	v_cmp_lt_i32_e64 s8, v19, v14
                                        ; implicit-def: $vgpr13
	v_cmp_ge_i32_e64 s6, v18, v8
	s_or_b32 s6, s6, s7
	s_and_b32 s6, s8, s6
	s_xor_b32 s7, s6, -1
	s_and_saveexec_b32 s8, s7
	s_xor_b32 s7, exec_lo, s8
; %bb.9:
	v_lshl_add_u32 v13, v18, 2, v6
	ds_read_b32 v13, v13 offset:4
; %bb.10:
	s_or_saveexec_b32 s7, s7
	v_mov_b32_e32 v16, v12
	s_xor_b32 exec_lo, exec_lo, s7
	s_cbranch_execz .LBB29_12
; %bb.11:
	s_waitcnt lgkmcnt(0)
	v_lshl_add_u32 v13, v19, 2, v6
	ds_read_b32 v16, v13 offset:4
	v_mov_b32_e32 v13, v11
.LBB29_12:
	s_or_b32 exec_lo, exec_lo, s7
	v_add_nc_u32_e32 v20, 1, v18
	v_add_nc_u32_e32 v22, 1, v19
	s_waitcnt lgkmcnt(0)
	v_cmp_lt_i32_e64 s8, v16, v13
	v_cndmask_b32_e64 v21, v20, v18, s6
	v_cndmask_b32_e64 v22, v19, v22, s6
                                        ; implicit-def: $vgpr20
	v_cmp_ge_i32_e64 s7, v21, v8
	v_cmp_lt_i32_e64 s9, v22, v14
	s_or_b32 s7, s7, s8
	s_and_b32 s7, s9, s7
	s_xor_b32 s8, s7, -1
	s_and_saveexec_b32 s9, s8
	s_xor_b32 s8, exec_lo, s9
; %bb.13:
	v_lshl_add_u32 v20, v21, 2, v6
	ds_read_b32 v20, v20 offset:4
; %bb.14:
	s_or_saveexec_b32 s8, s8
	v_mov_b32_e32 v23, v16
	s_xor_b32 exec_lo, exec_lo, s8
	s_cbranch_execz .LBB29_16
; %bb.15:
	s_waitcnt lgkmcnt(0)
	v_lshl_add_u32 v20, v22, 2, v6
	ds_read_b32 v23, v20 offset:4
	v_mov_b32_e32 v20, v13
.LBB29_16:
	s_or_b32 exec_lo, exec_lo, s8
	v_add_nc_u32_e32 v1, 1, v1
	v_add_nc_u32_e32 v2, 1, v2
	;; [unrolled: 1-line block ×6, first 2 shown]
	v_cndmask_b32_e32 v26, v2, v1, vcc_lo
	v_cndmask_b32_e32 v1, v1, v2, vcc_lo
	v_cndmask_b32_e64 v27, v3, v4, s0
	v_cndmask_b32_e64 v25, v25, v21, s7
	;; [unrolled: 1-line block ×4, first 2 shown]
	s_waitcnt lgkmcnt(0)
	v_cmp_lt_i32_e64 s0, v23, v20
	v_cndmask_b32_e64 v3, v26, v27, s2
	v_cndmask_b32_e64 v4, v27, v26, s2
	v_cmp_ge_i32_e32 vcc_lo, v25, v8
	v_cndmask_b32_e64 v18, v18, v19, s6
	v_cndmask_b32_e64 v15, v17, v15, s5
	;; [unrolled: 1-line block ×5, first 2 shown]
	v_cmp_lt_i32_e64 s1, v24, v14
	s_or_b32 s0, vcc_lo, s0
	v_cndmask_b32_e64 v2, v2, v4, s3
	v_cndmask_b32_e64 v4, v17, v19, s4
	;; [unrolled: 1-line block ×3, first 2 shown]
	s_and_b32 vcc_lo, s1, s0
	v_cndmask_b32_e64 v21, v21, v22, s7
	v_cndmask_b32_e32 v8, v25, v24, vcc_lo
	; wave barrier
	ds_write2_b32 v0, v1, v4 offset1:1
	ds_write2_b32 v0, v3, v2 offset0:2 offset1:3
	v_lshl_add_u32 v1, v15, 2, v6
	v_lshl_add_u32 v2, v18, 2, v6
	;; [unrolled: 1-line block ×4, first 2 shown]
	; wave barrier
	ds_read_b32 v1, v1
	ds_read_b32 v2, v2
	;; [unrolled: 1-line block ×4, first 2 shown]
	v_and_b32_e32 v15, 0x70, v7
	v_and_b32_e32 v14, 12, v7
	v_cndmask_b32_e64 v13, v13, v16, s7
	v_cndmask_b32_e64 v12, v11, v12, s6
	;; [unrolled: 1-line block ×3, first 2 shown]
	v_or_b32_e32 v8, 8, v15
	v_sub_nc_u32_e64 v16, v14, 8 clamp
	v_lshl_add_u32 v9, v15, 2, v6
	v_cndmask_b32_e32 v17, v20, v23, vcc_lo
	s_mov_b32 s0, exec_lo
	v_sub_nc_u32_e32 v18, v8, v15
	; wave barrier
	ds_write2_b32 v0, v10, v12 offset1:1
	ds_write2_b32 v0, v13, v17 offset0:2 offset1:3
	v_min_i32_e32 v11, v14, v18
	; wave barrier
	v_cmpx_lt_i32_e64 v16, v11
	s_cbranch_execz .LBB29_20
; %bb.17:
	v_lshl_add_u32 v10, v14, 2, v9
	s_mov_b32 s1, 0
	.p2align	6
.LBB29_18:                              ; =>This Inner Loop Header: Depth=1
	v_sub_nc_u32_e32 v12, v11, v16
	v_lshrrev_b32_e32 v12, 1, v12
	v_add_nc_u32_e32 v12, v12, v16
	v_not_b32_e32 v13, v12
	v_lshl_add_u32 v17, v12, 2, v9
	v_add_nc_u32_e32 v18, 1, v12
	v_lshl_add_u32 v13, v13, 2, v10
	ds_read_b32 v17, v17
	ds_read_b32 v13, v13 offset:32
	s_waitcnt lgkmcnt(0)
	v_cmp_lt_i32_e32 vcc_lo, v13, v17
	v_cndmask_b32_e32 v11, v11, v12, vcc_lo
	v_cndmask_b32_e32 v16, v18, v16, vcc_lo
	v_cmp_ge_i32_e32 vcc_lo, v16, v11
	s_or_b32 s1, vcc_lo, s1
	s_andn2_b32 exec_lo, exec_lo, s1
	s_cbranch_execnz .LBB29_18
; %bb.19:
	s_or_b32 exec_lo, exec_lo, s1
.LBB29_20:
	s_or_b32 exec_lo, exec_lo, s0
	v_add_nc_u32_e32 v10, v15, v14
	v_lshl_add_u32 v12, v16, 2, v9
	v_add_nc_u32_e32 v11, v8, v14
	v_add_nc_u32_e32 v13, 16, v15
	v_cmp_lt_i32_e32 vcc_lo, 7, v16
	v_sub_nc_u32_e32 v10, v10, v16
	v_sub_nc_u32_e32 v14, v11, v16
                                        ; implicit-def: $vgpr11
	v_lshl_add_u32 v17, v10, 2, v6
	ds_read_b32 v9, v12
	ds_read_b32 v10, v17 offset:32
	v_cmp_gt_i32_e64 s1, v13, v14
	s_waitcnt lgkmcnt(0)
	v_cmp_lt_i32_e64 s0, v10, v9
	s_or_b32 s0, vcc_lo, s0
	s_and_b32 vcc_lo, s1, s0
	s_xor_b32 s0, vcc_lo, -1
	s_and_saveexec_b32 s1, s0
	s_xor_b32 s0, exec_lo, s1
; %bb.21:
	ds_read_b32 v11, v12 offset:4
                                        ; implicit-def: $vgpr17
; %bb.22:
	s_or_saveexec_b32 s0, s0
	v_mov_b32_e32 v12, v10
	s_xor_b32 exec_lo, exec_lo, s0
	s_cbranch_execz .LBB29_24
; %bb.23:
	ds_read_b32 v12, v17 offset:36
	s_waitcnt lgkmcnt(1)
	v_mov_b32_e32 v11, v9
.LBB29_24:
	s_or_b32 exec_lo, exec_lo, s0
	v_add_nc_u32_e32 v15, v16, v15
	v_add_nc_u32_e32 v17, 1, v14
	s_waitcnt lgkmcnt(0)
	v_cmp_lt_i32_e64 s1, v12, v11
	v_add_nc_u32_e32 v16, 1, v15
	v_cndmask_b32_e32 v19, v14, v17, vcc_lo
	v_cndmask_b32_e32 v18, v16, v15, vcc_lo
	v_cmp_lt_i32_e64 s2, v19, v13
                                        ; implicit-def: $vgpr16
	v_cmp_ge_i32_e64 s0, v18, v8
	s_or_b32 s0, s0, s1
	s_and_b32 s0, s2, s0
	s_xor_b32 s1, s0, -1
	s_and_saveexec_b32 s2, s1
	s_xor_b32 s1, exec_lo, s2
; %bb.25:
	v_lshl_add_u32 v16, v18, 2, v6
	ds_read_b32 v16, v16 offset:4
; %bb.26:
	s_or_saveexec_b32 s1, s1
	v_mov_b32_e32 v17, v12
	s_xor_b32 exec_lo, exec_lo, s1
	s_cbranch_execz .LBB29_28
; %bb.27:
	s_waitcnt lgkmcnt(0)
	v_lshl_add_u32 v16, v19, 2, v6
	ds_read_b32 v17, v16 offset:4
	v_mov_b32_e32 v16, v11
.LBB29_28:
	s_or_b32 exec_lo, exec_lo, s1
	v_add_nc_u32_e32 v20, 1, v18
	v_add_nc_u32_e32 v21, 1, v19
	s_waitcnt lgkmcnt(0)
	v_cmp_lt_i32_e64 s2, v17, v16
	v_cndmask_b32_e64 v22, v20, v18, s0
	v_cndmask_b32_e64 v21, v19, v21, s0
                                        ; implicit-def: $vgpr20
	v_cmp_ge_i32_e64 s1, v22, v8
	v_cmp_lt_i32_e64 s3, v21, v13
	s_or_b32 s1, s1, s2
	s_and_b32 s1, s3, s1
	s_xor_b32 s2, s1, -1
	s_and_saveexec_b32 s3, s2
	s_xor_b32 s2, exec_lo, s3
; %bb.29:
	v_lshl_add_u32 v20, v22, 2, v6
	ds_read_b32 v20, v20 offset:4
; %bb.30:
	s_or_saveexec_b32 s2, s2
	v_mov_b32_e32 v23, v17
	s_xor_b32 exec_lo, exec_lo, s2
	s_cbranch_execz .LBB29_32
; %bb.31:
	s_waitcnt lgkmcnt(0)
	v_lshl_add_u32 v20, v21, 2, v6
	ds_read_b32 v23, v20 offset:4
	v_mov_b32_e32 v20, v16
.LBB29_32:
	s_or_b32 exec_lo, exec_lo, s2
	v_add_nc_u32_e32 v24, 1, v22
	v_add_nc_u32_e32 v25, 1, v21
	v_cndmask_b32_e64 v18, v18, v19, s0
	v_cndmask_b32_e32 v14, v15, v14, vcc_lo
	s_waitcnt lgkmcnt(0)
	v_cmp_lt_i32_e64 s2, v23, v20
	v_cndmask_b32_e64 v19, v24, v22, s1
	v_cndmask_b32_e64 v15, v21, v25, s1
	;; [unrolled: 1-line block ×3, first 2 shown]
	; wave barrier
	v_cmp_ge_i32_e64 s3, v19, v8
	v_cmp_lt_i32_e64 s4, v15, v13
	ds_write2_b32 v0, v1, v2 offset1:1
	ds_write2_b32 v0, v3, v4 offset0:2 offset1:3
	v_lshl_add_u32 v2, v14, 2, v6
	v_lshl_add_u32 v3, v18, 2, v6
	s_or_b32 s2, s3, s2
	v_lshl_add_u32 v4, v26, 2, v6
	s_and_b32 s2, s4, s2
	v_cndmask_b32_e64 v1, v19, v15, s2
	; wave barrier
	v_and_b32_e32 v15, 0x60, v7
	v_and_b32_e32 v13, 28, v7
	v_cndmask_b32_e64 v17, v16, v17, s1
	v_lshl_add_u32 v8, v1, 2, v6
	v_cndmask_b32_e64 v12, v11, v12, s0
	ds_read_b32 v1, v2
	ds_read_b32 v2, v3
	;; [unrolled: 1-line block ×4, first 2 shown]
	v_or_b32_e32 v8, 16, v15
	v_sub_nc_u32_e64 v16, v13, 16 clamp
	v_cndmask_b32_e32 v10, v9, v10, vcc_lo
	v_lshl_add_u32 v9, v15, 2, v6
	v_cndmask_b32_e64 v20, v20, v23, s2
	v_sub_nc_u32_e32 v14, v8, v15
	s_mov_b32 s0, exec_lo
	; wave barrier
	ds_write2_b32 v0, v10, v12 offset1:1
	ds_write2_b32 v0, v17, v20 offset0:2 offset1:3
	v_min_i32_e32 v11, v13, v14
	; wave barrier
	v_cmpx_lt_i32_e64 v16, v11
	s_cbranch_execz .LBB29_36
; %bb.33:
	v_lshl_add_u32 v10, v13, 2, v9
	s_mov_b32 s1, 0
	.p2align	6
.LBB29_34:                              ; =>This Inner Loop Header: Depth=1
	v_sub_nc_u32_e32 v12, v11, v16
	v_lshrrev_b32_e32 v12, 1, v12
	v_add_nc_u32_e32 v12, v12, v16
	v_not_b32_e32 v14, v12
	v_lshl_add_u32 v17, v12, 2, v9
	v_add_nc_u32_e32 v18, 1, v12
	v_lshl_add_u32 v14, v14, 2, v10
	ds_read_b32 v17, v17
	ds_read_b32 v14, v14 offset:64
	s_waitcnt lgkmcnt(0)
	v_cmp_lt_i32_e32 vcc_lo, v14, v17
	v_cndmask_b32_e32 v11, v11, v12, vcc_lo
	v_cndmask_b32_e32 v16, v18, v16, vcc_lo
	v_cmp_ge_i32_e32 vcc_lo, v16, v11
	s_or_b32 s1, vcc_lo, s1
	s_andn2_b32 exec_lo, exec_lo, s1
	s_cbranch_execnz .LBB29_34
; %bb.35:
	s_or_b32 exec_lo, exec_lo, s1
.LBB29_36:
	s_or_b32 exec_lo, exec_lo, s0
	v_add_nc_u32_e32 v10, v15, v13
	v_lshl_add_u32 v12, v16, 2, v9
	v_add_nc_u32_e32 v11, v8, v13
	v_add_nc_u32_e32 v13, 32, v15
	v_cmp_lt_i32_e32 vcc_lo, 15, v16
	v_sub_nc_u32_e32 v10, v10, v16
	v_sub_nc_u32_e32 v14, v11, v16
                                        ; implicit-def: $vgpr11
	v_lshl_add_u32 v17, v10, 2, v6
	ds_read_b32 v9, v12
	ds_read_b32 v10, v17 offset:64
	v_cmp_gt_i32_e64 s1, v13, v14
	s_waitcnt lgkmcnt(0)
	v_cmp_lt_i32_e64 s0, v10, v9
	s_or_b32 s0, vcc_lo, s0
	s_and_b32 vcc_lo, s1, s0
	s_xor_b32 s0, vcc_lo, -1
	s_and_saveexec_b32 s1, s0
	s_xor_b32 s0, exec_lo, s1
; %bb.37:
	ds_read_b32 v11, v12 offset:4
                                        ; implicit-def: $vgpr17
; %bb.38:
	s_or_saveexec_b32 s0, s0
	v_mov_b32_e32 v12, v10
	s_xor_b32 exec_lo, exec_lo, s0
	s_cbranch_execz .LBB29_40
; %bb.39:
	ds_read_b32 v12, v17 offset:68
	s_waitcnt lgkmcnt(1)
	v_mov_b32_e32 v11, v9
.LBB29_40:
	s_or_b32 exec_lo, exec_lo, s0
	v_add_nc_u32_e32 v15, v16, v15
	v_add_nc_u32_e32 v17, 1, v14
	s_waitcnt lgkmcnt(0)
	v_cmp_lt_i32_e64 s1, v12, v11
	v_add_nc_u32_e32 v16, 1, v15
	v_cndmask_b32_e32 v19, v14, v17, vcc_lo
	v_cndmask_b32_e32 v18, v16, v15, vcc_lo
	v_cmp_lt_i32_e64 s2, v19, v13
                                        ; implicit-def: $vgpr16
	v_cmp_ge_i32_e64 s0, v18, v8
	s_or_b32 s0, s0, s1
	s_and_b32 s0, s2, s0
	s_xor_b32 s1, s0, -1
	s_and_saveexec_b32 s2, s1
	s_xor_b32 s1, exec_lo, s2
; %bb.41:
	v_lshl_add_u32 v16, v18, 2, v6
	ds_read_b32 v16, v16 offset:4
; %bb.42:
	s_or_saveexec_b32 s1, s1
	v_mov_b32_e32 v17, v12
	s_xor_b32 exec_lo, exec_lo, s1
	s_cbranch_execz .LBB29_44
; %bb.43:
	s_waitcnt lgkmcnt(0)
	v_lshl_add_u32 v16, v19, 2, v6
	ds_read_b32 v17, v16 offset:4
	v_mov_b32_e32 v16, v11
.LBB29_44:
	s_or_b32 exec_lo, exec_lo, s1
	v_add_nc_u32_e32 v20, 1, v18
	v_add_nc_u32_e32 v21, 1, v19
	s_waitcnt lgkmcnt(0)
	v_cmp_lt_i32_e64 s2, v17, v16
	v_cndmask_b32_e64 v22, v20, v18, s0
	v_cndmask_b32_e64 v21, v19, v21, s0
                                        ; implicit-def: $vgpr20
	v_cmp_ge_i32_e64 s1, v22, v8
	v_cmp_lt_i32_e64 s3, v21, v13
	s_or_b32 s1, s1, s2
	s_and_b32 s1, s3, s1
	s_xor_b32 s2, s1, -1
	s_and_saveexec_b32 s3, s2
	s_xor_b32 s2, exec_lo, s3
; %bb.45:
	v_lshl_add_u32 v20, v22, 2, v6
	ds_read_b32 v20, v20 offset:4
; %bb.46:
	s_or_saveexec_b32 s2, s2
	v_mov_b32_e32 v23, v17
	s_xor_b32 exec_lo, exec_lo, s2
	s_cbranch_execz .LBB29_48
; %bb.47:
	s_waitcnt lgkmcnt(0)
	v_lshl_add_u32 v20, v21, 2, v6
	ds_read_b32 v23, v20 offset:4
	v_mov_b32_e32 v20, v16
.LBB29_48:
	s_or_b32 exec_lo, exec_lo, s2
	v_add_nc_u32_e32 v24, 1, v22
	v_add_nc_u32_e32 v25, 1, v21
	v_cndmask_b32_e64 v18, v18, v19, s0
	v_cndmask_b32_e32 v14, v15, v14, vcc_lo
	s_waitcnt lgkmcnt(0)
	v_cmp_lt_i32_e64 s2, v23, v20
	v_cndmask_b32_e64 v19, v24, v22, s1
	v_cndmask_b32_e64 v15, v21, v25, s1
	;; [unrolled: 1-line block ×3, first 2 shown]
	; wave barrier
	v_cmp_ge_i32_e64 s3, v19, v8
	v_cmp_lt_i32_e64 s4, v15, v13
	ds_write2_b32 v0, v1, v2 offset1:1
	ds_write2_b32 v0, v3, v4 offset0:2 offset1:3
	v_lshl_add_u32 v2, v14, 2, v6
	v_lshl_add_u32 v4, v18, 2, v6
	s_or_b32 s2, s3, s2
	v_lshl_add_u32 v8, v26, 2, v6
	s_and_b32 s2, s4, s2
	v_cndmask_b32_e64 v1, v19, v15, s2
	; wave barrier
	v_and_b32_e32 v15, 64, v7
	v_cndmask_b32_e64 v17, v16, v17, s1
	v_cndmask_b32_e64 v12, v11, v12, s0
	v_lshl_add_u32 v13, v1, 2, v6
	v_cndmask_b32_e32 v10, v9, v10, vcc_lo
	ds_read_b32 v3, v2
	ds_read_b32 v4, v4
	;; [unrolled: 1-line block ×4, first 2 shown]
	v_or_b32_e32 v8, 32, v15
	v_and_b32_e32 v13, 60, v7
	v_lshl_add_u32 v9, v15, 2, v6
	v_cndmask_b32_e64 v20, v20, v23, s2
	s_mov_b32 s0, exec_lo
	v_sub_nc_u32_e32 v14, v8, v15
	v_sub_nc_u32_e64 v16, v13, 32 clamp
	; wave barrier
	ds_write2_b32 v0, v10, v12 offset1:1
	ds_write2_b32 v0, v17, v20 offset0:2 offset1:3
	v_min_i32_e32 v11, v13, v14
	; wave barrier
	v_cmpx_lt_i32_e64 v16, v11
	s_cbranch_execz .LBB29_52
; %bb.49:
	v_lshl_add_u32 v10, v13, 2, v9
	s_mov_b32 s1, 0
	.p2align	6
.LBB29_50:                              ; =>This Inner Loop Header: Depth=1
	v_sub_nc_u32_e32 v12, v11, v16
	v_lshrrev_b32_e32 v12, 1, v12
	v_add_nc_u32_e32 v12, v12, v16
	v_not_b32_e32 v14, v12
	v_lshl_add_u32 v17, v12, 2, v9
	v_add_nc_u32_e32 v18, 1, v12
	v_lshl_add_u32 v14, v14, 2, v10
	ds_read_b32 v17, v17
	ds_read_b32 v14, v14 offset:128
	s_waitcnt lgkmcnt(0)
	v_cmp_lt_i32_e32 vcc_lo, v14, v17
	v_cndmask_b32_e32 v11, v11, v12, vcc_lo
	v_cndmask_b32_e32 v16, v18, v16, vcc_lo
	v_cmp_ge_i32_e32 vcc_lo, v16, v11
	s_or_b32 s1, vcc_lo, s1
	s_andn2_b32 exec_lo, exec_lo, s1
	s_cbranch_execnz .LBB29_50
; %bb.51:
	s_or_b32 exec_lo, exec_lo, s1
.LBB29_52:
	s_or_b32 exec_lo, exec_lo, s0
	v_add_nc_u32_e32 v10, v15, v13
	v_lshl_add_u32 v18, v16, 2, v9
	v_add_nc_u32_e32 v11, v8, v13
	v_add_nc_u32_e32 v12, 64, v15
	v_cmp_lt_i32_e32 vcc_lo, 31, v16
	v_sub_nc_u32_e32 v10, v10, v16
	v_sub_nc_u32_e32 v14, v11, v16
                                        ; implicit-def: $vgpr11
	v_lshl_add_u32 v17, v10, 2, v6
	ds_read_b32 v9, v18
	ds_read_b32 v10, v17 offset:128
	v_cmp_gt_i32_e64 s1, v12, v14
	s_waitcnt lgkmcnt(0)
	v_cmp_lt_i32_e64 s0, v10, v9
	s_or_b32 s0, vcc_lo, s0
	s_and_b32 vcc_lo, s1, s0
	s_xor_b32 s0, vcc_lo, -1
	s_and_saveexec_b32 s1, s0
	s_xor_b32 s0, exec_lo, s1
; %bb.53:
	ds_read_b32 v11, v18 offset:4
                                        ; implicit-def: $vgpr17
; %bb.54:
	s_or_saveexec_b32 s0, s0
	v_mov_b32_e32 v13, v10
	s_xor_b32 exec_lo, exec_lo, s0
	s_cbranch_execz .LBB29_56
; %bb.55:
	ds_read_b32 v13, v17 offset:132
	s_waitcnt lgkmcnt(1)
	v_mov_b32_e32 v11, v9
.LBB29_56:
	s_or_b32 exec_lo, exec_lo, s0
	v_add_nc_u32_e32 v17, v16, v15
	v_add_nc_u32_e32 v16, 1, v14
	s_waitcnt lgkmcnt(0)
	v_cmp_lt_i32_e64 s1, v13, v11
	v_add_nc_u32_e32 v15, 1, v17
	v_cndmask_b32_e32 v19, v14, v16, vcc_lo
	v_cndmask_b32_e32 v18, v15, v17, vcc_lo
	v_cmp_lt_i32_e64 s2, v19, v12
                                        ; implicit-def: $vgpr15
	v_cmp_ge_i32_e64 s0, v18, v8
	s_or_b32 s0, s0, s1
	s_and_b32 s0, s2, s0
	s_xor_b32 s1, s0, -1
	s_and_saveexec_b32 s2, s1
	s_xor_b32 s1, exec_lo, s2
; %bb.57:
	v_lshl_add_u32 v15, v18, 2, v6
	ds_read_b32 v15, v15 offset:4
; %bb.58:
	s_or_saveexec_b32 s1, s1
	v_mov_b32_e32 v16, v13
	s_xor_b32 exec_lo, exec_lo, s1
	s_cbranch_execz .LBB29_60
; %bb.59:
	s_waitcnt lgkmcnt(0)
	v_lshl_add_u32 v15, v19, 2, v6
	ds_read_b32 v16, v15 offset:4
	v_mov_b32_e32 v15, v11
.LBB29_60:
	s_or_b32 exec_lo, exec_lo, s1
	v_add_nc_u32_e32 v20, 1, v18
	v_add_nc_u32_e32 v21, 1, v19
	s_waitcnt lgkmcnt(0)
	v_cmp_lt_i32_e64 s2, v16, v15
	v_cndmask_b32_e64 v22, v20, v18, s0
	v_cndmask_b32_e64 v21, v19, v21, s0
                                        ; implicit-def: $vgpr20
	v_cmp_ge_i32_e64 s1, v22, v8
	v_cmp_lt_i32_e64 s3, v21, v12
	s_or_b32 s1, s1, s2
	s_and_b32 s1, s3, s1
	s_xor_b32 s2, s1, -1
	s_and_saveexec_b32 s3, s2
	s_xor_b32 s2, exec_lo, s3
; %bb.61:
	v_lshl_add_u32 v20, v22, 2, v6
	ds_read_b32 v20, v20 offset:4
; %bb.62:
	s_or_saveexec_b32 s2, s2
	v_mov_b32_e32 v23, v16
	s_xor_b32 exec_lo, exec_lo, s2
	s_cbranch_execz .LBB29_64
; %bb.63:
	s_waitcnt lgkmcnt(0)
	v_lshl_add_u32 v20, v21, 2, v6
	ds_read_b32 v23, v20 offset:4
	v_mov_b32_e32 v20, v15
.LBB29_64:
	s_or_b32 exec_lo, exec_lo, s2
	v_add_nc_u32_e32 v24, 1, v22
	v_add_nc_u32_e32 v25, 1, v21
	s_waitcnt lgkmcnt(0)
	v_cmp_lt_i32_e64 s2, v23, v20
	v_cndmask_b32_e64 v18, v18, v19, s0
	v_cndmask_b32_e64 v24, v24, v22, s1
	;; [unrolled: 1-line block ×4, first 2 shown]
	; wave barrier
	ds_write2_b32 v0, v3, v4 offset1:1
	v_cmp_ge_i32_e64 s3, v24, v8
	v_cndmask_b32_e32 v8, v17, v14, vcc_lo
	v_cmp_lt_i32_e64 s4, v21, v12
	ds_write2_b32 v0, v1, v2 offset0:2 offset1:3
	v_lshl_add_u32 v2, v18, 2, v6
	s_or_b32 s2, s3, s2
	v_lshl_add_u32 v1, v8, 2, v6
	s_and_b32 s2, s4, s2
	v_lshl_add_u32 v4, v22, 2, v6
	v_cndmask_b32_e64 v3, v24, v21, s2
	; wave barrier
	v_cndmask_b32_e64 v13, v11, v13, s0
	v_min_u32_e32 v11, 64, v7
	v_lshl_add_u32 v8, v3, 2, v6
	v_cndmask_b32_e32 v9, v9, v10, vcc_lo
	ds_read_b32 v1, v1
	ds_read_b32 v2, v2
	;; [unrolled: 1-line block ×4, first 2 shown]
	v_sub_nc_u32_e64 v8, v7, 64 clamp
	v_cndmask_b32_e64 v12, v20, v23, s2
	v_cndmask_b32_e64 v10, v15, v16, s1
	s_mov_b32 s0, exec_lo
	; wave barrier
	ds_write2_b32 v0, v9, v13 offset1:1
	ds_write2_b32 v0, v10, v12 offset0:2 offset1:3
	; wave barrier
	v_cmpx_lt_u32_e64 v8, v11
	s_cbranch_execz .LBB29_68
; %bb.65:
	s_mov_b32 s1, 0
	.p2align	6
.LBB29_66:                              ; =>This Inner Loop Header: Depth=1
	v_sub_nc_u32_e32 v9, v11, v8
	v_lshrrev_b32_e32 v9, 1, v9
	v_add_nc_u32_e32 v9, v9, v8
	v_not_b32_e32 v10, v9
	v_lshl_add_u32 v12, v9, 2, v6
	v_add_nc_u32_e32 v13, 1, v9
	v_lshl_add_u32 v10, v10, 2, v0
	ds_read_b32 v12, v12
	ds_read_b32 v10, v10 offset:256
	s_waitcnt lgkmcnt(0)
	v_cmp_lt_i32_e32 vcc_lo, v10, v12
	v_cndmask_b32_e32 v11, v11, v9, vcc_lo
	v_cndmask_b32_e32 v8, v13, v8, vcc_lo
	v_cmp_ge_i32_e32 vcc_lo, v8, v11
	s_or_b32 s1, vcc_lo, s1
	s_andn2_b32 exec_lo, exec_lo, s1
	s_cbranch_execnz .LBB29_66
; %bb.67:
	s_or_b32 exec_lo, exec_lo, s1
.LBB29_68:
	s_or_b32 exec_lo, exec_lo, s0
	v_sub_nc_u32_e32 v10, v7, v8
	v_lshl_add_u32 v11, v8, 2, v6
	v_cmp_lt_i32_e32 vcc_lo, 63, v8
	v_lshl_add_u32 v13, v10, 2, v6
	v_add_nc_u32_e32 v12, 64, v10
                                        ; implicit-def: $vgpr10
	ds_read_b32 v7, v11
	ds_read_b32 v9, v13 offset:256
	v_cmp_gt_i32_e64 s1, 0x80, v12
	s_waitcnt lgkmcnt(0)
	v_cmp_lt_i32_e64 s0, v9, v7
	s_or_b32 s0, vcc_lo, s0
	s_and_b32 vcc_lo, s1, s0
	s_xor_b32 s0, vcc_lo, -1
	s_and_saveexec_b32 s1, s0
	s_xor_b32 s0, exec_lo, s1
; %bb.69:
	ds_read_b32 v10, v11 offset:4
                                        ; implicit-def: $vgpr13
; %bb.70:
	s_or_saveexec_b32 s0, s0
	v_mov_b32_e32 v11, v9
	s_xor_b32 exec_lo, exec_lo, s0
	s_cbranch_execz .LBB29_72
; %bb.71:
	ds_read_b32 v11, v13 offset:260
	s_waitcnt lgkmcnt(1)
	v_mov_b32_e32 v10, v7
.LBB29_72:
	s_or_b32 exec_lo, exec_lo, s0
	v_add_nc_u32_e32 v13, 1, v8
	v_add_nc_u32_e32 v14, 1, v12
	s_waitcnt lgkmcnt(0)
	v_cmp_lt_i32_e64 s1, v11, v10
                                        ; implicit-def: $vgpr16
	v_cndmask_b32_e32 v13, v13, v8, vcc_lo
	v_cndmask_b32_e32 v14, v12, v14, vcc_lo
	v_cmp_lt_i32_e64 s0, 63, v13
	v_cmp_gt_i32_e64 s2, 0x80, v14
	s_or_b32 s0, s0, s1
	s_and_b32 s0, s2, s0
	s_xor_b32 s1, s0, -1
	s_and_saveexec_b32 s2, s1
	s_xor_b32 s1, exec_lo, s2
; %bb.73:
	v_lshl_add_u32 v15, v13, 2, v6
	ds_read_b32 v16, v15 offset:4
; %bb.74:
	s_or_saveexec_b32 s1, s1
	v_mov_b32_e32 v15, v11
	s_xor_b32 exec_lo, exec_lo, s1
	s_cbranch_execz .LBB29_76
; %bb.75:
	v_lshl_add_u32 v15, v14, 2, v6
	s_waitcnt lgkmcnt(0)
	v_mov_b32_e32 v16, v10
	ds_read_b32 v15, v15 offset:4
.LBB29_76:
	s_or_b32 exec_lo, exec_lo, s1
	v_add_nc_u32_e32 v17, 1, v13
	v_add_nc_u32_e32 v18, 1, v14
	s_waitcnt lgkmcnt(0)
	v_cmp_ge_i32_e64 s2, v15, v16
                                        ; implicit-def: $vgpr20
                                        ; implicit-def: $vgpr19
	v_cndmask_b32_e64 v22, v17, v13, s0
	v_cndmask_b32_e64 v17, v14, v18, s0
	v_cmp_gt_i32_e64 s1, 64, v22
	v_cmp_lt_i32_e64 s3, 0x7f, v17
	s_and_b32 s1, s1, s2
	s_or_b32 s1, s3, s1
	s_and_saveexec_b32 s2, s1
	s_xor_b32 s1, exec_lo, s2
; %bb.77:
	v_lshl_add_u32 v18, v22, 2, v6
	v_add_nc_u32_e32 v19, 1, v22
	ds_read_b32 v20, v18 offset:4
; %bb.78:
	s_or_saveexec_b32 s1, s1
	v_mov_b32_e32 v18, v16
	v_mov_b32_e32 v21, v22
	s_xor_b32 exec_lo, exec_lo, s1
	s_cbranch_execz .LBB29_80
; %bb.79:
	v_lshl_add_u32 v18, v17, 2, v6
	s_waitcnt lgkmcnt(0)
	v_add_nc_u32_e32 v20, 1, v17
	v_mov_b32_e32 v21, v17
	v_mov_b32_e32 v19, v22
	ds_read_b32 v23, v18 offset:4
	v_mov_b32_e32 v18, v15
	v_mov_b32_e32 v17, v20
	;; [unrolled: 1-line block ×3, first 2 shown]
	s_waitcnt lgkmcnt(0)
	v_mov_b32_e32 v15, v23
.LBB29_80:
	s_or_b32 exec_lo, exec_lo, s1
	v_cmp_lt_i32_e64 s1, 63, v19
	s_waitcnt lgkmcnt(0)
	v_cmp_lt_i32_e64 s2, v15, v20
	v_cmp_gt_i32_e64 s3, 0x80, v17
	v_cndmask_b32_e32 v8, v8, v12, vcc_lo
	v_cndmask_b32_e64 v13, v13, v14, s0
	s_or_b32 s1, s1, s2
	; wave barrier
	s_and_b32 s1, s3, s1
	ds_write2_b32 v0, v1, v2 offset1:1
	ds_write2_b32 v0, v3, v4 offset0:2 offset1:3
	v_cndmask_b32_e64 v14, v19, v17, s1
	v_lshl_add_u32 v0, v8, 2, v6
	v_lshl_add_u32 v1, v13, 2, v6
	;; [unrolled: 1-line block ×4, first 2 shown]
	; wave barrier
	ds_read_b32 v0, v0
	ds_read_b32 v1, v1
	;; [unrolled: 1-line block ×4, first 2 shown]
	v_cndmask_b32_e64 v12, v20, v15, s1
	v_cndmask_b32_e32 v4, v7, v9, vcc_lo
	v_cndmask_b32_e64 v6, v10, v11, s0
	s_add_u32 s0, s10, s12
	s_addc_u32 s1, s11, s13
	s_waitcnt lgkmcnt(3)
	v_add_nc_u32_e32 v0, v0, v4
	s_waitcnt lgkmcnt(2)
	v_add_nc_u32_e32 v1, v1, v6
	;; [unrolled: 2-line block ×4, first 2 shown]
	v_lshlrev_b32_e32 v4, 2, v5
	global_store_dwordx4 v4, v[0:3], s[0:1]
	s_endpgm
	.section	.rodata,"a",@progbits
	.p2align	6, 0x0
	.amdhsa_kernel _Z10sort_pairsILj256ELj32ELj4EiN10test_utils4lessEEvPKT2_PS2_T3_
		.amdhsa_group_segment_fixed_size 4128
		.amdhsa_private_segment_fixed_size 0
		.amdhsa_kernarg_size 20
		.amdhsa_user_sgpr_count 6
		.amdhsa_user_sgpr_private_segment_buffer 1
		.amdhsa_user_sgpr_dispatch_ptr 0
		.amdhsa_user_sgpr_queue_ptr 0
		.amdhsa_user_sgpr_kernarg_segment_ptr 1
		.amdhsa_user_sgpr_dispatch_id 0
		.amdhsa_user_sgpr_flat_scratch_init 0
		.amdhsa_user_sgpr_private_segment_size 0
		.amdhsa_wavefront_size32 1
		.amdhsa_uses_dynamic_stack 0
		.amdhsa_system_sgpr_private_segment_wavefront_offset 0
		.amdhsa_system_sgpr_workgroup_id_x 1
		.amdhsa_system_sgpr_workgroup_id_y 0
		.amdhsa_system_sgpr_workgroup_id_z 0
		.amdhsa_system_sgpr_workgroup_info 0
		.amdhsa_system_vgpr_workitem_id 0
		.amdhsa_next_free_vgpr 28
		.amdhsa_next_free_sgpr 14
		.amdhsa_reserve_vcc 1
		.amdhsa_reserve_flat_scratch 0
		.amdhsa_float_round_mode_32 0
		.amdhsa_float_round_mode_16_64 0
		.amdhsa_float_denorm_mode_32 3
		.amdhsa_float_denorm_mode_16_64 3
		.amdhsa_dx10_clamp 1
		.amdhsa_ieee_mode 1
		.amdhsa_fp16_overflow 0
		.amdhsa_workgroup_processor_mode 1
		.amdhsa_memory_ordered 1
		.amdhsa_forward_progress 1
		.amdhsa_shared_vgpr_count 0
		.amdhsa_exception_fp_ieee_invalid_op 0
		.amdhsa_exception_fp_denorm_src 0
		.amdhsa_exception_fp_ieee_div_zero 0
		.amdhsa_exception_fp_ieee_overflow 0
		.amdhsa_exception_fp_ieee_underflow 0
		.amdhsa_exception_fp_ieee_inexact 0
		.amdhsa_exception_int_div_zero 0
	.end_amdhsa_kernel
	.section	.text._Z10sort_pairsILj256ELj32ELj4EiN10test_utils4lessEEvPKT2_PS2_T3_,"axG",@progbits,_Z10sort_pairsILj256ELj32ELj4EiN10test_utils4lessEEvPKT2_PS2_T3_,comdat
.Lfunc_end29:
	.size	_Z10sort_pairsILj256ELj32ELj4EiN10test_utils4lessEEvPKT2_PS2_T3_, .Lfunc_end29-_Z10sort_pairsILj256ELj32ELj4EiN10test_utils4lessEEvPKT2_PS2_T3_
                                        ; -- End function
	.set _Z10sort_pairsILj256ELj32ELj4EiN10test_utils4lessEEvPKT2_PS2_T3_.num_vgpr, 28
	.set _Z10sort_pairsILj256ELj32ELj4EiN10test_utils4lessEEvPKT2_PS2_T3_.num_agpr, 0
	.set _Z10sort_pairsILj256ELj32ELj4EiN10test_utils4lessEEvPKT2_PS2_T3_.numbered_sgpr, 14
	.set _Z10sort_pairsILj256ELj32ELj4EiN10test_utils4lessEEvPKT2_PS2_T3_.num_named_barrier, 0
	.set _Z10sort_pairsILj256ELj32ELj4EiN10test_utils4lessEEvPKT2_PS2_T3_.private_seg_size, 0
	.set _Z10sort_pairsILj256ELj32ELj4EiN10test_utils4lessEEvPKT2_PS2_T3_.uses_vcc, 1
	.set _Z10sort_pairsILj256ELj32ELj4EiN10test_utils4lessEEvPKT2_PS2_T3_.uses_flat_scratch, 0
	.set _Z10sort_pairsILj256ELj32ELj4EiN10test_utils4lessEEvPKT2_PS2_T3_.has_dyn_sized_stack, 0
	.set _Z10sort_pairsILj256ELj32ELj4EiN10test_utils4lessEEvPKT2_PS2_T3_.has_recursion, 0
	.set _Z10sort_pairsILj256ELj32ELj4EiN10test_utils4lessEEvPKT2_PS2_T3_.has_indirect_call, 0
	.section	.AMDGPU.csdata,"",@progbits
; Kernel info:
; codeLenInByte = 4384
; TotalNumSgprs: 16
; NumVgprs: 28
; ScratchSize: 0
; MemoryBound: 0
; FloatMode: 240
; IeeeMode: 1
; LDSByteSize: 4128 bytes/workgroup (compile time only)
; SGPRBlocks: 0
; VGPRBlocks: 3
; NumSGPRsForWavesPerEU: 16
; NumVGPRsForWavesPerEU: 28
; Occupancy: 16
; WaveLimiterHint : 0
; COMPUTE_PGM_RSRC2:SCRATCH_EN: 0
; COMPUTE_PGM_RSRC2:USER_SGPR: 6
; COMPUTE_PGM_RSRC2:TRAP_HANDLER: 0
; COMPUTE_PGM_RSRC2:TGID_X_EN: 1
; COMPUTE_PGM_RSRC2:TGID_Y_EN: 0
; COMPUTE_PGM_RSRC2:TGID_Z_EN: 0
; COMPUTE_PGM_RSRC2:TIDIG_COMP_CNT: 0
	.section	.text._Z19sort_keys_segmentedILj256ELj32ELj4EiN10test_utils4lessEEvPKT2_PS2_PKjT3_,"axG",@progbits,_Z19sort_keys_segmentedILj256ELj32ELj4EiN10test_utils4lessEEvPKT2_PS2_PKjT3_,comdat
	.protected	_Z19sort_keys_segmentedILj256ELj32ELj4EiN10test_utils4lessEEvPKT2_PS2_PKjT3_ ; -- Begin function _Z19sort_keys_segmentedILj256ELj32ELj4EiN10test_utils4lessEEvPKT2_PS2_PKjT3_
	.globl	_Z19sort_keys_segmentedILj256ELj32ELj4EiN10test_utils4lessEEvPKT2_PS2_PKjT3_
	.p2align	8
	.type	_Z19sort_keys_segmentedILj256ELj32ELj4EiN10test_utils4lessEEvPKT2_PS2_PKjT3_,@function
_Z19sort_keys_segmentedILj256ELj32ELj4EiN10test_utils4lessEEvPKT2_PS2_PKjT3_: ; @_Z19sort_keys_segmentedILj256ELj32ELj4EiN10test_utils4lessEEvPKT2_PS2_PKjT3_
; %bb.0:
	s_clause 0x1
	s_load_dwordx2 s[0:1], s[4:5], 0x10
	s_load_dwordx4 s[8:11], s[4:5], 0x0
	v_lshrrev_b32_e32 v9, 5, v0
	v_mov_b32_e32 v2, 0
	v_lshl_or_b32 v1, s6, 3, v9
	v_mov_b32_e32 v11, v2
	v_mov_b32_e32 v13, v2
	;; [unrolled: 1-line block ×3, first 2 shown]
	v_lshlrev_b64 v[3:4], 2, v[1:2]
	v_lshlrev_b32_e32 v1, 7, v1
	v_lshlrev_b64 v[0:1], 2, v[1:2]
	s_waitcnt lgkmcnt(0)
	v_add_co_u32 v3, vcc_lo, s0, v3
	v_add_co_ci_u32_e64 v4, null, s1, v4, vcc_lo
	global_load_dword v5, v[3:4], off
	v_mbcnt_lo_u32_b32 v3, -1, 0
	v_add_co_u32 v4, vcc_lo, s8, v0
	v_add_co_ci_u32_e64 v7, null, s9, v1, vcc_lo
	v_lshlrev_b32_e32 v6, 2, v3
	v_lshlrev_b32_e32 v3, 4, v3
	v_add_co_u32 v3, vcc_lo, v4, v3
	v_add_co_ci_u32_e64 v4, null, 0, v7, vcc_lo
	s_waitcnt vmcnt(0)
	v_cmp_lt_u32_e32 vcc_lo, v6, v5
	s_and_saveexec_b32 s0, vcc_lo
	s_cbranch_execz .LBB30_2
; %bb.1:
	global_load_dword v11, v[3:4], off
	v_mov_b32_e32 v13, v2
	v_mov_b32_e32 v12, v2
.LBB30_2:
	s_or_b32 exec_lo, exec_lo, s0
	v_or_b32_e32 v7, 1, v6
	v_cmp_lt_u32_e64 s0, v7, v5
	s_and_saveexec_b32 s1, s0
	s_cbranch_execz .LBB30_4
; %bb.3:
	global_load_dword v2, v[3:4], off offset:4
.LBB30_4:
	s_or_b32 exec_lo, exec_lo, s1
	v_or_b32_e32 v8, 2, v6
	v_cmp_lt_u32_e64 s1, v8, v5
	s_and_saveexec_b32 s2, s1
	s_cbranch_execz .LBB30_6
; %bb.5:
	global_load_dword v13, v[3:4], off offset:8
.LBB30_6:
	;; [unrolled: 8-line block ×3, first 2 shown]
	s_or_b32 exec_lo, exec_lo, s3
	v_cmp_lt_i32_e64 s3, v7, v5
	v_cmp_lt_i32_e64 s4, v8, v5
	;; [unrolled: 1-line block ×3, first 2 shown]
	s_brev_b32 s6, -2
	s_or_b32 s3, s4, s3
	s_waitcnt vmcnt(0)
	v_cndmask_b32_e64 v13, 0x7fffffff, v13, s4
	v_cndmask_b32_e64 v2, 0x7fffffff, v2, s3
	s_mov_b32 s4, exec_lo
	v_cmpx_ge_i32_e64 v10, v5
; %bb.9:
	v_cmp_lt_i32_e64 s3, v6, v5
	v_mov_b32_e32 v12, s6
	s_andn2_b32 s5, s5, exec_lo
	s_and_b32 s3, s3, exec_lo
	s_or_b32 s5, s5, s3
; %bb.10:
	s_or_b32 exec_lo, exec_lo, s4
	s_and_saveexec_b32 s6, s5
	s_cbranch_execz .LBB30_14
; %bb.11:
	v_cmp_lt_i32_e64 s3, v12, v13
	v_cmp_lt_i32_e64 s4, v2, v11
	v_max_i32_e32 v4, v2, v11
	v_min_i32_e32 v8, v12, v13
	v_cndmask_b32_e64 v7, v12, v13, s3
	v_cndmask_b32_e64 v3, v11, v2, s4
	;; [unrolled: 1-line block ×4, first 2 shown]
	v_min_i32_e32 v2, v2, v11
	v_max_i32_e32 v13, v12, v13
	v_cmp_lt_i32_e64 s3, v8, v4
	v_min_i32_e32 v12, v8, v4
	v_max_i32_e32 v15, v8, v4
	v_cmp_lt_i32_e64 s4, v8, v2
	v_cmp_gt_i32_e64 s5, v4, v13
	v_cndmask_b32_e64 v10, v10, v4, s3
	v_cndmask_b32_e64 v8, v14, v8, s3
	;; [unrolled: 1-line block ×8, first 2 shown]
	s_mov_b32 s4, exec_lo
	v_cmpx_lt_i32_e64 v4, v3
; %bb.12:
	v_mov_b32_e32 v2, v4
	v_mov_b32_e32 v13, v3
; %bb.13:
	s_or_b32 exec_lo, exec_lo, s4
.LBB30_14:
	s_or_b32 exec_lo, exec_lo, s6
	v_and_b32_e32 v3, 0x78, v6
	v_and_b32_e32 v4, 4, v6
	; wave barrier
	s_mov_b32 s5, 0
	v_min_i32_e32 v14, v5, v3
	v_min_i32_e32 v15, v5, v4
	v_mul_u32_u24_e32 v4, 0x204, v9
	s_mov_b32 s4, exec_lo
	v_add_nc_u32_e32 v3, 4, v14
	v_lshlrev_b32_e32 v19, 2, v14
	v_min_i32_e32 v10, v5, v3
	v_add_nc_u32_e32 v3, 4, v10
	v_sub_nc_u32_e32 v18, v10, v14
	v_min_i32_e32 v8, v5, v3
	v_lshlrev_b32_e32 v3, 2, v6
	v_sub_nc_u32_e32 v16, v8, v10
	v_mad_u32_u24 v7, 0x204, v9, v3
	v_sub_nc_u32_e32 v17, v15, v16
	v_cmp_ge_i32_e64 s3, v15, v16
	ds_write2_b32 v7, v11, v2 offset1:1
	v_mad_u32_u24 v2, 0x204, v9, v19
	ds_write2_b32 v7, v13, v12 offset0:2 offset1:3
	v_cndmask_b32_e64 v16, 0, v17, s3
	v_min_i32_e32 v17, v15, v18
	; wave barrier
	v_cmpx_lt_i32_e64 v16, v17
	s_cbranch_execz .LBB30_18
; %bb.15:
	v_lshlrev_b32_e32 v9, 2, v10
	v_lshlrev_b32_e32 v11, 2, v15
	v_add3_u32 v9, v4, v9, v11
	.p2align	6
.LBB30_16:                              ; =>This Inner Loop Header: Depth=1
	v_sub_nc_u32_e32 v11, v17, v16
	v_lshrrev_b32_e32 v11, 1, v11
	v_add_nc_u32_e32 v11, v11, v16
	v_not_b32_e32 v12, v11
	v_lshl_add_u32 v13, v11, 2, v2
	v_add_nc_u32_e32 v18, 1, v11
	v_lshl_add_u32 v12, v12, 2, v9
	ds_read_b32 v13, v13
	ds_read_b32 v12, v12
	s_waitcnt lgkmcnt(0)
	v_cmp_lt_i32_e64 s3, v12, v13
	v_cndmask_b32_e64 v17, v17, v11, s3
	v_cndmask_b32_e64 v16, v18, v16, s3
	v_cmp_ge_i32_e64 s3, v16, v17
	s_or_b32 s5, s3, s5
	s_andn2_b32 exec_lo, exec_lo, s5
	s_cbranch_execnz .LBB30_16
; %bb.17:
	s_or_b32 exec_lo, exec_lo, s5
.LBB30_18:
	s_or_b32 exec_lo, exec_lo, s4
	v_add_nc_u32_e32 v9, v10, v15
	v_lshl_add_u32 v17, v16, 2, v2
	v_add_nc_u32_e32 v2, v16, v14
                                        ; implicit-def: $vgpr13
	v_sub_nc_u32_e32 v9, v9, v16
	v_cmp_le_i32_e64 s3, v10, v2
	v_lshl_add_u32 v15, v9, 2, v4
	v_cmp_gt_i32_e64 s5, v8, v9
	ds_read_b32 v11, v17
	ds_read_b32 v12, v15
	s_waitcnt lgkmcnt(0)
	v_cmp_lt_i32_e64 s4, v12, v11
	s_or_b32 s3, s3, s4
	s_and_b32 s3, s5, s3
	s_xor_b32 s4, s3, -1
	s_and_saveexec_b32 s5, s4
	s_xor_b32 s4, exec_lo, s5
; %bb.19:
	ds_read_b32 v13, v17 offset:4
                                        ; implicit-def: $vgpr15
; %bb.20:
	s_or_saveexec_b32 s4, s4
	v_mov_b32_e32 v14, v12
	s_xor_b32 exec_lo, exec_lo, s4
	s_cbranch_execz .LBB30_22
; %bb.21:
	ds_read_b32 v14, v15 offset:4
	s_waitcnt lgkmcnt(1)
	v_mov_b32_e32 v13, v11
.LBB30_22:
	s_or_b32 exec_lo, exec_lo, s4
	v_add_nc_u32_e32 v15, 1, v2
	v_add_nc_u32_e32 v16, 1, v9
	s_waitcnt lgkmcnt(0)
	v_cmp_lt_i32_e64 s5, v14, v13
	v_cndmask_b32_e64 v15, v15, v2, s3
	v_cndmask_b32_e64 v2, v9, v16, s3
                                        ; implicit-def: $vgpr9
	v_cmp_ge_i32_e64 s4, v15, v10
	v_cmp_lt_i32_e64 s6, v2, v8
	s_or_b32 s4, s4, s5
	s_and_b32 s4, s6, s4
	s_xor_b32 s5, s4, -1
	s_and_saveexec_b32 s6, s5
	s_xor_b32 s5, exec_lo, s6
; %bb.23:
	v_lshl_add_u32 v9, v15, 2, v4
	ds_read_b32 v9, v9 offset:4
; %bb.24:
	s_or_saveexec_b32 s5, s5
	v_mov_b32_e32 v16, v14
	s_xor_b32 exec_lo, exec_lo, s5
	s_cbranch_execz .LBB30_26
; %bb.25:
	s_waitcnt lgkmcnt(0)
	v_lshl_add_u32 v9, v2, 2, v4
	ds_read_b32 v16, v9 offset:4
	v_mov_b32_e32 v9, v13
.LBB30_26:
	s_or_b32 exec_lo, exec_lo, s5
	v_add_nc_u32_e32 v17, 1, v15
	v_add_nc_u32_e32 v18, 1, v2
	s_waitcnt lgkmcnt(0)
	v_cmp_lt_i32_e64 s6, v16, v9
	v_cndmask_b32_e64 v19, v17, v15, s4
	v_cndmask_b32_e64 v17, v2, v18, s4
                                        ; implicit-def: $vgpr18
	v_cmp_ge_i32_e64 s5, v19, v10
	v_cmp_lt_i32_e64 s7, v17, v8
	s_or_b32 s5, s5, s6
	s_and_b32 s5, s7, s5
	s_xor_b32 s6, s5, -1
	s_and_saveexec_b32 s7, s6
	s_xor_b32 s6, exec_lo, s7
; %bb.27:
	v_lshl_add_u32 v2, v19, 2, v4
	ds_read_b32 v18, v2 offset:4
; %bb.28:
	s_or_saveexec_b32 s6, s6
	v_mov_b32_e32 v20, v16
	s_xor_b32 exec_lo, exec_lo, s6
	s_cbranch_execz .LBB30_30
; %bb.29:
	v_lshl_add_u32 v2, v17, 2, v4
	s_waitcnt lgkmcnt(0)
	v_mov_b32_e32 v18, v9
	ds_read_b32 v20, v2 offset:4
.LBB30_30:
	s_or_b32 exec_lo, exec_lo, s6
	v_and_b32_e32 v2, 0x70, v6
	v_add_nc_u32_e32 v21, 1, v19
	v_cndmask_b32_e64 v23, v9, v16, s5
	v_add_nc_u32_e32 v16, 1, v17
	v_and_b32_e32 v24, 12, v6
	v_min_i32_e32 v15, v5, v2
	v_cndmask_b32_e64 v19, v21, v19, s5
	s_waitcnt lgkmcnt(0)
	v_cmp_lt_i32_e64 s6, v20, v18
	v_cndmask_b32_e64 v17, v17, v16, s5
	v_cndmask_b32_e64 v13, v13, v14, s4
	v_add_nc_u32_e32 v2, 8, v15
	v_cmp_ge_i32_e64 s5, v19, v10
	v_min_i32_e32 v16, v5, v24
	v_cmp_lt_i32_e64 s4, v17, v8
	v_cndmask_b32_e64 v12, v11, v12, s3
	v_min_i32_e32 v2, v5, v2
	s_or_b32 s3, s5, s6
	s_mov_b32 s5, 0
	s_and_b32 s3, s4, s3
	s_mov_b32 s4, exec_lo
	v_add_nc_u32_e32 v22, 8, v2
	v_sub_nc_u32_e32 v11, v2, v15
	v_cndmask_b32_e64 v14, v18, v20, s3
	; wave barrier
	v_min_i32_e32 v9, v5, v22
	v_min_i32_e32 v11, v16, v11
	ds_write2_b32 v7, v12, v13 offset1:1
	ds_write2_b32 v7, v23, v14 offset0:2 offset1:3
	v_sub_nc_u32_e32 v10, v9, v2
	; wave barrier
	v_sub_nc_u32_e32 v8, v16, v10
	v_cmp_ge_i32_e64 s3, v16, v10
	v_lshl_add_u32 v10, v15, 2, v4
	v_cndmask_b32_e64 v8, 0, v8, s3
	v_cmpx_lt_i32_e64 v8, v11
	s_cbranch_execz .LBB30_34
; %bb.31:
	v_lshlrev_b32_e32 v12, 2, v2
	v_lshlrev_b32_e32 v13, 2, v16
	v_add3_u32 v12, v4, v12, v13
	.p2align	6
.LBB30_32:                              ; =>This Inner Loop Header: Depth=1
	v_sub_nc_u32_e32 v13, v11, v8
	v_lshrrev_b32_e32 v13, 1, v13
	v_add_nc_u32_e32 v13, v13, v8
	v_not_b32_e32 v14, v13
	v_lshl_add_u32 v17, v13, 2, v10
	v_add_nc_u32_e32 v18, 1, v13
	v_lshl_add_u32 v14, v14, 2, v12
	ds_read_b32 v17, v17
	ds_read_b32 v14, v14
	s_waitcnt lgkmcnt(0)
	v_cmp_lt_i32_e64 s3, v14, v17
	v_cndmask_b32_e64 v11, v11, v13, s3
	v_cndmask_b32_e64 v8, v18, v8, s3
	v_cmp_ge_i32_e64 s3, v8, v11
	s_or_b32 s5, s3, s5
	s_andn2_b32 exec_lo, exec_lo, s5
	s_cbranch_execnz .LBB30_32
; %bb.33:
	s_or_b32 exec_lo, exec_lo, s5
.LBB30_34:
	s_or_b32 exec_lo, exec_lo, s4
	v_add_nc_u32_e32 v11, v2, v16
	v_lshl_add_u32 v14, v8, 2, v10
                                        ; implicit-def: $vgpr13
	v_sub_nc_u32_e32 v16, v11, v8
	v_add_nc_u32_e32 v8, v8, v15
	v_lshl_add_u32 v10, v16, 2, v4
	v_cmp_le_i32_e64 s3, v2, v8
	v_cmp_gt_i32_e64 s5, v9, v16
	ds_read_b32 v11, v14
	ds_read_b32 v12, v10
	s_waitcnt lgkmcnt(0)
	v_cmp_lt_i32_e64 s4, v12, v11
	s_or_b32 s3, s3, s4
	s_and_b32 s3, s5, s3
	s_xor_b32 s4, s3, -1
	s_and_saveexec_b32 s5, s4
	s_xor_b32 s4, exec_lo, s5
; %bb.35:
	ds_read_b32 v13, v14 offset:4
                                        ; implicit-def: $vgpr10
; %bb.36:
	s_or_saveexec_b32 s4, s4
	v_mov_b32_e32 v14, v12
	s_xor_b32 exec_lo, exec_lo, s4
	s_cbranch_execz .LBB30_38
; %bb.37:
	ds_read_b32 v14, v10 offset:4
	s_waitcnt lgkmcnt(1)
	v_mov_b32_e32 v13, v11
.LBB30_38:
	s_or_b32 exec_lo, exec_lo, s4
	v_add_nc_u32_e32 v10, 1, v8
	v_add_nc_u32_e32 v17, 1, v16
	s_waitcnt lgkmcnt(0)
	v_cmp_lt_i32_e64 s5, v14, v13
	v_cndmask_b32_e64 v15, v10, v8, s3
	v_cndmask_b32_e64 v8, v16, v17, s3
                                        ; implicit-def: $vgpr10
	v_cmp_ge_i32_e64 s4, v15, v2
	v_cmp_lt_i32_e64 s6, v8, v9
	s_or_b32 s4, s4, s5
	s_and_b32 s4, s6, s4
	s_xor_b32 s5, s4, -1
	s_and_saveexec_b32 s6, s5
	s_xor_b32 s5, exec_lo, s6
; %bb.39:
	v_lshl_add_u32 v10, v15, 2, v4
	ds_read_b32 v10, v10 offset:4
; %bb.40:
	s_or_saveexec_b32 s5, s5
	v_mov_b32_e32 v16, v14
	s_xor_b32 exec_lo, exec_lo, s5
	s_cbranch_execz .LBB30_42
; %bb.41:
	s_waitcnt lgkmcnt(0)
	v_lshl_add_u32 v10, v8, 2, v4
	ds_read_b32 v16, v10 offset:4
	v_mov_b32_e32 v10, v13
.LBB30_42:
	s_or_b32 exec_lo, exec_lo, s5
	v_add_nc_u32_e32 v17, 1, v15
	v_add_nc_u32_e32 v18, 1, v8
	s_waitcnt lgkmcnt(0)
	v_cmp_lt_i32_e64 s6, v16, v10
	v_cndmask_b32_e64 v19, v17, v15, s4
	v_cndmask_b32_e64 v17, v8, v18, s4
                                        ; implicit-def: $vgpr18
	v_cmp_ge_i32_e64 s5, v19, v2
	v_cmp_lt_i32_e64 s7, v17, v9
	s_or_b32 s5, s5, s6
	s_and_b32 s5, s7, s5
	s_xor_b32 s6, s5, -1
	s_and_saveexec_b32 s7, s6
	s_xor_b32 s6, exec_lo, s7
; %bb.43:
	v_lshl_add_u32 v8, v19, 2, v4
	ds_read_b32 v18, v8 offset:4
; %bb.44:
	s_or_saveexec_b32 s6, s6
	v_mov_b32_e32 v20, v16
	s_xor_b32 exec_lo, exec_lo, s6
	s_cbranch_execz .LBB30_46
; %bb.45:
	v_lshl_add_u32 v8, v17, 2, v4
	s_waitcnt lgkmcnt(0)
	v_mov_b32_e32 v18, v10
	ds_read_b32 v20, v8 offset:4
.LBB30_46:
	s_or_b32 exec_lo, exec_lo, s6
	v_and_b32_e32 v8, 0x60, v6
	v_add_nc_u32_e32 v21, 1, v19
	v_cndmask_b32_e64 v23, v10, v16, s5
	v_add_nc_u32_e32 v16, 1, v17
	v_and_b32_e32 v24, 28, v6
	v_min_i32_e32 v15, v5, v8
	v_cndmask_b32_e64 v19, v21, v19, s5
	s_waitcnt lgkmcnt(0)
	v_cmp_lt_i32_e64 s6, v20, v18
	v_cndmask_b32_e64 v17, v17, v16, s5
	v_cndmask_b32_e64 v13, v13, v14, s4
	v_add_nc_u32_e32 v8, 16, v15
	v_cmp_ge_i32_e64 s5, v19, v2
	v_min_i32_e32 v16, v5, v24
	v_cmp_lt_i32_e64 s4, v17, v9
	v_cndmask_b32_e64 v12, v11, v12, s3
	v_min_i32_e32 v8, v5, v8
	s_or_b32 s3, s5, s6
	s_mov_b32 s5, 0
	s_and_b32 s3, s4, s3
	s_mov_b32 s4, exec_lo
	v_add_nc_u32_e32 v22, 16, v8
	v_sub_nc_u32_e32 v11, v8, v15
	v_cndmask_b32_e64 v14, v18, v20, s3
	; wave barrier
	v_min_i32_e32 v10, v5, v22
	v_min_i32_e32 v11, v16, v11
	ds_write2_b32 v7, v12, v13 offset1:1
	ds_write2_b32 v7, v23, v14 offset0:2 offset1:3
	v_sub_nc_u32_e32 v2, v10, v8
	; wave barrier
	v_sub_nc_u32_e32 v9, v16, v2
	v_cmp_ge_i32_e64 s3, v16, v2
	v_lshl_add_u32 v2, v15, 2, v4
	v_cndmask_b32_e64 v9, 0, v9, s3
	v_cmpx_lt_i32_e64 v9, v11
	s_cbranch_execz .LBB30_50
; %bb.47:
	v_lshlrev_b32_e32 v12, 2, v8
	v_lshlrev_b32_e32 v13, 2, v16
	v_add3_u32 v12, v4, v12, v13
	.p2align	6
.LBB30_48:                              ; =>This Inner Loop Header: Depth=1
	v_sub_nc_u32_e32 v13, v11, v9
	v_lshrrev_b32_e32 v13, 1, v13
	v_add_nc_u32_e32 v13, v13, v9
	v_not_b32_e32 v14, v13
	v_lshl_add_u32 v17, v13, 2, v2
	v_add_nc_u32_e32 v18, 1, v13
	v_lshl_add_u32 v14, v14, 2, v12
	ds_read_b32 v17, v17
	ds_read_b32 v14, v14
	s_waitcnt lgkmcnt(0)
	v_cmp_lt_i32_e64 s3, v14, v17
	v_cndmask_b32_e64 v11, v11, v13, s3
	v_cndmask_b32_e64 v9, v18, v9, s3
	v_cmp_ge_i32_e64 s3, v9, v11
	s_or_b32 s5, s3, s5
	s_andn2_b32 exec_lo, exec_lo, s5
	s_cbranch_execnz .LBB30_48
; %bb.49:
	s_or_b32 exec_lo, exec_lo, s5
.LBB30_50:
	s_or_b32 exec_lo, exec_lo, s4
	v_add_nc_u32_e32 v11, v8, v16
	v_lshl_add_u32 v14, v9, 2, v2
                                        ; implicit-def: $vgpr13
	v_sub_nc_u32_e32 v11, v11, v9
	v_add_nc_u32_e32 v9, v9, v15
	v_lshl_add_u32 v16, v11, 2, v4
	v_cmp_le_i32_e64 s3, v8, v9
	v_cmp_gt_i32_e64 s5, v10, v11
	ds_read_b32 v2, v14
	ds_read_b32 v12, v16
	s_waitcnt lgkmcnt(0)
	v_cmp_lt_i32_e64 s4, v12, v2
	s_or_b32 s3, s3, s4
	s_and_b32 s3, s5, s3
	s_xor_b32 s4, s3, -1
	s_and_saveexec_b32 s5, s4
	s_xor_b32 s4, exec_lo, s5
; %bb.51:
	ds_read_b32 v13, v14 offset:4
                                        ; implicit-def: $vgpr16
; %bb.52:
	s_or_saveexec_b32 s4, s4
	v_mov_b32_e32 v14, v12
	s_xor_b32 exec_lo, exec_lo, s4
	s_cbranch_execz .LBB30_54
; %bb.53:
	ds_read_b32 v14, v16 offset:4
	s_waitcnt lgkmcnt(1)
	v_mov_b32_e32 v13, v2
.LBB30_54:
	s_or_b32 exec_lo, exec_lo, s4
	v_add_nc_u32_e32 v15, 1, v9
	v_add_nc_u32_e32 v16, 1, v11
	s_waitcnt lgkmcnt(0)
	v_cmp_lt_i32_e64 s5, v14, v13
	v_cndmask_b32_e64 v15, v15, v9, s3
	v_cndmask_b32_e64 v9, v11, v16, s3
                                        ; implicit-def: $vgpr11
	v_cmp_ge_i32_e64 s4, v15, v8
	v_cmp_lt_i32_e64 s6, v9, v10
	s_or_b32 s4, s4, s5
	s_and_b32 s4, s6, s4
	s_xor_b32 s5, s4, -1
	s_and_saveexec_b32 s6, s5
	s_xor_b32 s5, exec_lo, s6
; %bb.55:
	v_lshl_add_u32 v11, v15, 2, v4
	ds_read_b32 v11, v11 offset:4
; %bb.56:
	s_or_saveexec_b32 s5, s5
	v_mov_b32_e32 v16, v14
	s_xor_b32 exec_lo, exec_lo, s5
	s_cbranch_execz .LBB30_58
; %bb.57:
	s_waitcnt lgkmcnt(0)
	v_lshl_add_u32 v11, v9, 2, v4
	ds_read_b32 v16, v11 offset:4
	v_mov_b32_e32 v11, v13
.LBB30_58:
	s_or_b32 exec_lo, exec_lo, s5
	v_add_nc_u32_e32 v17, 1, v15
	v_add_nc_u32_e32 v18, 1, v9
	s_waitcnt lgkmcnt(0)
	v_cmp_lt_i32_e64 s6, v16, v11
	v_cndmask_b32_e64 v19, v17, v15, s4
	v_cndmask_b32_e64 v17, v9, v18, s4
                                        ; implicit-def: $vgpr18
	v_cmp_ge_i32_e64 s5, v19, v8
	v_cmp_lt_i32_e64 s7, v17, v10
	s_or_b32 s5, s5, s6
	s_and_b32 s5, s7, s5
	s_xor_b32 s6, s5, -1
	s_and_saveexec_b32 s7, s6
	s_xor_b32 s6, exec_lo, s7
; %bb.59:
	v_lshl_add_u32 v9, v19, 2, v4
	ds_read_b32 v18, v9 offset:4
; %bb.60:
	s_or_saveexec_b32 s6, s6
	v_mov_b32_e32 v20, v16
	s_xor_b32 exec_lo, exec_lo, s6
	s_cbranch_execz .LBB30_62
; %bb.61:
	v_lshl_add_u32 v9, v17, 2, v4
	s_waitcnt lgkmcnt(0)
	v_mov_b32_e32 v18, v11
	ds_read_b32 v20, v9 offset:4
.LBB30_62:
	s_or_b32 exec_lo, exec_lo, s6
	v_and_b32_e32 v9, 64, v6
	v_add_nc_u32_e32 v21, 1, v19
	v_cndmask_b32_e64 v23, v11, v16, s5
	v_add_nc_u32_e32 v16, 1, v17
	v_and_b32_e32 v24, 60, v6
	v_min_i32_e32 v15, v5, v9
	v_cndmask_b32_e64 v19, v21, v19, s5
	s_waitcnt lgkmcnt(0)
	v_cmp_lt_i32_e64 s6, v20, v18
	v_cndmask_b32_e64 v17, v17, v16, s5
	v_cndmask_b32_e64 v13, v13, v14, s4
	v_add_nc_u32_e32 v9, 32, v15
	v_cmp_ge_i32_e64 s5, v19, v8
	v_min_i32_e32 v16, v5, v24
	v_cmp_lt_i32_e64 s4, v17, v10
	v_cndmask_b32_e64 v12, v2, v12, s3
	v_min_i32_e32 v9, v5, v9
	s_or_b32 s3, s5, s6
	s_mov_b32 s5, 0
	s_and_b32 s3, s4, s3
	s_mov_b32 s4, exec_lo
	v_add_nc_u32_e32 v22, 32, v9
	v_sub_nc_u32_e32 v10, v9, v15
	v_cndmask_b32_e64 v14, v18, v20, s3
	; wave barrier
	v_min_i32_e32 v11, v5, v22
	v_min_i32_e32 v10, v16, v10
	ds_write2_b32 v7, v12, v13 offset1:1
	ds_write2_b32 v7, v23, v14 offset0:2 offset1:3
	v_sub_nc_u32_e32 v8, v11, v9
	; wave barrier
	v_sub_nc_u32_e32 v2, v16, v8
	v_cmp_ge_i32_e64 s3, v16, v8
	v_lshl_add_u32 v8, v15, 2, v4
	v_cndmask_b32_e64 v2, 0, v2, s3
	v_cmpx_lt_i32_e64 v2, v10
	s_cbranch_execz .LBB30_66
; %bb.63:
	v_lshlrev_b32_e32 v12, 2, v9
	v_lshlrev_b32_e32 v13, 2, v16
	v_add3_u32 v12, v4, v12, v13
	.p2align	6
.LBB30_64:                              ; =>This Inner Loop Header: Depth=1
	v_sub_nc_u32_e32 v13, v10, v2
	v_lshrrev_b32_e32 v13, 1, v13
	v_add_nc_u32_e32 v13, v13, v2
	v_not_b32_e32 v14, v13
	v_lshl_add_u32 v17, v13, 2, v8
	v_add_nc_u32_e32 v18, 1, v13
	v_lshl_add_u32 v14, v14, 2, v12
	ds_read_b32 v17, v17
	ds_read_b32 v14, v14
	s_waitcnt lgkmcnt(0)
	v_cmp_lt_i32_e64 s3, v14, v17
	v_cndmask_b32_e64 v10, v10, v13, s3
	v_cndmask_b32_e64 v2, v18, v2, s3
	v_cmp_ge_i32_e64 s3, v2, v10
	s_or_b32 s5, s3, s5
	s_andn2_b32 exec_lo, exec_lo, s5
	s_cbranch_execnz .LBB30_64
; %bb.65:
	s_or_b32 exec_lo, exec_lo, s5
.LBB30_66:
	s_or_b32 exec_lo, exec_lo, s4
	v_add_nc_u32_e32 v10, v9, v16
	v_lshl_add_u32 v14, v2, 2, v8
                                        ; implicit-def: $vgpr13
	v_sub_nc_u32_e32 v16, v10, v2
	v_add_nc_u32_e32 v2, v2, v15
	v_lshl_add_u32 v8, v16, 2, v4
	v_cmp_le_i32_e64 s3, v9, v2
	v_cmp_gt_i32_e64 s5, v11, v16
	ds_read_b32 v10, v14
	ds_read_b32 v12, v8
	s_waitcnt lgkmcnt(0)
	v_cmp_lt_i32_e64 s4, v12, v10
	s_or_b32 s3, s3, s4
	s_and_b32 s3, s5, s3
	s_xor_b32 s4, s3, -1
	s_and_saveexec_b32 s5, s4
	s_xor_b32 s4, exec_lo, s5
; %bb.67:
	ds_read_b32 v13, v14 offset:4
                                        ; implicit-def: $vgpr8
; %bb.68:
	s_or_saveexec_b32 s4, s4
	v_mov_b32_e32 v14, v12
	s_xor_b32 exec_lo, exec_lo, s4
	s_cbranch_execz .LBB30_70
; %bb.69:
	ds_read_b32 v14, v8 offset:4
	s_waitcnt lgkmcnt(1)
	v_mov_b32_e32 v13, v10
.LBB30_70:
	s_or_b32 exec_lo, exec_lo, s4
	v_add_nc_u32_e32 v8, 1, v2
	v_add_nc_u32_e32 v17, 1, v16
	s_waitcnt lgkmcnt(0)
	v_cmp_lt_i32_e64 s5, v14, v13
	v_cndmask_b32_e64 v15, v8, v2, s3
	v_cndmask_b32_e64 v2, v16, v17, s3
                                        ; implicit-def: $vgpr8
	v_cmp_ge_i32_e64 s4, v15, v9
	v_cmp_lt_i32_e64 s6, v2, v11
	s_or_b32 s4, s4, s5
	s_and_b32 s4, s6, s4
	s_xor_b32 s5, s4, -1
	s_and_saveexec_b32 s6, s5
	s_xor_b32 s5, exec_lo, s6
; %bb.71:
	v_lshl_add_u32 v8, v15, 2, v4
	ds_read_b32 v8, v8 offset:4
; %bb.72:
	s_or_saveexec_b32 s5, s5
	v_mov_b32_e32 v16, v14
	s_xor_b32 exec_lo, exec_lo, s5
	s_cbranch_execz .LBB30_74
; %bb.73:
	s_waitcnt lgkmcnt(0)
	v_lshl_add_u32 v8, v2, 2, v4
	ds_read_b32 v16, v8 offset:4
	v_mov_b32_e32 v8, v13
.LBB30_74:
	s_or_b32 exec_lo, exec_lo, s5
	v_add_nc_u32_e32 v17, 1, v15
	v_add_nc_u32_e32 v18, 1, v2
	s_waitcnt lgkmcnt(0)
	v_cmp_lt_i32_e64 s6, v16, v8
	v_cndmask_b32_e64 v19, v17, v15, s4
	v_cndmask_b32_e64 v17, v2, v18, s4
                                        ; implicit-def: $vgpr18
	v_cmp_ge_i32_e64 s5, v19, v9
	v_cmp_lt_i32_e64 s7, v17, v11
	s_or_b32 s5, s5, s6
	s_and_b32 s5, s7, s5
	s_xor_b32 s6, s5, -1
	s_and_saveexec_b32 s7, s6
	s_xor_b32 s6, exec_lo, s7
; %bb.75:
	v_lshl_add_u32 v2, v19, 2, v4
	ds_read_b32 v18, v2 offset:4
; %bb.76:
	s_or_saveexec_b32 s6, s6
	v_mov_b32_e32 v20, v16
	s_xor_b32 exec_lo, exec_lo, s6
	s_cbranch_execz .LBB30_78
; %bb.77:
	v_lshl_add_u32 v2, v17, 2, v4
	s_waitcnt lgkmcnt(0)
	v_mov_b32_e32 v18, v8
	ds_read_b32 v20, v2 offset:4
.LBB30_78:
	s_or_b32 exec_lo, exec_lo, s6
	v_min_i32_e32 v15, 0, v5
	v_add_nc_u32_e32 v21, 1, v19
	v_add_nc_u32_e32 v23, 1, v17
	v_cndmask_b32_e64 v16, v8, v16, s5
	s_waitcnt lgkmcnt(0)
	v_cmp_lt_i32_e64 s6, v20, v18
	v_add_nc_u32_e32 v2, 64, v15
	v_cndmask_b32_e64 v19, v21, v19, s5
	v_cndmask_b32_e64 v17, v17, v23, s5
	v_cndmask_b32_e64 v13, v13, v14, s4
	v_min_i32_e32 v2, v5, v2
	v_cmp_ge_i32_e64 s5, v19, v9
	v_cmp_lt_i32_e64 s4, v17, v11
	v_cndmask_b32_e64 v11, v10, v12, s3
	; wave barrier
	v_add_nc_u32_e32 v22, 64, v2
	s_or_b32 s3, s5, s6
	v_sub_nc_u32_e32 v10, v2, v15
	s_and_b32 s3, s4, s3
	s_mov_b32 s5, 0
	v_min_i32_e32 v8, v5, v22
	v_min_i32_e32 v5, v5, v6
	v_cndmask_b32_e64 v12, v18, v20, s3
	s_mov_b32 s4, exec_lo
	ds_write2_b32 v7, v11, v13 offset1:1
	v_sub_nc_u32_e32 v6, v8, v2
	v_min_i32_e32 v10, v5, v10
	ds_write2_b32 v7, v16, v12 offset0:2 offset1:3
	; wave barrier
	v_sub_nc_u32_e32 v9, v5, v6
	v_cmp_ge_i32_e64 s3, v5, v6
	v_lshl_add_u32 v6, v15, 2, v4
	v_cndmask_b32_e64 v9, 0, v9, s3
	v_cmpx_lt_i32_e64 v9, v10
	s_cbranch_execz .LBB30_82
; %bb.79:
	v_lshlrev_b32_e32 v7, 2, v2
	v_lshlrev_b32_e32 v11, 2, v5
	v_add3_u32 v7, v4, v7, v11
	.p2align	6
.LBB30_80:                              ; =>This Inner Loop Header: Depth=1
	v_sub_nc_u32_e32 v11, v10, v9
	v_lshrrev_b32_e32 v11, 1, v11
	v_add_nc_u32_e32 v11, v11, v9
	v_not_b32_e32 v12, v11
	v_lshl_add_u32 v13, v11, 2, v6
	v_add_nc_u32_e32 v14, 1, v11
	v_lshl_add_u32 v12, v12, 2, v7
	ds_read_b32 v13, v13
	ds_read_b32 v12, v12
	s_waitcnt lgkmcnt(0)
	v_cmp_lt_i32_e64 s3, v12, v13
	v_cndmask_b32_e64 v10, v10, v11, s3
	v_cndmask_b32_e64 v9, v14, v9, s3
	v_cmp_ge_i32_e64 s3, v9, v10
	s_or_b32 s5, s3, s5
	s_andn2_b32 exec_lo, exec_lo, s5
	s_cbranch_execnz .LBB30_80
; %bb.81:
	s_or_b32 exec_lo, exec_lo, s5
.LBB30_82:
	s_or_b32 exec_lo, exec_lo, s4
	v_add_nc_u32_e32 v5, v2, v5
	v_lshl_add_u32 v13, v9, 2, v6
	v_add_nc_u32_e32 v11, v9, v15
                                        ; implicit-def: $vgpr7
	v_sub_nc_u32_e32 v10, v5, v9
	v_cmp_le_i32_e64 s3, v2, v11
	v_lshl_add_u32 v12, v10, 2, v4
	v_cmp_gt_i32_e64 s5, v8, v10
	ds_read_b32 v5, v13
	ds_read_b32 v6, v12
	s_waitcnt lgkmcnt(0)
	v_cmp_lt_i32_e64 s4, v6, v5
	s_or_b32 s3, s3, s4
	s_and_b32 s3, s5, s3
	s_xor_b32 s4, s3, -1
	s_and_saveexec_b32 s5, s4
	s_xor_b32 s4, exec_lo, s5
; %bb.83:
	ds_read_b32 v7, v13 offset:4
                                        ; implicit-def: $vgpr12
; %bb.84:
	s_or_saveexec_b32 s4, s4
	v_mov_b32_e32 v9, v6
	s_xor_b32 exec_lo, exec_lo, s4
	s_cbranch_execz .LBB30_86
; %bb.85:
	ds_read_b32 v9, v12 offset:4
	s_waitcnt lgkmcnt(1)
	v_mov_b32_e32 v7, v5
.LBB30_86:
	s_or_b32 exec_lo, exec_lo, s4
	v_add_nc_u32_e32 v12, 1, v11
	v_add_nc_u32_e32 v14, 1, v10
	s_waitcnt lgkmcnt(0)
	v_cmp_lt_i32_e64 s5, v9, v7
	v_cndmask_b32_e64 v13, v12, v11, s3
	v_cndmask_b32_e64 v12, v10, v14, s3
                                        ; implicit-def: $vgpr10
	v_cmp_ge_i32_e64 s4, v13, v2
	v_cmp_lt_i32_e64 s6, v12, v8
	s_or_b32 s4, s4, s5
	s_and_b32 s4, s6, s4
	s_xor_b32 s5, s4, -1
	s_and_saveexec_b32 s6, s5
	s_xor_b32 s5, exec_lo, s6
; %bb.87:
	v_lshl_add_u32 v10, v13, 2, v4
	ds_read_b32 v10, v10 offset:4
; %bb.88:
	s_or_saveexec_b32 s5, s5
	v_mov_b32_e32 v11, v9
	s_xor_b32 exec_lo, exec_lo, s5
	s_cbranch_execz .LBB30_90
; %bb.89:
	s_waitcnt lgkmcnt(0)
	v_lshl_add_u32 v10, v12, 2, v4
	ds_read_b32 v11, v10 offset:4
	v_mov_b32_e32 v10, v7
.LBB30_90:
	s_or_b32 exec_lo, exec_lo, s5
	v_add_nc_u32_e32 v14, 1, v13
	v_add_nc_u32_e32 v15, 1, v12
	s_waitcnt lgkmcnt(0)
	v_cmp_lt_i32_e64 s6, v11, v10
	v_cndmask_b32_e64 v16, v14, v13, s4
	v_cndmask_b32_e64 v12, v12, v15, s4
                                        ; implicit-def: $vgpr13
                                        ; implicit-def: $vgpr14
	v_cmp_ge_i32_e64 s5, v16, v2
	v_cmp_lt_i32_e64 s7, v12, v8
	s_or_b32 s5, s5, s6
	s_and_b32 s5, s7, s5
	s_xor_b32 s6, s5, -1
	s_and_saveexec_b32 s7, s6
	s_xor_b32 s6, exec_lo, s7
; %bb.91:
	v_lshl_add_u32 v4, v16, 2, v4
	v_add_nc_u32_e32 v14, 1, v16
                                        ; implicit-def: $vgpr16
	ds_read_b32 v13, v4 offset:4
                                        ; implicit-def: $vgpr4
; %bb.92:
	s_or_saveexec_b32 s6, s6
	v_mov_b32_e32 v15, v11
	s_xor_b32 exec_lo, exec_lo, s6
	s_cbranch_execz .LBB30_94
; %bb.93:
	v_lshl_add_u32 v4, v12, 2, v4
	v_add_nc_u32_e32 v12, 1, v12
	v_mov_b32_e32 v14, v16
	s_waitcnt lgkmcnt(0)
	v_mov_b32_e32 v13, v10
	ds_read_b32 v15, v4 offset:4
.LBB30_94:
	s_or_b32 exec_lo, exec_lo, s6
	v_add_co_u32 v0, s6, s10, v0
	v_add_co_ci_u32_e64 v1, null, s11, v1, s6
	v_add_co_u32 v0, s6, v0, v3
	v_add_co_ci_u32_e64 v1, null, 0, v1, s6
	s_and_saveexec_b32 s6, vcc_lo
	s_cbranch_execnz .LBB30_99
; %bb.95:
	s_or_b32 exec_lo, exec_lo, s6
	s_and_saveexec_b32 s3, s0
	s_cbranch_execnz .LBB30_100
.LBB30_96:
	s_or_b32 exec_lo, exec_lo, s3
	s_and_saveexec_b32 s0, s1
	s_cbranch_execnz .LBB30_101
.LBB30_97:
	s_or_b32 exec_lo, exec_lo, s0
	s_and_saveexec_b32 s0, s2
	s_cbranch_execnz .LBB30_102
.LBB30_98:
	s_endpgm
.LBB30_99:
	v_cndmask_b32_e64 v3, v5, v6, s3
	global_store_dword v[0:1], v3, off
	s_or_b32 exec_lo, exec_lo, s6
	s_and_saveexec_b32 s3, s0
	s_cbranch_execz .LBB30_96
.LBB30_100:
	v_cndmask_b32_e64 v3, v7, v9, s4
	global_store_dword v[0:1], v3, off offset:4
	s_or_b32 exec_lo, exec_lo, s3
	s_and_saveexec_b32 s0, s1
	s_cbranch_execz .LBB30_97
.LBB30_101:
	v_cndmask_b32_e64 v3, v10, v11, s5
	global_store_dword v[0:1], v3, off offset:8
	s_or_b32 exec_lo, exec_lo, s0
	s_and_saveexec_b32 s0, s2
	s_cbranch_execz .LBB30_98
.LBB30_102:
	v_cmp_ge_i32_e32 vcc_lo, v14, v2
	s_waitcnt lgkmcnt(0)
	v_cmp_lt_i32_e64 s0, v15, v13
	v_cmp_lt_i32_e64 s1, v12, v8
	s_or_b32 s0, vcc_lo, s0
	s_and_b32 vcc_lo, s1, s0
	v_cndmask_b32_e32 v2, v13, v15, vcc_lo
	global_store_dword v[0:1], v2, off offset:12
	s_endpgm
	.section	.rodata,"a",@progbits
	.p2align	6, 0x0
	.amdhsa_kernel _Z19sort_keys_segmentedILj256ELj32ELj4EiN10test_utils4lessEEvPKT2_PS2_PKjT3_
		.amdhsa_group_segment_fixed_size 4128
		.amdhsa_private_segment_fixed_size 0
		.amdhsa_kernarg_size 28
		.amdhsa_user_sgpr_count 6
		.amdhsa_user_sgpr_private_segment_buffer 1
		.amdhsa_user_sgpr_dispatch_ptr 0
		.amdhsa_user_sgpr_queue_ptr 0
		.amdhsa_user_sgpr_kernarg_segment_ptr 1
		.amdhsa_user_sgpr_dispatch_id 0
		.amdhsa_user_sgpr_flat_scratch_init 0
		.amdhsa_user_sgpr_private_segment_size 0
		.amdhsa_wavefront_size32 1
		.amdhsa_uses_dynamic_stack 0
		.amdhsa_system_sgpr_private_segment_wavefront_offset 0
		.amdhsa_system_sgpr_workgroup_id_x 1
		.amdhsa_system_sgpr_workgroup_id_y 0
		.amdhsa_system_sgpr_workgroup_id_z 0
		.amdhsa_system_sgpr_workgroup_info 0
		.amdhsa_system_vgpr_workitem_id 0
		.amdhsa_next_free_vgpr 25
		.amdhsa_next_free_sgpr 12
		.amdhsa_reserve_vcc 1
		.amdhsa_reserve_flat_scratch 0
		.amdhsa_float_round_mode_32 0
		.amdhsa_float_round_mode_16_64 0
		.amdhsa_float_denorm_mode_32 3
		.amdhsa_float_denorm_mode_16_64 3
		.amdhsa_dx10_clamp 1
		.amdhsa_ieee_mode 1
		.amdhsa_fp16_overflow 0
		.amdhsa_workgroup_processor_mode 1
		.amdhsa_memory_ordered 1
		.amdhsa_forward_progress 1
		.amdhsa_shared_vgpr_count 0
		.amdhsa_exception_fp_ieee_invalid_op 0
		.amdhsa_exception_fp_denorm_src 0
		.amdhsa_exception_fp_ieee_div_zero 0
		.amdhsa_exception_fp_ieee_overflow 0
		.amdhsa_exception_fp_ieee_underflow 0
		.amdhsa_exception_fp_ieee_inexact 0
		.amdhsa_exception_int_div_zero 0
	.end_amdhsa_kernel
	.section	.text._Z19sort_keys_segmentedILj256ELj32ELj4EiN10test_utils4lessEEvPKT2_PS2_PKjT3_,"axG",@progbits,_Z19sort_keys_segmentedILj256ELj32ELj4EiN10test_utils4lessEEvPKT2_PS2_PKjT3_,comdat
.Lfunc_end30:
	.size	_Z19sort_keys_segmentedILj256ELj32ELj4EiN10test_utils4lessEEvPKT2_PS2_PKjT3_, .Lfunc_end30-_Z19sort_keys_segmentedILj256ELj32ELj4EiN10test_utils4lessEEvPKT2_PS2_PKjT3_
                                        ; -- End function
	.set _Z19sort_keys_segmentedILj256ELj32ELj4EiN10test_utils4lessEEvPKT2_PS2_PKjT3_.num_vgpr, 25
	.set _Z19sort_keys_segmentedILj256ELj32ELj4EiN10test_utils4lessEEvPKT2_PS2_PKjT3_.num_agpr, 0
	.set _Z19sort_keys_segmentedILj256ELj32ELj4EiN10test_utils4lessEEvPKT2_PS2_PKjT3_.numbered_sgpr, 12
	.set _Z19sort_keys_segmentedILj256ELj32ELj4EiN10test_utils4lessEEvPKT2_PS2_PKjT3_.num_named_barrier, 0
	.set _Z19sort_keys_segmentedILj256ELj32ELj4EiN10test_utils4lessEEvPKT2_PS2_PKjT3_.private_seg_size, 0
	.set _Z19sort_keys_segmentedILj256ELj32ELj4EiN10test_utils4lessEEvPKT2_PS2_PKjT3_.uses_vcc, 1
	.set _Z19sort_keys_segmentedILj256ELj32ELj4EiN10test_utils4lessEEvPKT2_PS2_PKjT3_.uses_flat_scratch, 0
	.set _Z19sort_keys_segmentedILj256ELj32ELj4EiN10test_utils4lessEEvPKT2_PS2_PKjT3_.has_dyn_sized_stack, 0
	.set _Z19sort_keys_segmentedILj256ELj32ELj4EiN10test_utils4lessEEvPKT2_PS2_PKjT3_.has_recursion, 0
	.set _Z19sort_keys_segmentedILj256ELj32ELj4EiN10test_utils4lessEEvPKT2_PS2_PKjT3_.has_indirect_call, 0
	.section	.AMDGPU.csdata,"",@progbits
; Kernel info:
; codeLenInByte = 4572
; TotalNumSgprs: 14
; NumVgprs: 25
; ScratchSize: 0
; MemoryBound: 0
; FloatMode: 240
; IeeeMode: 1
; LDSByteSize: 4128 bytes/workgroup (compile time only)
; SGPRBlocks: 0
; VGPRBlocks: 3
; NumSGPRsForWavesPerEU: 14
; NumVGPRsForWavesPerEU: 25
; Occupancy: 16
; WaveLimiterHint : 0
; COMPUTE_PGM_RSRC2:SCRATCH_EN: 0
; COMPUTE_PGM_RSRC2:USER_SGPR: 6
; COMPUTE_PGM_RSRC2:TRAP_HANDLER: 0
; COMPUTE_PGM_RSRC2:TGID_X_EN: 1
; COMPUTE_PGM_RSRC2:TGID_Y_EN: 0
; COMPUTE_PGM_RSRC2:TGID_Z_EN: 0
; COMPUTE_PGM_RSRC2:TIDIG_COMP_CNT: 0
	.section	.text._Z20sort_pairs_segmentedILj256ELj32ELj4EiN10test_utils4lessEEvPKT2_PS2_PKjT3_,"axG",@progbits,_Z20sort_pairs_segmentedILj256ELj32ELj4EiN10test_utils4lessEEvPKT2_PS2_PKjT3_,comdat
	.protected	_Z20sort_pairs_segmentedILj256ELj32ELj4EiN10test_utils4lessEEvPKT2_PS2_PKjT3_ ; -- Begin function _Z20sort_pairs_segmentedILj256ELj32ELj4EiN10test_utils4lessEEvPKT2_PS2_PKjT3_
	.globl	_Z20sort_pairs_segmentedILj256ELj32ELj4EiN10test_utils4lessEEvPKT2_PS2_PKjT3_
	.p2align	8
	.type	_Z20sort_pairs_segmentedILj256ELj32ELj4EiN10test_utils4lessEEvPKT2_PS2_PKjT3_,@function
_Z20sort_pairs_segmentedILj256ELj32ELj4EiN10test_utils4lessEEvPKT2_PS2_PKjT3_: ; @_Z20sort_pairs_segmentedILj256ELj32ELj4EiN10test_utils4lessEEvPKT2_PS2_PKjT3_
; %bb.0:
	s_clause 0x1
	s_load_dwordx2 s[0:1], s[4:5], 0x10
	s_load_dwordx4 s[8:11], s[4:5], 0x0
	v_lshrrev_b32_e32 v12, 5, v0
	v_mov_b32_e32 v2, 0
	v_lshl_or_b32 v1, s6, 3, v12
	v_mov_b32_e32 v13, v2
	v_mov_b32_e32 v14, v2
	v_lshlrev_b64 v[3:4], 2, v[1:2]
	v_lshlrev_b32_e32 v1, 7, v1
	v_lshlrev_b64 v[0:1], 2, v[1:2]
	s_waitcnt lgkmcnt(0)
	v_add_co_u32 v3, vcc_lo, s0, v3
	v_add_co_ci_u32_e64 v4, null, s1, v4, vcc_lo
	global_load_dword v5, v[3:4], off
	v_mbcnt_lo_u32_b32 v3, -1, 0
	v_add_co_u32 v4, vcc_lo, s8, v0
	v_add_co_ci_u32_e64 v7, null, s9, v1, vcc_lo
	v_lshlrev_b32_e32 v6, 2, v3
	v_lshlrev_b32_e32 v3, 4, v3
	v_add_co_u32 v3, vcc_lo, v4, v3
	v_add_co_ci_u32_e64 v4, null, 0, v7, vcc_lo
	v_mov_b32_e32 v7, v2
	s_waitcnt vmcnt(0)
	v_cmp_lt_u32_e32 vcc_lo, v6, v5
	s_and_saveexec_b32 s0, vcc_lo
	s_cbranch_execz .LBB31_2
; %bb.1:
	global_load_dword v13, v[3:4], off
	v_mov_b32_e32 v14, v2
	v_mov_b32_e32 v7, v2
.LBB31_2:
	s_or_b32 exec_lo, exec_lo, s0
	v_or_b32_e32 v8, 1, v6
	v_cmp_lt_u32_e64 s0, v8, v5
	s_and_saveexec_b32 s1, s0
	s_cbranch_execz .LBB31_4
; %bb.3:
	global_load_dword v2, v[3:4], off offset:4
.LBB31_4:
	s_or_b32 exec_lo, exec_lo, s1
	v_or_b32_e32 v9, 2, v6
	v_cmp_lt_u32_e64 s1, v9, v5
	s_and_saveexec_b32 s2, s1
	s_cbranch_execz .LBB31_6
; %bb.5:
	global_load_dword v14, v[3:4], off offset:8
.LBB31_6:
	;; [unrolled: 8-line block ×3, first 2 shown]
	s_or_b32 exec_lo, exec_lo, s3
	v_cmp_lt_i32_e64 s3, v8, v5
	v_cmp_lt_i32_e64 s4, v9, v5
	s_waitcnt vmcnt(0)
	v_add_nc_u32_e32 v3, 1, v13
	v_add_nc_u32_e32 v4, 1, v2
	;; [unrolled: 1-line block ×4, first 2 shown]
	s_or_b32 s3, s4, s3
	v_cndmask_b32_e32 v8, 0, v3, vcc_lo
	v_cndmask_b32_e64 v9, 0, v4, s0
	v_cndmask_b32_e64 v11, 0, v10, s1
	;; [unrolled: 1-line block ×5, first 2 shown]
	s_mov_b32 s4, 0
	s_brev_b32 s6, -2
	s_mov_b32 s5, exec_lo
	v_cmpx_ge_i32_e64 v15, v5
	s_xor_b32 s5, exec_lo, s5
	s_cbranch_execnz .LBB31_11
; %bb.9:
	s_andn2_saveexec_b32 s3, s5
	s_cbranch_execnz .LBB31_12
.LBB31_10:
	s_or_b32 exec_lo, exec_lo, s3
	v_bfrev_b32_e32 v17, -2
	s_and_saveexec_b32 s5, s4
	s_cbranch_execnz .LBB31_13
	s_branch .LBB31_16
.LBB31_11:
	v_cmp_lt_i32_e64 s3, v6, v5
	v_mov_b32_e32 v7, s6
	s_and_b32 s4, s3, exec_lo
	s_andn2_saveexec_b32 s3, s5
	s_cbranch_execz .LBB31_10
.LBB31_12:
	s_or_b32 s4, s4, exec_lo
	s_or_b32 exec_lo, exec_lo, s3
	v_bfrev_b32_e32 v17, -2
	s_and_saveexec_b32 s5, s4
	s_cbranch_execz .LBB31_16
.LBB31_13:
	v_cmp_lt_i32_e64 s3, v2, v13
	v_cmp_lt_i32_e64 s4, v7, v14
	v_min_i32_e32 v4, v7, v14
	v_cndmask_b32_e64 v15, v2, v13, s3
	v_cndmask_b32_e64 v3, v8, v9, s3
	;; [unrolled: 1-line block ×5, first 2 shown]
	v_cmp_lt_i32_e64 s3, v4, v15
	v_cndmask_b32_e64 v16, v10, v11, s4
	v_cndmask_b32_e64 v2, v11, v10, s4
	v_min_i32_e32 v10, v4, v15
	v_cndmask_b32_e64 v7, v7, v14, s4
	v_cndmask_b32_e64 v14, v9, v15, s3
	;; [unrolled: 1-line block ×5, first 2 shown]
	v_cmp_lt_i32_e64 s4, v10, v13
	v_cmp_lt_i32_e64 s3, v7, v14
	v_cndmask_b32_e64 v9, v2, v3, s4
	v_cndmask_b32_e64 v8, v3, v2, s4
	;; [unrolled: 1-line block ×4, first 2 shown]
	v_min_i32_e32 v3, v7, v14
	v_cndmask_b32_e64 v10, v16, v11, s3
	v_cndmask_b32_e64 v11, v11, v16, s3
	;; [unrolled: 1-line block ×4, first 2 shown]
	s_mov_b32 s4, exec_lo
	v_cmpx_lt_i32_e64 v3, v2
; %bb.14:
	v_mov_b32_e32 v4, v11
	v_swap_b32 v11, v9
	v_mov_b32_e32 v14, v2
	v_mov_b32_e32 v2, v3
; %bb.15:
	s_or_b32 exec_lo, exec_lo, s4
.LBB31_16:
	s_or_b32 exec_lo, exec_lo, s5
	v_and_b32_e32 v3, 0x78, v6
	v_and_b32_e32 v4, 4, v6
	s_mov_b32 s5, 0
	s_mov_b32 s4, exec_lo
	v_min_i32_e32 v18, v5, v3
	v_min_i32_e32 v19, v5, v4
	v_mul_u32_u24_e32 v4, 0x204, v12
	; wave barrier
	v_add_nc_u32_e32 v3, 4, v18
	v_lshlrev_b32_e32 v23, 2, v18
	v_min_i32_e32 v15, v5, v3
	v_add_nc_u32_e32 v3, 4, v15
	v_sub_nc_u32_e32 v22, v15, v18
	v_min_i32_e32 v16, v5, v3
	v_lshlrev_b32_e32 v3, 2, v6
	v_sub_nc_u32_e32 v20, v16, v15
	v_mad_u32_u24 v7, 0x204, v12, v3
	v_mad_u32_u24 v12, 0x204, v12, v23
	v_sub_nc_u32_e32 v21, v19, v20
	v_cmp_ge_i32_e64 s3, v19, v20
	ds_write2_b32 v7, v13, v2 offset1:1
	ds_write2_b32 v7, v14, v17 offset0:2 offset1:3
	; wave barrier
	v_cndmask_b32_e64 v20, 0, v21, s3
	v_min_i32_e32 v21, v19, v22
	v_cmpx_lt_i32_e64 v20, v21
	s_cbranch_execz .LBB31_20
; %bb.17:
	v_lshlrev_b32_e32 v2, 2, v15
	v_lshlrev_b32_e32 v13, 2, v19
	v_add3_u32 v2, v4, v2, v13
	.p2align	6
.LBB31_18:                              ; =>This Inner Loop Header: Depth=1
	v_sub_nc_u32_e32 v13, v21, v20
	v_lshrrev_b32_e32 v13, 1, v13
	v_add_nc_u32_e32 v13, v13, v20
	v_not_b32_e32 v14, v13
	v_lshl_add_u32 v17, v13, 2, v12
	v_add_nc_u32_e32 v22, 1, v13
	v_lshl_add_u32 v14, v14, 2, v2
	ds_read_b32 v17, v17
	ds_read_b32 v14, v14
	s_waitcnt lgkmcnt(0)
	v_cmp_lt_i32_e64 s3, v14, v17
	v_cndmask_b32_e64 v21, v21, v13, s3
	v_cndmask_b32_e64 v20, v22, v20, s3
	v_cmp_ge_i32_e64 s3, v20, v21
	s_or_b32 s5, s3, s5
	s_andn2_b32 exec_lo, exec_lo, s5
	s_cbranch_execnz .LBB31_18
; %bb.19:
	s_or_b32 exec_lo, exec_lo, s5
.LBB31_20:
	s_or_b32 exec_lo, exec_lo, s4
	v_add_nc_u32_e32 v2, v15, v19
	v_lshl_add_u32 v21, v20, 2, v12
	v_add_nc_u32_e32 v12, v20, v18
                                        ; implicit-def: $vgpr17
	v_sub_nc_u32_e32 v2, v2, v20
	v_cmp_le_i32_e64 s3, v15, v12
	v_lshl_add_u32 v19, v2, 2, v4
	v_cmp_gt_i32_e64 s5, v16, v2
	ds_read_b32 v13, v21
	ds_read_b32 v14, v19
	s_waitcnt lgkmcnt(0)
	v_cmp_lt_i32_e64 s4, v14, v13
	s_or_b32 s3, s3, s4
	s_and_b32 s3, s5, s3
	s_xor_b32 s4, s3, -1
	s_and_saveexec_b32 s5, s4
	s_xor_b32 s4, exec_lo, s5
; %bb.21:
	ds_read_b32 v17, v21 offset:4
                                        ; implicit-def: $vgpr19
; %bb.22:
	s_or_saveexec_b32 s4, s4
	v_mov_b32_e32 v18, v14
	s_xor_b32 exec_lo, exec_lo, s4
	s_cbranch_execz .LBB31_24
; %bb.23:
	ds_read_b32 v18, v19 offset:4
	s_waitcnt lgkmcnt(1)
	v_mov_b32_e32 v17, v13
.LBB31_24:
	s_or_b32 exec_lo, exec_lo, s4
	v_add_nc_u32_e32 v19, 1, v12
	v_add_nc_u32_e32 v20, 1, v2
	s_waitcnt lgkmcnt(0)
	v_cmp_lt_i32_e64 s5, v18, v17
	v_cndmask_b32_e64 v21, v19, v12, s3
	v_cndmask_b32_e64 v22, v2, v20, s3
                                        ; implicit-def: $vgpr19
	v_cmp_ge_i32_e64 s4, v21, v15
	v_cmp_lt_i32_e64 s6, v22, v16
	s_or_b32 s4, s4, s5
	s_and_b32 s4, s6, s4
	s_xor_b32 s5, s4, -1
	s_and_saveexec_b32 s6, s5
	s_xor_b32 s5, exec_lo, s6
; %bb.25:
	v_lshl_add_u32 v19, v21, 2, v4
	ds_read_b32 v19, v19 offset:4
; %bb.26:
	s_or_saveexec_b32 s5, s5
	v_mov_b32_e32 v20, v18
	s_xor_b32 exec_lo, exec_lo, s5
	s_cbranch_execz .LBB31_28
; %bb.27:
	s_waitcnt lgkmcnt(0)
	v_lshl_add_u32 v19, v22, 2, v4
	ds_read_b32 v20, v19 offset:4
	v_mov_b32_e32 v19, v17
.LBB31_28:
	s_or_b32 exec_lo, exec_lo, s5
	v_add_nc_u32_e32 v23, 1, v21
	v_add_nc_u32_e32 v24, 1, v22
	s_waitcnt lgkmcnt(0)
	v_cmp_lt_i32_e64 s6, v20, v19
	v_cndmask_b32_e64 v25, v23, v21, s4
	v_cndmask_b32_e64 v23, v22, v24, s4
                                        ; implicit-def: $vgpr24
	v_cmp_ge_i32_e64 s5, v25, v15
	v_cmp_lt_i32_e64 s7, v23, v16
	s_or_b32 s5, s5, s6
	s_and_b32 s5, s7, s5
	s_xor_b32 s6, s5, -1
	s_and_saveexec_b32 s7, s6
	s_xor_b32 s6, exec_lo, s7
; %bb.29:
	v_lshl_add_u32 v24, v25, 2, v4
	ds_read_b32 v24, v24 offset:4
; %bb.30:
	s_or_saveexec_b32 s6, s6
	v_mov_b32_e32 v26, v20
	s_xor_b32 exec_lo, exec_lo, s6
	s_cbranch_execz .LBB31_32
; %bb.31:
	s_waitcnt lgkmcnt(0)
	v_lshl_add_u32 v24, v23, 2, v4
	ds_read_b32 v26, v24 offset:4
	v_mov_b32_e32 v24, v19
.LBB31_32:
	s_or_b32 exec_lo, exec_lo, s6
	v_add_nc_u32_e32 v27, 1, v25
	v_and_b32_e32 v28, 0x70, v6
	v_add_nc_u32_e32 v29, 1, v23
	v_cndmask_b32_e64 v30, v25, v23, s5
	v_cndmask_b32_e64 v22, v21, v22, s4
	;; [unrolled: 1-line block ×3, first 2 shown]
	v_min_i32_e32 v21, v5, v28
	v_cndmask_b32_e64 v23, v23, v29, s5
	s_waitcnt lgkmcnt(0)
	v_cmp_lt_i32_e64 s6, v26, v24
	v_cndmask_b32_e64 v12, v12, v2, s3
	v_cmp_ge_i32_e64 s7, v25, v15
	v_add_nc_u32_e32 v2, 8, v21
	v_cmp_lt_i32_e64 s8, v23, v16
	; wave barrier
	s_or_b32 s6, s7, s6
	v_min_i32_e32 v2, v5, v2
	s_and_b32 s6, s8, s6
	ds_write2_b32 v7, v8, v9 offset1:1
	ds_write2_b32 v7, v11, v10 offset0:2 offset1:3
	v_cndmask_b32_e64 v15, v25, v23, s6
	v_lshl_add_u32 v9, v12, 2, v4
	v_add_nc_u32_e32 v8, 8, v2
	v_and_b32_e32 v10, 12, v6
	v_lshl_add_u32 v11, v22, 2, v4
	v_lshl_add_u32 v16, v30, 2, v4
	;; [unrolled: 1-line block ×3, first 2 shown]
	; wave barrier
	v_min_i32_e32 v12, v5, v8
	v_min_i32_e32 v15, v5, v10
	ds_read_b32 v8, v9
	ds_read_b32 v9, v11
	;; [unrolled: 1-line block ×4, first 2 shown]
	v_cndmask_b32_e64 v19, v19, v20, s5
	v_sub_nc_u32_e32 v20, v2, v21
	v_sub_nc_u32_e32 v23, v12, v2
	v_cndmask_b32_e64 v17, v17, v18, s4
	v_cndmask_b32_e64 v13, v13, v14, s3
	;; [unrolled: 1-line block ×3, first 2 shown]
	v_min_i32_e32 v14, v15, v20
	v_sub_nc_u32_e32 v16, v15, v23
	v_cmp_ge_i32_e64 s3, v15, v23
	; wave barrier
	ds_write2_b32 v7, v13, v17 offset1:1
	v_lshl_add_u32 v13, v21, 2, v4
	v_cndmask_b32_e64 v16, 0, v16, s3
	s_mov_b32 s5, 0
	s_mov_b32 s4, exec_lo
	ds_write2_b32 v7, v19, v24 offset0:2 offset1:3
	; wave barrier
	v_cmpx_lt_i32_e64 v16, v14
	s_cbranch_execz .LBB31_36
; %bb.33:
	v_lshlrev_b32_e32 v17, 2, v2
	v_lshlrev_b32_e32 v18, 2, v15
	v_add3_u32 v17, v4, v17, v18
	.p2align	6
.LBB31_34:                              ; =>This Inner Loop Header: Depth=1
	v_sub_nc_u32_e32 v18, v14, v16
	v_lshrrev_b32_e32 v18, 1, v18
	v_add_nc_u32_e32 v18, v18, v16
	v_not_b32_e32 v19, v18
	v_lshl_add_u32 v20, v18, 2, v13
	v_add_nc_u32_e32 v22, 1, v18
	v_lshl_add_u32 v19, v19, 2, v17
	ds_read_b32 v20, v20
	ds_read_b32 v19, v19
	s_waitcnt lgkmcnt(0)
	v_cmp_lt_i32_e64 s3, v19, v20
	v_cndmask_b32_e64 v14, v14, v18, s3
	v_cndmask_b32_e64 v16, v22, v16, s3
	v_cmp_ge_i32_e64 s3, v16, v14
	s_or_b32 s5, s3, s5
	s_andn2_b32 exec_lo, exec_lo, s5
	s_cbranch_execnz .LBB31_34
; %bb.35:
	s_or_b32 exec_lo, exec_lo, s5
.LBB31_36:
	s_or_b32 exec_lo, exec_lo, s4
	v_add_nc_u32_e32 v14, v2, v15
	v_lshl_add_u32 v20, v16, 2, v13
	v_add_nc_u32_e32 v18, v16, v21
                                        ; implicit-def: $vgpr15
	v_sub_nc_u32_e32 v17, v14, v16
	v_cmp_le_i32_e64 s3, v2, v18
	v_lshl_add_u32 v19, v17, 2, v4
	v_cmp_gt_i32_e64 s5, v12, v17
	ds_read_b32 v13, v20
	ds_read_b32 v14, v19
	s_waitcnt lgkmcnt(0)
	v_cmp_lt_i32_e64 s4, v14, v13
	s_or_b32 s3, s3, s4
	s_and_b32 s3, s5, s3
	s_xor_b32 s4, s3, -1
	s_and_saveexec_b32 s5, s4
	s_xor_b32 s4, exec_lo, s5
; %bb.37:
	ds_read_b32 v15, v20 offset:4
                                        ; implicit-def: $vgpr19
; %bb.38:
	s_or_saveexec_b32 s4, s4
	v_mov_b32_e32 v16, v14
	s_xor_b32 exec_lo, exec_lo, s4
	s_cbranch_execz .LBB31_40
; %bb.39:
	ds_read_b32 v16, v19 offset:4
	s_waitcnt lgkmcnt(1)
	v_mov_b32_e32 v15, v13
.LBB31_40:
	s_or_b32 exec_lo, exec_lo, s4
	v_add_nc_u32_e32 v19, 1, v18
	v_add_nc_u32_e32 v20, 1, v17
	s_waitcnt lgkmcnt(0)
	v_cmp_lt_i32_e64 s5, v16, v15
	v_cndmask_b32_e64 v21, v19, v18, s3
	v_cndmask_b32_e64 v22, v17, v20, s3
                                        ; implicit-def: $vgpr19
	v_cmp_ge_i32_e64 s4, v21, v2
	v_cmp_lt_i32_e64 s6, v22, v12
	s_or_b32 s4, s4, s5
	s_and_b32 s4, s6, s4
	s_xor_b32 s5, s4, -1
	s_and_saveexec_b32 s6, s5
	s_xor_b32 s5, exec_lo, s6
; %bb.41:
	v_lshl_add_u32 v19, v21, 2, v4
	ds_read_b32 v19, v19 offset:4
; %bb.42:
	s_or_saveexec_b32 s5, s5
	v_mov_b32_e32 v20, v16
	s_xor_b32 exec_lo, exec_lo, s5
	s_cbranch_execz .LBB31_44
; %bb.43:
	s_waitcnt lgkmcnt(0)
	v_lshl_add_u32 v19, v22, 2, v4
	ds_read_b32 v20, v19 offset:4
	v_mov_b32_e32 v19, v15
.LBB31_44:
	s_or_b32 exec_lo, exec_lo, s5
	v_add_nc_u32_e32 v23, 1, v21
	v_add_nc_u32_e32 v24, 1, v22
	s_waitcnt lgkmcnt(0)
	v_cmp_lt_i32_e64 s6, v20, v19
	v_cndmask_b32_e64 v25, v23, v21, s4
	v_cndmask_b32_e64 v23, v22, v24, s4
                                        ; implicit-def: $vgpr24
	v_cmp_ge_i32_e64 s5, v25, v2
	v_cmp_lt_i32_e64 s7, v23, v12
	s_or_b32 s5, s5, s6
	s_and_b32 s5, s7, s5
	s_xor_b32 s6, s5, -1
	s_and_saveexec_b32 s7, s6
	s_xor_b32 s6, exec_lo, s7
; %bb.45:
	v_lshl_add_u32 v24, v25, 2, v4
	ds_read_b32 v24, v24 offset:4
; %bb.46:
	s_or_saveexec_b32 s6, s6
	v_mov_b32_e32 v26, v20
	s_xor_b32 exec_lo, exec_lo, s6
	s_cbranch_execz .LBB31_48
; %bb.47:
	s_waitcnt lgkmcnt(0)
	v_lshl_add_u32 v24, v23, 2, v4
	ds_read_b32 v26, v24 offset:4
	v_mov_b32_e32 v24, v19
.LBB31_48:
	s_or_b32 exec_lo, exec_lo, s6
	v_add_nc_u32_e32 v27, 1, v25
	v_and_b32_e32 v28, 0x60, v6
	v_add_nc_u32_e32 v29, 1, v23
	v_cndmask_b32_e64 v30, v25, v23, s5
	v_cndmask_b32_e64 v22, v21, v22, s4
	;; [unrolled: 1-line block ×3, first 2 shown]
	v_min_i32_e32 v21, v5, v28
	v_cndmask_b32_e64 v23, v23, v29, s5
	s_waitcnt lgkmcnt(0)
	v_cmp_lt_i32_e64 s6, v26, v24
	v_cndmask_b32_e64 v17, v18, v17, s3
	v_cmp_ge_i32_e64 s7, v25, v2
	v_add_nc_u32_e32 v2, 16, v21
	v_cmp_lt_i32_e64 s8, v23, v12
	; wave barrier
	s_or_b32 s6, s7, s6
	v_min_i32_e32 v2, v5, v2
	s_and_b32 s6, s8, s6
	ds_write2_b32 v7, v8, v9 offset1:1
	ds_write2_b32 v7, v10, v11 offset0:2 offset1:3
	v_cndmask_b32_e64 v23, v25, v23, s6
	v_lshl_add_u32 v9, v17, 2, v4
	v_add_nc_u32_e32 v8, 16, v2
	v_and_b32_e32 v10, 28, v6
	v_lshl_add_u32 v11, v22, 2, v4
	v_lshl_add_u32 v22, v30, 2, v4
	;; [unrolled: 1-line block ×3, first 2 shown]
	; wave barrier
	v_min_i32_e32 v12, v5, v8
	v_min_i32_e32 v17, v5, v10
	ds_read_b32 v8, v9
	ds_read_b32 v9, v11
	;; [unrolled: 1-line block ×4, first 2 shown]
	v_cndmask_b32_e64 v18, v24, v26, s6
	v_cndmask_b32_e64 v19, v19, v20, s5
	v_sub_nc_u32_e32 v24, v12, v2
	v_sub_nc_u32_e32 v22, v2, v21
	v_cndmask_b32_e64 v16, v15, v16, s4
	v_cndmask_b32_e64 v13, v13, v14, s3
	v_sub_nc_u32_e32 v20, v17, v24
	v_cmp_ge_i32_e64 s3, v17, v24
	v_min_i32_e32 v14, v17, v22
	; wave barrier
	ds_write2_b32 v7, v13, v16 offset1:1
	v_lshl_add_u32 v13, v21, 2, v4
	v_cndmask_b32_e64 v15, 0, v20, s3
	s_mov_b32 s5, 0
	s_mov_b32 s4, exec_lo
	ds_write2_b32 v7, v19, v18 offset0:2 offset1:3
	; wave barrier
	v_cmpx_lt_i32_e64 v15, v14
	s_cbranch_execz .LBB31_52
; %bb.49:
	v_lshlrev_b32_e32 v16, 2, v2
	v_lshlrev_b32_e32 v18, 2, v17
	v_add3_u32 v16, v4, v16, v18
	.p2align	6
.LBB31_50:                              ; =>This Inner Loop Header: Depth=1
	v_sub_nc_u32_e32 v18, v14, v15
	v_lshrrev_b32_e32 v18, 1, v18
	v_add_nc_u32_e32 v18, v18, v15
	v_not_b32_e32 v19, v18
	v_lshl_add_u32 v20, v18, 2, v13
	v_add_nc_u32_e32 v22, 1, v18
	v_lshl_add_u32 v19, v19, 2, v16
	ds_read_b32 v20, v20
	ds_read_b32 v19, v19
	s_waitcnt lgkmcnt(0)
	v_cmp_lt_i32_e64 s3, v19, v20
	v_cndmask_b32_e64 v14, v14, v18, s3
	v_cndmask_b32_e64 v15, v22, v15, s3
	v_cmp_ge_i32_e64 s3, v15, v14
	s_or_b32 s5, s3, s5
	s_andn2_b32 exec_lo, exec_lo, s5
	s_cbranch_execnz .LBB31_50
; %bb.51:
	s_or_b32 exec_lo, exec_lo, s5
.LBB31_52:
	s_or_b32 exec_lo, exec_lo, s4
	v_add_nc_u32_e32 v14, v2, v17
	v_lshl_add_u32 v16, v15, 2, v13
	v_add_nc_u32_e32 v18, v15, v21
	v_sub_nc_u32_e32 v17, v14, v15
                                        ; implicit-def: $vgpr15
	v_cmp_le_i32_e64 s3, v2, v18
	v_lshl_add_u32 v19, v17, 2, v4
	v_cmp_gt_i32_e64 s5, v12, v17
	ds_read_b32 v13, v16
	ds_read_b32 v14, v19
	s_waitcnt lgkmcnt(0)
	v_cmp_lt_i32_e64 s4, v14, v13
	s_or_b32 s3, s3, s4
	s_and_b32 s3, s5, s3
	s_xor_b32 s4, s3, -1
	s_and_saveexec_b32 s5, s4
	s_xor_b32 s4, exec_lo, s5
; %bb.53:
	ds_read_b32 v15, v16 offset:4
                                        ; implicit-def: $vgpr19
; %bb.54:
	s_or_saveexec_b32 s4, s4
	v_mov_b32_e32 v16, v14
	s_xor_b32 exec_lo, exec_lo, s4
	s_cbranch_execz .LBB31_56
; %bb.55:
	ds_read_b32 v16, v19 offset:4
	s_waitcnt lgkmcnt(1)
	v_mov_b32_e32 v15, v13
.LBB31_56:
	s_or_b32 exec_lo, exec_lo, s4
	v_add_nc_u32_e32 v19, 1, v18
	v_add_nc_u32_e32 v20, 1, v17
	s_waitcnt lgkmcnt(0)
	v_cmp_lt_i32_e64 s5, v16, v15
	v_cndmask_b32_e64 v21, v19, v18, s3
	v_cndmask_b32_e64 v22, v17, v20, s3
                                        ; implicit-def: $vgpr19
	v_cmp_ge_i32_e64 s4, v21, v2
	v_cmp_lt_i32_e64 s6, v22, v12
	s_or_b32 s4, s4, s5
	s_and_b32 s4, s6, s4
	s_xor_b32 s5, s4, -1
	s_and_saveexec_b32 s6, s5
	s_xor_b32 s5, exec_lo, s6
; %bb.57:
	v_lshl_add_u32 v19, v21, 2, v4
	ds_read_b32 v19, v19 offset:4
; %bb.58:
	s_or_saveexec_b32 s5, s5
	v_mov_b32_e32 v20, v16
	s_xor_b32 exec_lo, exec_lo, s5
	s_cbranch_execz .LBB31_60
; %bb.59:
	s_waitcnt lgkmcnt(0)
	v_lshl_add_u32 v19, v22, 2, v4
	ds_read_b32 v20, v19 offset:4
	v_mov_b32_e32 v19, v15
.LBB31_60:
	s_or_b32 exec_lo, exec_lo, s5
	v_add_nc_u32_e32 v23, 1, v21
	v_add_nc_u32_e32 v24, 1, v22
	s_waitcnt lgkmcnt(0)
	v_cmp_lt_i32_e64 s6, v20, v19
	v_cndmask_b32_e64 v25, v23, v21, s4
	v_cndmask_b32_e64 v23, v22, v24, s4
                                        ; implicit-def: $vgpr24
	v_cmp_ge_i32_e64 s5, v25, v2
	v_cmp_lt_i32_e64 s7, v23, v12
	s_or_b32 s5, s5, s6
	s_and_b32 s5, s7, s5
	s_xor_b32 s6, s5, -1
	s_and_saveexec_b32 s7, s6
	s_xor_b32 s6, exec_lo, s7
; %bb.61:
	v_lshl_add_u32 v24, v25, 2, v4
	ds_read_b32 v24, v24 offset:4
; %bb.62:
	s_or_saveexec_b32 s6, s6
	v_mov_b32_e32 v26, v20
	s_xor_b32 exec_lo, exec_lo, s6
	s_cbranch_execz .LBB31_64
; %bb.63:
	s_waitcnt lgkmcnt(0)
	v_lshl_add_u32 v24, v23, 2, v4
	ds_read_b32 v26, v24 offset:4
	v_mov_b32_e32 v24, v19
.LBB31_64:
	s_or_b32 exec_lo, exec_lo, s6
	v_add_nc_u32_e32 v27, 1, v25
	v_and_b32_e32 v28, 64, v6
	v_add_nc_u32_e32 v29, 1, v23
	v_cndmask_b32_e64 v30, v25, v23, s5
	v_cndmask_b32_e64 v22, v21, v22, s4
	;; [unrolled: 1-line block ×3, first 2 shown]
	v_min_i32_e32 v21, v5, v28
	v_cndmask_b32_e64 v23, v23, v29, s5
	s_waitcnt lgkmcnt(0)
	v_cmp_lt_i32_e64 s6, v26, v24
	v_cndmask_b32_e64 v17, v18, v17, s3
	v_cmp_ge_i32_e64 s7, v25, v2
	v_add_nc_u32_e32 v2, 32, v21
	v_cmp_lt_i32_e64 s8, v23, v12
	; wave barrier
	s_or_b32 s6, s7, s6
	v_min_i32_e32 v2, v5, v2
	s_and_b32 s6, s8, s6
	ds_write2_b32 v7, v8, v9 offset1:1
	ds_write2_b32 v7, v10, v11 offset0:2 offset1:3
	v_cndmask_b32_e64 v12, v25, v23, s6
	v_lshl_add_u32 v10, v17, 2, v4
	v_add_nc_u32_e32 v8, 32, v2
	v_and_b32_e32 v11, 60, v6
	v_lshl_add_u32 v23, v12, 2, v4
	; wave barrier
	v_min_i32_e32 v9, v5, v8
	v_lshl_add_u32 v8, v22, 2, v4
	v_lshl_add_u32 v22, v30, 2, v4
	v_min_i32_e32 v17, v5, v11
	ds_read_b32 v11, v10
	ds_read_b32 v12, v8
	;; [unrolled: 1-line block ×4, first 2 shown]
	v_cndmask_b32_e64 v18, v24, v26, s6
	v_sub_nc_u32_e32 v24, v9, v2
	v_cndmask_b32_e64 v19, v19, v20, s5
	v_sub_nc_u32_e32 v22, v2, v21
	v_cndmask_b32_e64 v16, v15, v16, s4
	v_cndmask_b32_e64 v13, v13, v14, s3
	v_sub_nc_u32_e32 v20, v17, v24
	v_cmp_ge_i32_e64 s3, v17, v24
	v_min_i32_e32 v14, v17, v22
	; wave barrier
	ds_write2_b32 v7, v13, v16 offset1:1
	v_cndmask_b32_e64 v15, 0, v20, s3
	v_lshl_add_u32 v13, v21, 2, v4
	s_mov_b32 s5, 0
	s_mov_b32 s4, exec_lo
	ds_write2_b32 v7, v19, v18 offset0:2 offset1:3
	; wave barrier
	v_cmpx_lt_i32_e64 v15, v14
	s_cbranch_execz .LBB31_68
; %bb.65:
	v_lshlrev_b32_e32 v16, 2, v2
	v_lshlrev_b32_e32 v18, 2, v17
	v_add3_u32 v16, v4, v16, v18
	.p2align	6
.LBB31_66:                              ; =>This Inner Loop Header: Depth=1
	v_sub_nc_u32_e32 v18, v14, v15
	v_lshrrev_b32_e32 v18, 1, v18
	v_add_nc_u32_e32 v18, v18, v15
	v_not_b32_e32 v19, v18
	v_lshl_add_u32 v20, v18, 2, v13
	v_add_nc_u32_e32 v22, 1, v18
	v_lshl_add_u32 v19, v19, 2, v16
	ds_read_b32 v20, v20
	ds_read_b32 v19, v19
	s_waitcnt lgkmcnt(0)
	v_cmp_lt_i32_e64 s3, v19, v20
	v_cndmask_b32_e64 v14, v14, v18, s3
	v_cndmask_b32_e64 v15, v22, v15, s3
	v_cmp_ge_i32_e64 s3, v15, v14
	s_or_b32 s5, s3, s5
	s_andn2_b32 exec_lo, exec_lo, s5
	s_cbranch_execnz .LBB31_66
; %bb.67:
	s_or_b32 exec_lo, exec_lo, s5
.LBB31_68:
	s_or_b32 exec_lo, exec_lo, s4
	v_add_nc_u32_e32 v14, v2, v17
	v_lshl_add_u32 v16, v15, 2, v13
	v_add_nc_u32_e32 v18, v15, v21
	v_sub_nc_u32_e32 v17, v14, v15
                                        ; implicit-def: $vgpr15
	v_cmp_le_i32_e64 s3, v2, v18
	v_lshl_add_u32 v19, v17, 2, v4
	v_cmp_gt_i32_e64 s5, v9, v17
	ds_read_b32 v13, v16
	ds_read_b32 v14, v19
	s_waitcnt lgkmcnt(0)
	v_cmp_lt_i32_e64 s4, v14, v13
	s_or_b32 s3, s3, s4
	s_and_b32 s3, s5, s3
	s_xor_b32 s4, s3, -1
	s_and_saveexec_b32 s5, s4
	s_xor_b32 s4, exec_lo, s5
; %bb.69:
	ds_read_b32 v15, v16 offset:4
                                        ; implicit-def: $vgpr19
; %bb.70:
	s_or_saveexec_b32 s4, s4
	v_mov_b32_e32 v16, v14
	s_xor_b32 exec_lo, exec_lo, s4
	s_cbranch_execz .LBB31_72
; %bb.71:
	ds_read_b32 v16, v19 offset:4
	s_waitcnt lgkmcnt(1)
	v_mov_b32_e32 v15, v13
.LBB31_72:
	s_or_b32 exec_lo, exec_lo, s4
	v_add_nc_u32_e32 v19, 1, v18
	v_add_nc_u32_e32 v20, 1, v17
	s_waitcnt lgkmcnt(0)
	v_cmp_lt_i32_e64 s5, v16, v15
	v_cndmask_b32_e64 v21, v19, v18, s3
	v_cndmask_b32_e64 v22, v17, v20, s3
                                        ; implicit-def: $vgpr19
	v_cmp_ge_i32_e64 s4, v21, v2
	v_cmp_lt_i32_e64 s6, v22, v9
	s_or_b32 s4, s4, s5
	s_and_b32 s4, s6, s4
	s_xor_b32 s5, s4, -1
	s_and_saveexec_b32 s6, s5
	s_xor_b32 s5, exec_lo, s6
; %bb.73:
	v_lshl_add_u32 v19, v21, 2, v4
	ds_read_b32 v19, v19 offset:4
; %bb.74:
	s_or_saveexec_b32 s5, s5
	v_mov_b32_e32 v20, v16
	s_xor_b32 exec_lo, exec_lo, s5
	s_cbranch_execz .LBB31_76
; %bb.75:
	s_waitcnt lgkmcnt(0)
	v_lshl_add_u32 v19, v22, 2, v4
	ds_read_b32 v20, v19 offset:4
	v_mov_b32_e32 v19, v15
.LBB31_76:
	s_or_b32 exec_lo, exec_lo, s5
	v_add_nc_u32_e32 v23, 1, v21
	v_add_nc_u32_e32 v25, 1, v22
	s_waitcnt lgkmcnt(0)
	v_cmp_lt_i32_e64 s6, v20, v19
	v_cndmask_b32_e64 v24, v23, v21, s4
	v_cndmask_b32_e64 v23, v22, v25, s4
                                        ; implicit-def: $vgpr25
	v_cmp_ge_i32_e64 s5, v24, v2
	v_cmp_lt_i32_e64 s7, v23, v9
	s_or_b32 s5, s5, s6
	s_and_b32 s5, s7, s5
	s_xor_b32 s6, s5, -1
	s_and_saveexec_b32 s7, s6
	s_xor_b32 s6, exec_lo, s7
; %bb.77:
	v_lshl_add_u32 v25, v24, 2, v4
	ds_read_b32 v25, v25 offset:4
; %bb.78:
	s_or_saveexec_b32 s6, s6
	v_mov_b32_e32 v26, v20
	s_xor_b32 exec_lo, exec_lo, s6
	s_cbranch_execz .LBB31_80
; %bb.79:
	s_waitcnt lgkmcnt(0)
	v_lshl_add_u32 v25, v23, 2, v4
	ds_read_b32 v26, v25 offset:4
	v_mov_b32_e32 v25, v19
.LBB31_80:
	s_or_b32 exec_lo, exec_lo, s6
	v_add_nc_u32_e32 v27, 1, v24
	v_add_nc_u32_e32 v28, 1, v23
	v_cndmask_b32_e64 v29, v24, v23, s5
	v_cndmask_b32_e64 v22, v21, v22, s4
	v_min_i32_e32 v21, 0, v5
	v_cndmask_b32_e64 v24, v27, v24, s5
	v_cndmask_b32_e64 v17, v18, v17, s3
	;; [unrolled: 1-line block ×3, first 2 shown]
	s_waitcnt lgkmcnt(0)
	v_cmp_lt_i32_e64 s6, v26, v25
	v_add_nc_u32_e32 v23, 64, v21
	v_cmp_ge_i32_e64 s7, v24, v2
	v_cmp_lt_i32_e64 s8, v18, v9
	; wave barrier
	v_min_i32_e32 v2, v5, v23
	s_or_b32 s6, s7, s6
	ds_write2_b32 v7, v11, v12 offset1:1
	s_and_b32 s6, s8, s6
	ds_write2_b32 v7, v8, v10 offset0:2 offset1:3
	v_cndmask_b32_e64 v9, v24, v18, s6
	v_add_nc_u32_e32 v11, 64, v2
	v_lshl_add_u32 v8, v17, 2, v4
	v_lshl_add_u32 v12, v22, 2, v4
	;; [unrolled: 1-line block ×4, first 2 shown]
	; wave barrier
	v_min_i32_e32 v10, v5, v11
	v_min_i32_e32 v11, v5, v6
	ds_read_b32 v5, v8
	ds_read_b32 v6, v12
	;; [unrolled: 1-line block ×4, first 2 shown]
	v_cndmask_b32_e64 v17, v19, v20, s5
	v_sub_nc_u32_e32 v19, v2, v21
	v_sub_nc_u32_e32 v18, v10, v2
	v_cndmask_b32_e64 v15, v15, v16, s4
	v_cndmask_b32_e64 v16, v13, v14, s3
	v_cndmask_b32_e64 v23, v25, v26, s6
	v_min_i32_e32 v14, v11, v19
	v_sub_nc_u32_e32 v12, v11, v18
	v_cmp_ge_i32_e64 s3, v11, v18
	s_mov_b32 s5, 0
	s_mov_b32 s4, exec_lo
	; wave barrier
	v_cndmask_b32_e64 v13, 0, v12, s3
	v_lshl_add_u32 v12, v21, 2, v4
	ds_write2_b32 v7, v16, v15 offset1:1
	ds_write2_b32 v7, v17, v23 offset0:2 offset1:3
	; wave barrier
	v_cmpx_lt_i32_e64 v13, v14
	s_cbranch_execz .LBB31_84
; %bb.81:
	v_lshlrev_b32_e32 v15, 2, v2
	v_lshlrev_b32_e32 v16, 2, v11
	v_add3_u32 v15, v4, v15, v16
	.p2align	6
.LBB31_82:                              ; =>This Inner Loop Header: Depth=1
	v_sub_nc_u32_e32 v16, v14, v13
	v_lshrrev_b32_e32 v16, 1, v16
	v_add_nc_u32_e32 v16, v16, v13
	v_not_b32_e32 v17, v16
	v_lshl_add_u32 v18, v16, 2, v12
	v_add_nc_u32_e32 v19, 1, v16
	v_lshl_add_u32 v17, v17, 2, v15
	ds_read_b32 v18, v18
	ds_read_b32 v17, v17
	s_waitcnt lgkmcnt(0)
	v_cmp_lt_i32_e64 s3, v17, v18
	v_cndmask_b32_e64 v14, v14, v16, s3
	v_cndmask_b32_e64 v13, v19, v13, s3
	v_cmp_ge_i32_e64 s3, v13, v14
	s_or_b32 s5, s3, s5
	s_andn2_b32 exec_lo, exec_lo, s5
	s_cbranch_execnz .LBB31_82
; %bb.83:
	s_or_b32 exec_lo, exec_lo, s5
.LBB31_84:
	s_or_b32 exec_lo, exec_lo, s4
	v_add_nc_u32_e32 v11, v2, v11
	v_lshl_add_u32 v15, v13, 2, v12
	v_add_nc_u32_e32 v16, v13, v21
	v_sub_nc_u32_e32 v14, v11, v13
                                        ; implicit-def: $vgpr13
	v_cmp_le_i32_e64 s3, v2, v16
	v_lshl_add_u32 v17, v14, 2, v4
	v_cmp_gt_i32_e64 s5, v10, v14
	ds_read_b32 v11, v15
	ds_read_b32 v12, v17
	s_waitcnt lgkmcnt(0)
	v_cmp_lt_i32_e64 s4, v12, v11
	s_or_b32 s3, s3, s4
	s_and_b32 s3, s5, s3
	s_xor_b32 s4, s3, -1
	s_and_saveexec_b32 s5, s4
	s_xor_b32 s4, exec_lo, s5
; %bb.85:
	ds_read_b32 v13, v15 offset:4
                                        ; implicit-def: $vgpr17
; %bb.86:
	s_or_saveexec_b32 s4, s4
	v_mov_b32_e32 v15, v12
	s_xor_b32 exec_lo, exec_lo, s4
	s_cbranch_execz .LBB31_88
; %bb.87:
	ds_read_b32 v15, v17 offset:4
	s_waitcnt lgkmcnt(1)
	v_mov_b32_e32 v13, v11
.LBB31_88:
	s_or_b32 exec_lo, exec_lo, s4
	v_add_nc_u32_e32 v17, 1, v16
	v_add_nc_u32_e32 v18, 1, v14
	s_waitcnt lgkmcnt(0)
	v_cmp_lt_i32_e64 s5, v15, v13
	v_cndmask_b32_e64 v19, v17, v16, s3
	v_cndmask_b32_e64 v20, v14, v18, s3
                                        ; implicit-def: $vgpr17
	v_cmp_ge_i32_e64 s4, v19, v2
	v_cmp_lt_i32_e64 s6, v20, v10
	s_or_b32 s4, s4, s5
	s_and_b32 s4, s6, s4
	s_xor_b32 s5, s4, -1
	s_and_saveexec_b32 s6, s5
	s_xor_b32 s5, exec_lo, s6
; %bb.89:
	v_lshl_add_u32 v17, v19, 2, v4
	ds_read_b32 v17, v17 offset:4
; %bb.90:
	s_or_saveexec_b32 s5, s5
	v_mov_b32_e32 v18, v15
	s_xor_b32 exec_lo, exec_lo, s5
	s_cbranch_execz .LBB31_92
; %bb.91:
	s_waitcnt lgkmcnt(0)
	v_lshl_add_u32 v17, v20, 2, v4
	ds_read_b32 v18, v17 offset:4
	v_mov_b32_e32 v17, v13
.LBB31_92:
	s_or_b32 exec_lo, exec_lo, s5
	v_add_nc_u32_e32 v21, 1, v19
	v_add_nc_u32_e32 v22, 1, v20
	s_waitcnt lgkmcnt(0)
	v_cmp_lt_i32_e64 s6, v18, v17
                                        ; implicit-def: $vgpr23
	v_cndmask_b32_e64 v25, v21, v19, s4
	v_cndmask_b32_e64 v21, v20, v22, s4
                                        ; implicit-def: $vgpr22
	v_cmp_ge_i32_e64 s5, v25, v2
	v_cmp_lt_i32_e64 s7, v21, v10
	s_or_b32 s5, s5, s6
	s_and_b32 s5, s7, s5
	s_xor_b32 s6, s5, -1
	s_and_saveexec_b32 s7, s6
	s_xor_b32 s6, exec_lo, s7
; %bb.93:
	v_lshl_add_u32 v22, v25, 2, v4
	ds_read_b32 v23, v22 offset:4
	v_add_nc_u32_e32 v22, 1, v25
; %bb.94:
	s_or_saveexec_b32 s6, s6
	v_mov_b32_e32 v24, v25
	v_mov_b32_e32 v26, v18
	s_xor_b32 exec_lo, exec_lo, s6
	s_cbranch_execz .LBB31_96
; %bb.95:
	v_lshl_add_u32 v22, v21, 2, v4
	s_waitcnt lgkmcnt(0)
	v_add_nc_u32_e32 v23, 1, v21
	v_mov_b32_e32 v24, v21
	ds_read_b32 v26, v22 offset:4
	v_mov_b32_e32 v22, v25
	v_mov_b32_e32 v21, v23
	;; [unrolled: 1-line block ×3, first 2 shown]
.LBB31_96:
	s_or_b32 exec_lo, exec_lo, s6
	v_cmp_ge_i32_e64 s6, v22, v2
	s_waitcnt lgkmcnt(0)
	v_cmp_lt_i32_e64 s7, v26, v23
	v_cmp_lt_i32_e64 s8, v21, v10
	v_cndmask_b32_e64 v10, v16, v14, s3
	v_cndmask_b32_e64 v2, v19, v20, s4
	s_or_b32 s6, s6, s7
	; wave barrier
	s_and_b32 s6, s8, s6
	ds_write2_b32 v7, v5, v6 offset1:1
	ds_write2_b32 v7, v8, v9 offset0:2 offset1:3
	v_cndmask_b32_e64 v16, v22, v21, s6
	v_lshl_add_u32 v5, v10, 2, v4
	v_lshl_add_u32 v2, v2, 2, v4
	;; [unrolled: 1-line block ×4, first 2 shown]
	; wave barrier
	ds_read_b32 v5, v5
	ds_read_b32 v2, v2
	;; [unrolled: 1-line block ×4, first 2 shown]
	v_cndmask_b32_e64 v14, v23, v26, s6
	v_cndmask_b32_e64 v7, v11, v12, s3
	;; [unrolled: 1-line block ×4, first 2 shown]
	v_add_co_u32 v0, s3, s10, v0
	v_add_co_ci_u32_e64 v1, null, s11, v1, s3
	v_add_co_u32 v0, s3, v0, v3
	v_add_co_ci_u32_e64 v1, null, 0, v1, s3
	s_waitcnt lgkmcnt(3)
	v_add_nc_u32_e32 v5, v5, v7
	s_waitcnt lgkmcnt(2)
	v_add_nc_u32_e32 v2, v8, v2
	;; [unrolled: 2-line block ×4, first 2 shown]
	v_cndmask_b32_e32 v6, v7, v5, vcc_lo
	v_cndmask_b32_e64 v5, v8, v2, s0
	v_cndmask_b32_e64 v4, v9, v10, s1
	v_cndmask_b32_e64 v2, v14, v11, s2
	s_and_saveexec_b32 s3, vcc_lo
	s_cbranch_execnz .LBB31_101
; %bb.97:
	s_or_b32 exec_lo, exec_lo, s3
	s_and_saveexec_b32 s3, s0
	s_cbranch_execnz .LBB31_102
.LBB31_98:
	s_or_b32 exec_lo, exec_lo, s3
	s_and_saveexec_b32 s0, s1
	s_cbranch_execnz .LBB31_103
.LBB31_99:
	s_or_b32 exec_lo, exec_lo, s0
	s_and_saveexec_b32 s0, s2
	s_cbranch_execnz .LBB31_104
.LBB31_100:
	s_endpgm
.LBB31_101:
	global_store_dword v[0:1], v6, off
	s_or_b32 exec_lo, exec_lo, s3
	s_and_saveexec_b32 s3, s0
	s_cbranch_execz .LBB31_98
.LBB31_102:
	global_store_dword v[0:1], v5, off offset:4
	s_or_b32 exec_lo, exec_lo, s3
	s_and_saveexec_b32 s0, s1
	s_cbranch_execz .LBB31_99
.LBB31_103:
	global_store_dword v[0:1], v4, off offset:8
	s_or_b32 exec_lo, exec_lo, s0
	s_and_saveexec_b32 s0, s2
	s_cbranch_execz .LBB31_100
.LBB31_104:
	global_store_dword v[0:1], v2, off offset:12
	s_endpgm
	.section	.rodata,"a",@progbits
	.p2align	6, 0x0
	.amdhsa_kernel _Z20sort_pairs_segmentedILj256ELj32ELj4EiN10test_utils4lessEEvPKT2_PS2_PKjT3_
		.amdhsa_group_segment_fixed_size 4128
		.amdhsa_private_segment_fixed_size 0
		.amdhsa_kernarg_size 28
		.amdhsa_user_sgpr_count 6
		.amdhsa_user_sgpr_private_segment_buffer 1
		.amdhsa_user_sgpr_dispatch_ptr 0
		.amdhsa_user_sgpr_queue_ptr 0
		.amdhsa_user_sgpr_kernarg_segment_ptr 1
		.amdhsa_user_sgpr_dispatch_id 0
		.amdhsa_user_sgpr_flat_scratch_init 0
		.amdhsa_user_sgpr_private_segment_size 0
		.amdhsa_wavefront_size32 1
		.amdhsa_uses_dynamic_stack 0
		.amdhsa_system_sgpr_private_segment_wavefront_offset 0
		.amdhsa_system_sgpr_workgroup_id_x 1
		.amdhsa_system_sgpr_workgroup_id_y 0
		.amdhsa_system_sgpr_workgroup_id_z 0
		.amdhsa_system_sgpr_workgroup_info 0
		.amdhsa_system_vgpr_workitem_id 0
		.amdhsa_next_free_vgpr 31
		.amdhsa_next_free_sgpr 12
		.amdhsa_reserve_vcc 1
		.amdhsa_reserve_flat_scratch 0
		.amdhsa_float_round_mode_32 0
		.amdhsa_float_round_mode_16_64 0
		.amdhsa_float_denorm_mode_32 3
		.amdhsa_float_denorm_mode_16_64 3
		.amdhsa_dx10_clamp 1
		.amdhsa_ieee_mode 1
		.amdhsa_fp16_overflow 0
		.amdhsa_workgroup_processor_mode 1
		.amdhsa_memory_ordered 1
		.amdhsa_forward_progress 1
		.amdhsa_shared_vgpr_count 0
		.amdhsa_exception_fp_ieee_invalid_op 0
		.amdhsa_exception_fp_denorm_src 0
		.amdhsa_exception_fp_ieee_div_zero 0
		.amdhsa_exception_fp_ieee_overflow 0
		.amdhsa_exception_fp_ieee_underflow 0
		.amdhsa_exception_fp_ieee_inexact 0
		.amdhsa_exception_int_div_zero 0
	.end_amdhsa_kernel
	.section	.text._Z20sort_pairs_segmentedILj256ELj32ELj4EiN10test_utils4lessEEvPKT2_PS2_PKjT3_,"axG",@progbits,_Z20sort_pairs_segmentedILj256ELj32ELj4EiN10test_utils4lessEEvPKT2_PS2_PKjT3_,comdat
.Lfunc_end31:
	.size	_Z20sort_pairs_segmentedILj256ELj32ELj4EiN10test_utils4lessEEvPKT2_PS2_PKjT3_, .Lfunc_end31-_Z20sort_pairs_segmentedILj256ELj32ELj4EiN10test_utils4lessEEvPKT2_PS2_PKjT3_
                                        ; -- End function
	.set _Z20sort_pairs_segmentedILj256ELj32ELj4EiN10test_utils4lessEEvPKT2_PS2_PKjT3_.num_vgpr, 31
	.set _Z20sort_pairs_segmentedILj256ELj32ELj4EiN10test_utils4lessEEvPKT2_PS2_PKjT3_.num_agpr, 0
	.set _Z20sort_pairs_segmentedILj256ELj32ELj4EiN10test_utils4lessEEvPKT2_PS2_PKjT3_.numbered_sgpr, 12
	.set _Z20sort_pairs_segmentedILj256ELj32ELj4EiN10test_utils4lessEEvPKT2_PS2_PKjT3_.num_named_barrier, 0
	.set _Z20sort_pairs_segmentedILj256ELj32ELj4EiN10test_utils4lessEEvPKT2_PS2_PKjT3_.private_seg_size, 0
	.set _Z20sort_pairs_segmentedILj256ELj32ELj4EiN10test_utils4lessEEvPKT2_PS2_PKjT3_.uses_vcc, 1
	.set _Z20sort_pairs_segmentedILj256ELj32ELj4EiN10test_utils4lessEEvPKT2_PS2_PKjT3_.uses_flat_scratch, 0
	.set _Z20sort_pairs_segmentedILj256ELj32ELj4EiN10test_utils4lessEEvPKT2_PS2_PKjT3_.has_dyn_sized_stack, 0
	.set _Z20sort_pairs_segmentedILj256ELj32ELj4EiN10test_utils4lessEEvPKT2_PS2_PKjT3_.has_recursion, 0
	.set _Z20sort_pairs_segmentedILj256ELj32ELj4EiN10test_utils4lessEEvPKT2_PS2_PKjT3_.has_indirect_call, 0
	.section	.AMDGPU.csdata,"",@progbits
; Kernel info:
; codeLenInByte = 5332
; TotalNumSgprs: 14
; NumVgprs: 31
; ScratchSize: 0
; MemoryBound: 0
; FloatMode: 240
; IeeeMode: 1
; LDSByteSize: 4128 bytes/workgroup (compile time only)
; SGPRBlocks: 0
; VGPRBlocks: 3
; NumSGPRsForWavesPerEU: 14
; NumVGPRsForWavesPerEU: 31
; Occupancy: 16
; WaveLimiterHint : 0
; COMPUTE_PGM_RSRC2:SCRATCH_EN: 0
; COMPUTE_PGM_RSRC2:USER_SGPR: 6
; COMPUTE_PGM_RSRC2:TRAP_HANDLER: 0
; COMPUTE_PGM_RSRC2:TGID_X_EN: 1
; COMPUTE_PGM_RSRC2:TGID_Y_EN: 0
; COMPUTE_PGM_RSRC2:TGID_Z_EN: 0
; COMPUTE_PGM_RSRC2:TIDIG_COMP_CNT: 0
	.section	.text._Z9sort_keysILj256ELj32ELj8EiN10test_utils4lessEEvPKT2_PS2_T3_,"axG",@progbits,_Z9sort_keysILj256ELj32ELj8EiN10test_utils4lessEEvPKT2_PS2_T3_,comdat
	.protected	_Z9sort_keysILj256ELj32ELj8EiN10test_utils4lessEEvPKT2_PS2_T3_ ; -- Begin function _Z9sort_keysILj256ELj32ELj8EiN10test_utils4lessEEvPKT2_PS2_T3_
	.globl	_Z9sort_keysILj256ELj32ELj8EiN10test_utils4lessEEvPKT2_PS2_T3_
	.p2align	8
	.type	_Z9sort_keysILj256ELj32ELj8EiN10test_utils4lessEEvPKT2_PS2_T3_,@function
_Z9sort_keysILj256ELj32ELj8EiN10test_utils4lessEEvPKT2_PS2_T3_: ; @_Z9sort_keysILj256ELj32ELj8EiN10test_utils4lessEEvPKT2_PS2_T3_
; %bb.0:
	s_load_dwordx4 s[8:11], s[4:5], 0x0
	s_mov_b32 s5, 0
	s_lshl_b32 s4, s6, 11
	v_lshlrev_b32_e32 v1, 5, v0
	s_lshl_b64 s[12:13], s[4:5], 2
	v_mbcnt_lo_u32_b32 v2, -1, 0
	v_lshrrev_b32_e32 v6, 5, v0
	v_lshlrev_b32_e32 v3, 3, v0
	v_mov_b32_e32 v11, 0
	s_waitcnt lgkmcnt(0)
	s_add_u32 s0, s8, s12
	s_addc_u32 s1, s9, s13
	s_clause 0x1
	global_load_dwordx4 v[12:15], v1, s[0:1]
	global_load_dwordx4 v[16:19], v1, s[0:1] offset:16
	v_lshlrev_b32_e32 v1, 3, v2
	v_lshlrev_b32_e32 v2, 5, v2
	; wave barrier
	v_and_b32_e32 v10, 0xf0, v1
	v_and_b32_e32 v7, 8, v1
	v_mad_u32_u24 v2, 0x404, v6, v2
	v_or_b32_e32 v4, 8, v10
	v_lshlrev_b32_e32 v5, 2, v10
	v_sub_nc_u32_e32 v8, v4, v10
	v_mad_u32_u24 v5, 0x404, v6, v5
	v_min_i32_e32 v0, v7, v8
	s_waitcnt vmcnt(1)
	v_cmp_lt_i32_e32 vcc_lo, v13, v12
	v_min_i32_e32 v9, v13, v12
	v_max_i32_e32 v20, v13, v12
	v_cmp_lt_i32_e64 s0, v15, v14
	v_max_i32_e32 v22, v15, v14
	v_min_i32_e32 v23, v15, v14
	s_waitcnt vmcnt(0)
	v_cmp_lt_i32_e64 s1, v17, v16
	v_max_i32_e32 v25, v17, v16
	v_min_i32_e32 v26, v17, v16
	v_cmp_lt_i32_e64 s2, v19, v18
	v_min_i32_e32 v29, v19, v18
	v_max_i32_e32 v28, v19, v18
	v_cndmask_b32_e32 v8, v12, v13, vcc_lo
	v_cndmask_b32_e64 v21, v15, v14, s0
	v_cndmask_b32_e64 v24, v17, v16, s1
	;; [unrolled: 1-line block ×3, first 2 shown]
	v_cndmask_b32_e32 v12, v13, v12, vcc_lo
	v_cndmask_b32_e64 v13, v14, v15, s0
	v_cndmask_b32_e64 v14, v16, v17, s1
	;; [unrolled: 1-line block ×3, first 2 shown]
	v_cmp_lt_i32_e32 vcc_lo, v23, v20
	v_max_i32_e32 v16, v23, v20
	v_min_i32_e32 v17, v23, v20
	v_cmp_lt_i32_e64 s0, v26, v22
	v_min_i32_e32 v19, v26, v22
	v_cmp_lt_i32_e64 s1, v29, v25
	v_cmp_lt_i32_e64 s2, v23, v9
	v_max_i32_e32 v18, v26, v22
	v_max_i32_e32 v30, v29, v25
	v_min_i32_e32 v31, v29, v25
	v_cmp_gt_i32_e64 s3, v25, v28
	v_cndmask_b32_e32 v13, v13, v20, vcc_lo
	v_cndmask_b32_e32 v12, v12, v23, vcc_lo
	v_cndmask_b32_e64 v14, v14, v22, s0
	v_cndmask_b32_e64 v20, v21, v26, s0
	;; [unrolled: 1-line block ×6, first 2 shown]
	v_cmp_lt_i32_e32 vcc_lo, v19, v16
	v_min_i32_e32 v24, v19, v16
	v_cndmask_b32_e64 v15, v15, v25, s1
	v_max_i32_e32 v25, v31, v18
	v_cndmask_b32_e64 v27, v27, v30, s3
	v_cndmask_b32_e64 v29, v28, v30, s3
	;; [unrolled: 1-line block ×3, first 2 shown]
	v_max_i32_e32 v23, v19, v16
	v_cmp_lt_i32_e64 s0, v31, v18
	v_min_i32_e32 v26, v31, v18
	v_cndmask_b32_e64 v9, v12, v9, s2
	v_cndmask_b32_e32 v12, v20, v16, vcc_lo
	v_cndmask_b32_e32 v13, v13, v19, vcc_lo
	v_cmp_lt_i32_e32 vcc_lo, v24, v17
	v_min_i32_e32 v19, v24, v17
	v_cndmask_b32_e64 v15, v15, v28, s3
	v_max_i32_e32 v28, v30, v25
	v_cndmask_b32_e64 v16, v21, v18, s0
	v_cndmask_b32_e64 v14, v14, v31, s0
	v_max_i32_e32 v18, v24, v17
	v_cmp_lt_i32_e64 s0, v26, v23
	v_max_i32_e32 v20, v26, v23
	v_min_i32_e32 v21, v26, v23
	v_cmp_lt_i32_e64 s1, v30, v25
	v_min_i32_e32 v31, v30, v25
	v_cndmask_b32_e32 v13, v13, v17, vcc_lo
	v_cndmask_b32_e32 v9, v9, v24, vcc_lo
	v_cmp_lt_i32_e32 vcc_lo, v19, v22
	v_cmp_lt_i32_e64 s2, v29, v28
	v_cndmask_b32_e64 v14, v14, v23, s0
	v_cndmask_b32_e64 v12, v12, v26, s0
	;; [unrolled: 1-line block ×4, first 2 shown]
	v_cndmask_b32_e32 v8, v8, v19, vcc_lo
	v_min_i32_e32 v17, v19, v22
	v_max_i32_e32 v19, v19, v22
	v_cmp_lt_i32_e64 s0, v21, v18
	v_max_i32_e32 v23, v21, v18
	v_min_i32_e32 v24, v21, v18
	v_cmp_lt_i32_e64 s1, v31, v20
	v_min_i32_e32 v26, v31, v20
	v_max_i32_e32 v25, v31, v20
	v_cndmask_b32_e64 v27, v27, v28, s2
	v_max_i32_e32 v30, v29, v28
	v_min_i32_e32 v28, v29, v28
	v_cndmask_b32_e32 v9, v9, v22, vcc_lo
	v_cndmask_b32_e64 v12, v12, v18, s0
	v_cndmask_b32_e64 v13, v13, v21, s0
	;; [unrolled: 1-line block ×5, first 2 shown]
	v_cmp_lt_i32_e32 vcc_lo, v24, v19
	v_max_i32_e32 v18, v24, v19
	v_min_i32_e32 v20, v24, v19
	v_cmp_lt_i32_e64 s0, v26, v23
	v_min_i32_e32 v22, v26, v23
	v_cmp_lt_i32_e64 s2, v24, v17
	v_max_i32_e32 v21, v26, v23
	v_cmp_lt_i32_e64 s1, v28, v25
	v_min_i32_e32 v31, v28, v25
	v_max_i32_e32 v29, v28, v25
	v_cmp_gt_i32_e64 s3, v25, v30
	v_cndmask_b32_e32 v9, v9, v24, vcc_lo
	v_cndmask_b32_e32 v13, v13, v19, vcc_lo
	v_cndmask_b32_e64 v14, v14, v23, s0
	v_cndmask_b32_e64 v12, v12, v26, s0
	;; [unrolled: 1-line block ×3, first 2 shown]
	v_cmp_lt_i32_e32 vcc_lo, v22, v18
	v_min_i32_e32 v23, v22, v18
	v_cndmask_b32_e64 v15, v15, v25, s1
	v_cndmask_b32_e64 v16, v16, v28, s1
	;; [unrolled: 1-line block ×3, first 2 shown]
	v_max_i32_e32 v20, v22, v18
	v_cmp_lt_i32_e64 s0, v31, v21
	v_min_i32_e32 v25, v31, v21
	v_max_i32_e32 v24, v31, v21
	v_cndmask_b32_e64 v26, v27, v29, s3
	v_cndmask_b32_e64 v27, v29, v30, s3
	;; [unrolled: 1-line block ×3, first 2 shown]
	v_cndmask_b32_e32 v13, v13, v22, vcc_lo
	v_cndmask_b32_e32 v12, v12, v18, vcc_lo
	v_cmp_lt_i32_e32 vcc_lo, v23, v19
	v_cndmask_b32_e64 v16, v16, v21, s0
	v_cndmask_b32_e64 v14, v14, v31, s0
	v_cmp_lt_i32_e64 s0, v25, v20
	v_cmp_lt_i32_e64 s1, v27, v24
	v_cndmask_b32_e64 v15, v15, v30, s3
	v_cndmask_b32_e32 v9, v9, v23, vcc_lo
	v_cndmask_b32_e32 v13, v13, v19, vcc_lo
	v_cndmask_b32_e64 v12, v12, v25, s0
	v_cndmask_b32_e64 v14, v14, v20, s0
	v_cndmask_b32_e64 v16, v16, v27, s1
	v_cndmask_b32_e64 v15, v15, v24, s1
	s_mov_b32 s0, exec_lo
	ds_write2_b32 v2, v8, v9 offset1:1
	ds_write2_b32 v2, v13, v12 offset0:2 offset1:3
	ds_write2_b32 v2, v14, v16 offset0:4 offset1:5
	ds_write2_b32 v2, v15, v26 offset0:6 offset1:7
	; wave barrier
	v_cmpx_lt_i32_e32 0, v0
	s_cbranch_execz .LBB32_4
; %bb.1:
	v_lshl_add_u32 v8, v7, 2, v5
	v_mov_b32_e32 v11, 0
	.p2align	6
.LBB32_2:                               ; =>This Inner Loop Header: Depth=1
	v_sub_nc_u32_e32 v9, v0, v11
	v_lshrrev_b32_e32 v9, 1, v9
	v_add_nc_u32_e32 v9, v9, v11
	v_not_b32_e32 v12, v9
	v_lshl_add_u32 v13, v9, 2, v5
	v_add_nc_u32_e32 v14, 1, v9
	v_lshl_add_u32 v12, v12, 2, v8
	ds_read_b32 v13, v13
	ds_read_b32 v12, v12 offset:32
	s_waitcnt lgkmcnt(0)
	v_cmp_lt_i32_e32 vcc_lo, v12, v13
	v_cndmask_b32_e32 v0, v0, v9, vcc_lo
	v_cndmask_b32_e32 v11, v14, v11, vcc_lo
	v_cmp_ge_i32_e32 vcc_lo, v11, v0
	s_or_b32 s5, vcc_lo, s5
	s_andn2_b32 exec_lo, exec_lo, s5
	s_cbranch_execnz .LBB32_2
; %bb.3:
	s_or_b32 exec_lo, exec_lo, s5
.LBB32_4:
	s_or_b32 exec_lo, exec_lo, s0
	v_mul_u32_u24_e32 v0, 0x404, v6
	v_add_nc_u32_e32 v6, v10, v7
	v_lshl_add_u32 v9, v11, 2, v5
	v_add_nc_u32_e32 v8, v4, v7
	v_add_nc_u32_e32 v7, 16, v10
	v_cmp_lt_i32_e32 vcc_lo, 7, v11
	v_sub_nc_u32_e32 v6, v6, v11
	v_sub_nc_u32_e32 v12, v8, v11
                                        ; implicit-def: $vgpr8
	v_lshl_add_u32 v13, v6, 2, v0
	ds_read_b32 v5, v9
	ds_read_b32 v6, v13 offset:32
	v_cmp_gt_i32_e64 s1, v7, v12
	s_waitcnt lgkmcnt(0)
	v_cmp_lt_i32_e64 s0, v6, v5
	s_or_b32 s0, vcc_lo, s0
	s_and_b32 vcc_lo, s1, s0
	s_xor_b32 s0, vcc_lo, -1
	s_and_saveexec_b32 s1, s0
	s_xor_b32 s0, exec_lo, s1
; %bb.5:
	ds_read_b32 v8, v9 offset:4
                                        ; implicit-def: $vgpr13
; %bb.6:
	s_or_saveexec_b32 s0, s0
	v_mov_b32_e32 v9, v6
	s_xor_b32 exec_lo, exec_lo, s0
	s_cbranch_execz .LBB32_8
; %bb.7:
	ds_read_b32 v9, v13 offset:36
	s_waitcnt lgkmcnt(1)
	v_mov_b32_e32 v8, v5
.LBB32_8:
	s_or_b32 exec_lo, exec_lo, s0
	v_add_nc_u32_e32 v10, v11, v10
	v_add_nc_u32_e32 v14, 1, v12
	s_waitcnt lgkmcnt(0)
	v_cmp_lt_i32_e64 s1, v9, v8
	v_add_nc_u32_e32 v11, 1, v10
	v_cndmask_b32_e32 v12, v12, v14, vcc_lo
	v_cndmask_b32_e32 v13, v11, v10, vcc_lo
	v_cmp_lt_i32_e64 s2, v12, v7
                                        ; implicit-def: $vgpr10
	v_cmp_ge_i32_e64 s0, v13, v4
	s_or_b32 s0, s0, s1
	s_and_b32 s0, s2, s0
	s_xor_b32 s1, s0, -1
	s_and_saveexec_b32 s2, s1
	s_xor_b32 s1, exec_lo, s2
; %bb.9:
	v_lshl_add_u32 v10, v13, 2, v0
	ds_read_b32 v10, v10 offset:4
; %bb.10:
	s_or_saveexec_b32 s1, s1
	v_mov_b32_e32 v11, v9
	s_xor_b32 exec_lo, exec_lo, s1
	s_cbranch_execz .LBB32_12
; %bb.11:
	s_waitcnt lgkmcnt(0)
	v_lshl_add_u32 v10, v12, 2, v0
	ds_read_b32 v11, v10 offset:4
	v_mov_b32_e32 v10, v8
.LBB32_12:
	s_or_b32 exec_lo, exec_lo, s1
	v_add_nc_u32_e32 v14, 1, v13
	v_add_nc_u32_e32 v16, 1, v12
	s_waitcnt lgkmcnt(0)
	v_cmp_lt_i32_e64 s2, v11, v10
	v_cndmask_b32_e64 v15, v14, v13, s0
	v_cndmask_b32_e64 v14, v12, v16, s0
                                        ; implicit-def: $vgpr12
	v_cmp_ge_i32_e64 s1, v15, v4
	v_cmp_lt_i32_e64 s3, v14, v7
	s_or_b32 s1, s1, s2
	s_and_b32 s1, s3, s1
	s_xor_b32 s2, s1, -1
	s_and_saveexec_b32 s3, s2
	s_xor_b32 s2, exec_lo, s3
; %bb.13:
	v_lshl_add_u32 v12, v15, 2, v0
	ds_read_b32 v12, v12 offset:4
; %bb.14:
	s_or_saveexec_b32 s2, s2
	v_mov_b32_e32 v13, v11
	s_xor_b32 exec_lo, exec_lo, s2
	s_cbranch_execz .LBB32_16
; %bb.15:
	s_waitcnt lgkmcnt(0)
	v_lshl_add_u32 v12, v14, 2, v0
	ds_read_b32 v13, v12 offset:4
	v_mov_b32_e32 v12, v10
.LBB32_16:
	s_or_b32 exec_lo, exec_lo, s2
	v_add_nc_u32_e32 v16, 1, v15
	v_add_nc_u32_e32 v18, 1, v14
	s_waitcnt lgkmcnt(0)
	v_cmp_lt_i32_e64 s3, v13, v12
	v_cndmask_b32_e64 v17, v16, v15, s1
	v_cndmask_b32_e64 v16, v14, v18, s1
                                        ; implicit-def: $vgpr14
	v_cmp_ge_i32_e64 s2, v17, v4
	v_cmp_lt_i32_e64 s4, v16, v7
	s_or_b32 s2, s2, s3
	s_and_b32 s2, s4, s2
	s_xor_b32 s3, s2, -1
	s_and_saveexec_b32 s4, s3
	s_xor_b32 s3, exec_lo, s4
; %bb.17:
	v_lshl_add_u32 v14, v17, 2, v0
	ds_read_b32 v14, v14 offset:4
; %bb.18:
	s_or_saveexec_b32 s3, s3
	v_mov_b32_e32 v15, v13
	s_xor_b32 exec_lo, exec_lo, s3
	s_cbranch_execz .LBB32_20
; %bb.19:
	s_waitcnt lgkmcnt(0)
	v_lshl_add_u32 v14, v16, 2, v0
	ds_read_b32 v15, v14 offset:4
	v_mov_b32_e32 v14, v12
.LBB32_20:
	s_or_b32 exec_lo, exec_lo, s3
	v_add_nc_u32_e32 v18, 1, v17
	v_add_nc_u32_e32 v20, 1, v16
	s_waitcnt lgkmcnt(0)
	v_cmp_lt_i32_e64 s4, v15, v14
	v_cndmask_b32_e64 v19, v18, v17, s2
	v_cndmask_b32_e64 v18, v16, v20, s2
                                        ; implicit-def: $vgpr16
	v_cmp_ge_i32_e64 s3, v19, v4
	v_cmp_lt_i32_e64 s5, v18, v7
	s_or_b32 s3, s3, s4
	s_and_b32 s3, s5, s3
	s_xor_b32 s4, s3, -1
	s_and_saveexec_b32 s5, s4
	s_xor_b32 s4, exec_lo, s5
; %bb.21:
	v_lshl_add_u32 v16, v19, 2, v0
	ds_read_b32 v16, v16 offset:4
; %bb.22:
	s_or_saveexec_b32 s4, s4
	v_mov_b32_e32 v17, v15
	s_xor_b32 exec_lo, exec_lo, s4
	s_cbranch_execz .LBB32_24
; %bb.23:
	s_waitcnt lgkmcnt(0)
	v_lshl_add_u32 v16, v18, 2, v0
	ds_read_b32 v17, v16 offset:4
	v_mov_b32_e32 v16, v14
.LBB32_24:
	s_or_b32 exec_lo, exec_lo, s4
	v_add_nc_u32_e32 v20, 1, v19
	v_add_nc_u32_e32 v21, 1, v18
	s_waitcnt lgkmcnt(0)
	v_cmp_lt_i32_e64 s5, v17, v16
	v_cndmask_b32_e64 v20, v20, v19, s3
	v_cndmask_b32_e64 v19, v18, v21, s3
                                        ; implicit-def: $vgpr18
	v_cmp_ge_i32_e64 s4, v20, v4
	v_cmp_lt_i32_e64 s6, v19, v7
	s_or_b32 s4, s4, s5
	s_and_b32 s4, s6, s4
	s_xor_b32 s5, s4, -1
	s_and_saveexec_b32 s6, s5
	s_xor_b32 s5, exec_lo, s6
; %bb.25:
	v_lshl_add_u32 v18, v20, 2, v0
	ds_read_b32 v18, v18 offset:4
; %bb.26:
	s_or_saveexec_b32 s5, s5
	v_mov_b32_e32 v21, v17
	s_xor_b32 exec_lo, exec_lo, s5
	s_cbranch_execz .LBB32_28
; %bb.27:
	s_waitcnt lgkmcnt(0)
	v_lshl_add_u32 v18, v19, 2, v0
	ds_read_b32 v21, v18 offset:4
	v_mov_b32_e32 v18, v16
.LBB32_28:
	s_or_b32 exec_lo, exec_lo, s5
	v_add_nc_u32_e32 v22, 1, v20
	v_add_nc_u32_e32 v24, 1, v19
	s_waitcnt lgkmcnt(0)
	v_cmp_lt_i32_e64 s6, v21, v18
	v_cndmask_b32_e64 v23, v22, v20, s4
	v_cndmask_b32_e64 v19, v19, v24, s4
                                        ; implicit-def: $vgpr20
	v_cmp_ge_i32_e64 s5, v23, v4
	v_cmp_lt_i32_e64 s7, v19, v7
	s_or_b32 s5, s5, s6
	s_and_b32 s5, s7, s5
	s_xor_b32 s6, s5, -1
	s_and_saveexec_b32 s7, s6
	s_xor_b32 s6, exec_lo, s7
; %bb.29:
	v_lshl_add_u32 v20, v23, 2, v0
	ds_read_b32 v20, v20 offset:4
; %bb.30:
	s_or_saveexec_b32 s6, s6
	v_mov_b32_e32 v22, v21
	s_xor_b32 exec_lo, exec_lo, s6
	s_cbranch_execz .LBB32_32
; %bb.31:
	s_waitcnt lgkmcnt(0)
	v_lshl_add_u32 v20, v19, 2, v0
	ds_read_b32 v22, v20 offset:4
	v_mov_b32_e32 v20, v18
.LBB32_32:
	s_or_b32 exec_lo, exec_lo, s6
	v_add_nc_u32_e32 v24, 1, v23
	v_cndmask_b32_e64 v18, v18, v21, s5
	v_add_nc_u32_e32 v21, 1, v19
	v_cndmask_b32_e64 v14, v14, v15, s3
	v_cndmask_b32_e64 v12, v12, v13, s2
	;; [unrolled: 1-line block ×4, first 2 shown]
	v_and_b32_e32 v10, 0xe0, v1
	v_cndmask_b32_e64 v11, v19, v21, s5
	s_waitcnt lgkmcnt(0)
	v_cmp_lt_i32_e64 s2, v22, v20
	v_cmp_ge_i32_e64 s1, v15, v4
	v_cndmask_b32_e64 v8, v8, v9, s0
	v_or_b32_e32 v4, 16, v10
	v_cmp_lt_i32_e64 s0, v11, v7
	v_cndmask_b32_e32 v5, v5, v6, vcc_lo
	v_and_b32_e32 v7, 24, v1
	s_or_b32 s1, s1, s2
	v_sub_nc_u32_e32 v6, v4, v10
	s_and_b32 vcc_lo, s0, s1
	v_cndmask_b32_e64 v16, v16, v17, s4
	; wave barrier
	v_sub_nc_u32_e64 v11, v7, 16 clamp
	v_min_i32_e32 v6, v7, v6
	ds_write2_b32 v2, v5, v8 offset1:1
	ds_write2_b32 v2, v13, v12 offset0:2 offset1:3
	v_lshl_add_u32 v5, v10, 2, v0
	v_cndmask_b32_e32 v9, v20, v22, vcc_lo
	s_mov_b32 s0, exec_lo
	ds_write2_b32 v2, v14, v16 offset0:4 offset1:5
	ds_write2_b32 v2, v18, v9 offset0:6 offset1:7
	; wave barrier
	v_cmpx_lt_i32_e64 v11, v6
	s_cbranch_execz .LBB32_36
; %bb.33:
	v_lshl_add_u32 v8, v7, 2, v5
	s_mov_b32 s1, 0
	.p2align	6
.LBB32_34:                              ; =>This Inner Loop Header: Depth=1
	v_sub_nc_u32_e32 v9, v6, v11
	v_lshrrev_b32_e32 v9, 1, v9
	v_add_nc_u32_e32 v9, v9, v11
	v_not_b32_e32 v12, v9
	v_lshl_add_u32 v13, v9, 2, v5
	v_add_nc_u32_e32 v14, 1, v9
	v_lshl_add_u32 v12, v12, 2, v8
	ds_read_b32 v13, v13
	ds_read_b32 v12, v12 offset:64
	s_waitcnt lgkmcnt(0)
	v_cmp_lt_i32_e32 vcc_lo, v12, v13
	v_cndmask_b32_e32 v6, v6, v9, vcc_lo
	v_cndmask_b32_e32 v11, v14, v11, vcc_lo
	v_cmp_ge_i32_e32 vcc_lo, v11, v6
	s_or_b32 s1, vcc_lo, s1
	s_andn2_b32 exec_lo, exec_lo, s1
	s_cbranch_execnz .LBB32_34
; %bb.35:
	s_or_b32 exec_lo, exec_lo, s1
.LBB32_36:
	s_or_b32 exec_lo, exec_lo, s0
	v_add_nc_u32_e32 v6, v10, v7
	v_lshl_add_u32 v9, v11, 2, v5
	v_add_nc_u32_e32 v8, v4, v7
	v_add_nc_u32_e32 v7, 32, v10
	v_cmp_lt_i32_e32 vcc_lo, 15, v11
	v_sub_nc_u32_e32 v6, v6, v11
	v_sub_nc_u32_e32 v12, v8, v11
                                        ; implicit-def: $vgpr8
	v_lshl_add_u32 v13, v6, 2, v0
	ds_read_b32 v5, v9
	ds_read_b32 v6, v13 offset:64
	v_cmp_gt_i32_e64 s1, v7, v12
	s_waitcnt lgkmcnt(0)
	v_cmp_lt_i32_e64 s0, v6, v5
	s_or_b32 s0, vcc_lo, s0
	s_and_b32 vcc_lo, s1, s0
	s_xor_b32 s0, vcc_lo, -1
	s_and_saveexec_b32 s1, s0
	s_xor_b32 s0, exec_lo, s1
; %bb.37:
	ds_read_b32 v8, v9 offset:4
                                        ; implicit-def: $vgpr13
; %bb.38:
	s_or_saveexec_b32 s0, s0
	v_mov_b32_e32 v9, v6
	s_xor_b32 exec_lo, exec_lo, s0
	s_cbranch_execz .LBB32_40
; %bb.39:
	ds_read_b32 v9, v13 offset:68
	s_waitcnt lgkmcnt(1)
	v_mov_b32_e32 v8, v5
.LBB32_40:
	s_or_b32 exec_lo, exec_lo, s0
	v_add_nc_u32_e32 v10, v11, v10
	v_add_nc_u32_e32 v14, 1, v12
	s_waitcnt lgkmcnt(0)
	v_cmp_lt_i32_e64 s1, v9, v8
	v_add_nc_u32_e32 v11, 1, v10
	v_cndmask_b32_e32 v12, v12, v14, vcc_lo
	v_cndmask_b32_e32 v13, v11, v10, vcc_lo
	v_cmp_lt_i32_e64 s2, v12, v7
                                        ; implicit-def: $vgpr10
	v_cmp_ge_i32_e64 s0, v13, v4
	s_or_b32 s0, s0, s1
	s_and_b32 s0, s2, s0
	s_xor_b32 s1, s0, -1
	s_and_saveexec_b32 s2, s1
	s_xor_b32 s1, exec_lo, s2
; %bb.41:
	v_lshl_add_u32 v10, v13, 2, v0
	ds_read_b32 v10, v10 offset:4
; %bb.42:
	s_or_saveexec_b32 s1, s1
	v_mov_b32_e32 v11, v9
	s_xor_b32 exec_lo, exec_lo, s1
	s_cbranch_execz .LBB32_44
; %bb.43:
	s_waitcnt lgkmcnt(0)
	v_lshl_add_u32 v10, v12, 2, v0
	ds_read_b32 v11, v10 offset:4
	v_mov_b32_e32 v10, v8
.LBB32_44:
	s_or_b32 exec_lo, exec_lo, s1
	v_add_nc_u32_e32 v14, 1, v13
	v_add_nc_u32_e32 v16, 1, v12
	s_waitcnt lgkmcnt(0)
	v_cmp_lt_i32_e64 s2, v11, v10
	v_cndmask_b32_e64 v15, v14, v13, s0
	v_cndmask_b32_e64 v14, v12, v16, s0
                                        ; implicit-def: $vgpr12
	v_cmp_ge_i32_e64 s1, v15, v4
	v_cmp_lt_i32_e64 s3, v14, v7
	s_or_b32 s1, s1, s2
	s_and_b32 s1, s3, s1
	s_xor_b32 s2, s1, -1
	s_and_saveexec_b32 s3, s2
	s_xor_b32 s2, exec_lo, s3
; %bb.45:
	v_lshl_add_u32 v12, v15, 2, v0
	ds_read_b32 v12, v12 offset:4
; %bb.46:
	s_or_saveexec_b32 s2, s2
	v_mov_b32_e32 v13, v11
	s_xor_b32 exec_lo, exec_lo, s2
	s_cbranch_execz .LBB32_48
; %bb.47:
	s_waitcnt lgkmcnt(0)
	v_lshl_add_u32 v12, v14, 2, v0
	ds_read_b32 v13, v12 offset:4
	v_mov_b32_e32 v12, v10
.LBB32_48:
	s_or_b32 exec_lo, exec_lo, s2
	v_add_nc_u32_e32 v16, 1, v15
	v_add_nc_u32_e32 v18, 1, v14
	s_waitcnt lgkmcnt(0)
	v_cmp_lt_i32_e64 s3, v13, v12
	v_cndmask_b32_e64 v17, v16, v15, s1
	v_cndmask_b32_e64 v16, v14, v18, s1
                                        ; implicit-def: $vgpr14
	v_cmp_ge_i32_e64 s2, v17, v4
	v_cmp_lt_i32_e64 s4, v16, v7
	s_or_b32 s2, s2, s3
	s_and_b32 s2, s4, s2
	s_xor_b32 s3, s2, -1
	s_and_saveexec_b32 s4, s3
	s_xor_b32 s3, exec_lo, s4
; %bb.49:
	v_lshl_add_u32 v14, v17, 2, v0
	ds_read_b32 v14, v14 offset:4
; %bb.50:
	s_or_saveexec_b32 s3, s3
	v_mov_b32_e32 v15, v13
	s_xor_b32 exec_lo, exec_lo, s3
	s_cbranch_execz .LBB32_52
; %bb.51:
	s_waitcnt lgkmcnt(0)
	v_lshl_add_u32 v14, v16, 2, v0
	ds_read_b32 v15, v14 offset:4
	v_mov_b32_e32 v14, v12
.LBB32_52:
	s_or_b32 exec_lo, exec_lo, s3
	v_add_nc_u32_e32 v18, 1, v17
	v_add_nc_u32_e32 v20, 1, v16
	s_waitcnt lgkmcnt(0)
	v_cmp_lt_i32_e64 s4, v15, v14
	v_cndmask_b32_e64 v19, v18, v17, s2
	v_cndmask_b32_e64 v18, v16, v20, s2
                                        ; implicit-def: $vgpr16
	v_cmp_ge_i32_e64 s3, v19, v4
	v_cmp_lt_i32_e64 s5, v18, v7
	s_or_b32 s3, s3, s4
	s_and_b32 s3, s5, s3
	s_xor_b32 s4, s3, -1
	s_and_saveexec_b32 s5, s4
	s_xor_b32 s4, exec_lo, s5
; %bb.53:
	v_lshl_add_u32 v16, v19, 2, v0
	ds_read_b32 v16, v16 offset:4
; %bb.54:
	s_or_saveexec_b32 s4, s4
	v_mov_b32_e32 v17, v15
	s_xor_b32 exec_lo, exec_lo, s4
	s_cbranch_execz .LBB32_56
; %bb.55:
	s_waitcnt lgkmcnt(0)
	v_lshl_add_u32 v16, v18, 2, v0
	ds_read_b32 v17, v16 offset:4
	v_mov_b32_e32 v16, v14
.LBB32_56:
	s_or_b32 exec_lo, exec_lo, s4
	v_add_nc_u32_e32 v20, 1, v19
	v_add_nc_u32_e32 v21, 1, v18
	s_waitcnt lgkmcnt(0)
	v_cmp_lt_i32_e64 s5, v17, v16
	v_cndmask_b32_e64 v20, v20, v19, s3
	v_cndmask_b32_e64 v19, v18, v21, s3
                                        ; implicit-def: $vgpr18
	v_cmp_ge_i32_e64 s4, v20, v4
	v_cmp_lt_i32_e64 s6, v19, v7
	s_or_b32 s4, s4, s5
	s_and_b32 s4, s6, s4
	s_xor_b32 s5, s4, -1
	s_and_saveexec_b32 s6, s5
	s_xor_b32 s5, exec_lo, s6
; %bb.57:
	v_lshl_add_u32 v18, v20, 2, v0
	ds_read_b32 v18, v18 offset:4
; %bb.58:
	s_or_saveexec_b32 s5, s5
	v_mov_b32_e32 v21, v17
	s_xor_b32 exec_lo, exec_lo, s5
	s_cbranch_execz .LBB32_60
; %bb.59:
	s_waitcnt lgkmcnt(0)
	v_lshl_add_u32 v18, v19, 2, v0
	ds_read_b32 v21, v18 offset:4
	v_mov_b32_e32 v18, v16
.LBB32_60:
	s_or_b32 exec_lo, exec_lo, s5
	v_add_nc_u32_e32 v22, 1, v20
	v_add_nc_u32_e32 v24, 1, v19
	s_waitcnt lgkmcnt(0)
	v_cmp_lt_i32_e64 s6, v21, v18
	v_cndmask_b32_e64 v23, v22, v20, s4
	v_cndmask_b32_e64 v19, v19, v24, s4
                                        ; implicit-def: $vgpr20
	v_cmp_ge_i32_e64 s5, v23, v4
	v_cmp_lt_i32_e64 s7, v19, v7
	s_or_b32 s5, s5, s6
	s_and_b32 s5, s7, s5
	s_xor_b32 s6, s5, -1
	s_and_saveexec_b32 s7, s6
	s_xor_b32 s6, exec_lo, s7
; %bb.61:
	v_lshl_add_u32 v20, v23, 2, v0
	ds_read_b32 v20, v20 offset:4
; %bb.62:
	s_or_saveexec_b32 s6, s6
	v_mov_b32_e32 v22, v21
	s_xor_b32 exec_lo, exec_lo, s6
	s_cbranch_execz .LBB32_64
; %bb.63:
	s_waitcnt lgkmcnt(0)
	v_lshl_add_u32 v20, v19, 2, v0
	ds_read_b32 v22, v20 offset:4
	v_mov_b32_e32 v20, v18
.LBB32_64:
	s_or_b32 exec_lo, exec_lo, s6
	v_add_nc_u32_e32 v24, 1, v23
	v_cndmask_b32_e64 v18, v18, v21, s5
	v_add_nc_u32_e32 v21, 1, v19
	v_cndmask_b32_e64 v14, v14, v15, s3
	v_cndmask_b32_e64 v12, v12, v13, s2
	;; [unrolled: 1-line block ×4, first 2 shown]
	v_and_b32_e32 v10, 0xc0, v1
	v_cndmask_b32_e64 v11, v19, v21, s5
	s_waitcnt lgkmcnt(0)
	v_cmp_lt_i32_e64 s2, v22, v20
	v_cmp_ge_i32_e64 s1, v15, v4
	v_cndmask_b32_e64 v8, v8, v9, s0
	v_or_b32_e32 v4, 32, v10
	v_cmp_lt_i32_e64 s0, v11, v7
	v_cndmask_b32_e32 v5, v5, v6, vcc_lo
	v_and_b32_e32 v7, 56, v1
	s_or_b32 s1, s1, s2
	v_sub_nc_u32_e32 v6, v4, v10
	s_and_b32 vcc_lo, s0, s1
	v_cndmask_b32_e64 v16, v16, v17, s4
	; wave barrier
	v_sub_nc_u32_e64 v11, v7, 32 clamp
	v_min_i32_e32 v6, v7, v6
	ds_write2_b32 v2, v5, v8 offset1:1
	ds_write2_b32 v2, v13, v12 offset0:2 offset1:3
	v_lshl_add_u32 v5, v10, 2, v0
	v_cndmask_b32_e32 v9, v20, v22, vcc_lo
	s_mov_b32 s0, exec_lo
	ds_write2_b32 v2, v14, v16 offset0:4 offset1:5
	ds_write2_b32 v2, v18, v9 offset0:6 offset1:7
	; wave barrier
	v_cmpx_lt_i32_e64 v11, v6
	s_cbranch_execz .LBB32_68
; %bb.65:
	v_lshl_add_u32 v8, v7, 2, v5
	s_mov_b32 s1, 0
	.p2align	6
.LBB32_66:                              ; =>This Inner Loop Header: Depth=1
	v_sub_nc_u32_e32 v9, v6, v11
	v_lshrrev_b32_e32 v9, 1, v9
	v_add_nc_u32_e32 v9, v9, v11
	v_not_b32_e32 v12, v9
	v_lshl_add_u32 v13, v9, 2, v5
	v_add_nc_u32_e32 v14, 1, v9
	v_lshl_add_u32 v12, v12, 2, v8
	ds_read_b32 v13, v13
	ds_read_b32 v12, v12 offset:128
	s_waitcnt lgkmcnt(0)
	v_cmp_lt_i32_e32 vcc_lo, v12, v13
	v_cndmask_b32_e32 v6, v6, v9, vcc_lo
	v_cndmask_b32_e32 v11, v14, v11, vcc_lo
	v_cmp_ge_i32_e32 vcc_lo, v11, v6
	s_or_b32 s1, vcc_lo, s1
	s_andn2_b32 exec_lo, exec_lo, s1
	s_cbranch_execnz .LBB32_66
; %bb.67:
	s_or_b32 exec_lo, exec_lo, s1
.LBB32_68:
	s_or_b32 exec_lo, exec_lo, s0
	v_add_nc_u32_e32 v6, v10, v7
	v_lshl_add_u32 v9, v11, 2, v5
	v_add_nc_u32_e32 v8, v4, v7
	v_add_nc_u32_e32 v7, 64, v10
	v_cmp_lt_i32_e32 vcc_lo, 31, v11
	v_sub_nc_u32_e32 v6, v6, v11
	v_sub_nc_u32_e32 v12, v8, v11
                                        ; implicit-def: $vgpr8
	v_lshl_add_u32 v13, v6, 2, v0
	ds_read_b32 v5, v9
	ds_read_b32 v6, v13 offset:128
	v_cmp_gt_i32_e64 s1, v7, v12
	s_waitcnt lgkmcnt(0)
	v_cmp_lt_i32_e64 s0, v6, v5
	s_or_b32 s0, vcc_lo, s0
	s_and_b32 vcc_lo, s1, s0
	s_xor_b32 s0, vcc_lo, -1
	s_and_saveexec_b32 s1, s0
	s_xor_b32 s0, exec_lo, s1
; %bb.69:
	ds_read_b32 v8, v9 offset:4
                                        ; implicit-def: $vgpr13
; %bb.70:
	s_or_saveexec_b32 s0, s0
	v_mov_b32_e32 v9, v6
	s_xor_b32 exec_lo, exec_lo, s0
	s_cbranch_execz .LBB32_72
; %bb.71:
	ds_read_b32 v9, v13 offset:132
	s_waitcnt lgkmcnt(1)
	v_mov_b32_e32 v8, v5
.LBB32_72:
	s_or_b32 exec_lo, exec_lo, s0
	v_add_nc_u32_e32 v10, v11, v10
	v_add_nc_u32_e32 v14, 1, v12
	s_waitcnt lgkmcnt(0)
	v_cmp_lt_i32_e64 s1, v9, v8
	v_add_nc_u32_e32 v11, 1, v10
	v_cndmask_b32_e32 v12, v12, v14, vcc_lo
	v_cndmask_b32_e32 v13, v11, v10, vcc_lo
	v_cmp_lt_i32_e64 s2, v12, v7
                                        ; implicit-def: $vgpr10
	v_cmp_ge_i32_e64 s0, v13, v4
	s_or_b32 s0, s0, s1
	s_and_b32 s0, s2, s0
	s_xor_b32 s1, s0, -1
	s_and_saveexec_b32 s2, s1
	s_xor_b32 s1, exec_lo, s2
; %bb.73:
	v_lshl_add_u32 v10, v13, 2, v0
	ds_read_b32 v10, v10 offset:4
; %bb.74:
	s_or_saveexec_b32 s1, s1
	v_mov_b32_e32 v11, v9
	s_xor_b32 exec_lo, exec_lo, s1
	s_cbranch_execz .LBB32_76
; %bb.75:
	s_waitcnt lgkmcnt(0)
	v_lshl_add_u32 v10, v12, 2, v0
	ds_read_b32 v11, v10 offset:4
	v_mov_b32_e32 v10, v8
.LBB32_76:
	s_or_b32 exec_lo, exec_lo, s1
	v_add_nc_u32_e32 v14, 1, v13
	v_add_nc_u32_e32 v16, 1, v12
	s_waitcnt lgkmcnt(0)
	v_cmp_lt_i32_e64 s2, v11, v10
	v_cndmask_b32_e64 v15, v14, v13, s0
	v_cndmask_b32_e64 v14, v12, v16, s0
                                        ; implicit-def: $vgpr12
	v_cmp_ge_i32_e64 s1, v15, v4
	v_cmp_lt_i32_e64 s3, v14, v7
	s_or_b32 s1, s1, s2
	s_and_b32 s1, s3, s1
	s_xor_b32 s2, s1, -1
	s_and_saveexec_b32 s3, s2
	s_xor_b32 s2, exec_lo, s3
; %bb.77:
	v_lshl_add_u32 v12, v15, 2, v0
	ds_read_b32 v12, v12 offset:4
; %bb.78:
	s_or_saveexec_b32 s2, s2
	v_mov_b32_e32 v13, v11
	s_xor_b32 exec_lo, exec_lo, s2
	s_cbranch_execz .LBB32_80
; %bb.79:
	s_waitcnt lgkmcnt(0)
	v_lshl_add_u32 v12, v14, 2, v0
	ds_read_b32 v13, v12 offset:4
	v_mov_b32_e32 v12, v10
.LBB32_80:
	s_or_b32 exec_lo, exec_lo, s2
	v_add_nc_u32_e32 v16, 1, v15
	v_add_nc_u32_e32 v18, 1, v14
	s_waitcnt lgkmcnt(0)
	v_cmp_lt_i32_e64 s3, v13, v12
	v_cndmask_b32_e64 v17, v16, v15, s1
	v_cndmask_b32_e64 v16, v14, v18, s1
                                        ; implicit-def: $vgpr14
	v_cmp_ge_i32_e64 s2, v17, v4
	v_cmp_lt_i32_e64 s4, v16, v7
	s_or_b32 s2, s2, s3
	s_and_b32 s2, s4, s2
	s_xor_b32 s3, s2, -1
	s_and_saveexec_b32 s4, s3
	s_xor_b32 s3, exec_lo, s4
; %bb.81:
	v_lshl_add_u32 v14, v17, 2, v0
	ds_read_b32 v14, v14 offset:4
; %bb.82:
	s_or_saveexec_b32 s3, s3
	v_mov_b32_e32 v15, v13
	s_xor_b32 exec_lo, exec_lo, s3
	s_cbranch_execz .LBB32_84
; %bb.83:
	s_waitcnt lgkmcnt(0)
	v_lshl_add_u32 v14, v16, 2, v0
	ds_read_b32 v15, v14 offset:4
	v_mov_b32_e32 v14, v12
.LBB32_84:
	s_or_b32 exec_lo, exec_lo, s3
	v_add_nc_u32_e32 v18, 1, v17
	v_add_nc_u32_e32 v20, 1, v16
	s_waitcnt lgkmcnt(0)
	v_cmp_lt_i32_e64 s4, v15, v14
	v_cndmask_b32_e64 v19, v18, v17, s2
	v_cndmask_b32_e64 v18, v16, v20, s2
                                        ; implicit-def: $vgpr16
	v_cmp_ge_i32_e64 s3, v19, v4
	v_cmp_lt_i32_e64 s5, v18, v7
	s_or_b32 s3, s3, s4
	s_and_b32 s3, s5, s3
	s_xor_b32 s4, s3, -1
	s_and_saveexec_b32 s5, s4
	s_xor_b32 s4, exec_lo, s5
; %bb.85:
	v_lshl_add_u32 v16, v19, 2, v0
	ds_read_b32 v16, v16 offset:4
; %bb.86:
	s_or_saveexec_b32 s4, s4
	v_mov_b32_e32 v17, v15
	s_xor_b32 exec_lo, exec_lo, s4
	s_cbranch_execz .LBB32_88
; %bb.87:
	s_waitcnt lgkmcnt(0)
	v_lshl_add_u32 v16, v18, 2, v0
	ds_read_b32 v17, v16 offset:4
	v_mov_b32_e32 v16, v14
.LBB32_88:
	s_or_b32 exec_lo, exec_lo, s4
	v_add_nc_u32_e32 v20, 1, v19
	v_add_nc_u32_e32 v21, 1, v18
	s_waitcnt lgkmcnt(0)
	v_cmp_lt_i32_e64 s5, v17, v16
	v_cndmask_b32_e64 v20, v20, v19, s3
	v_cndmask_b32_e64 v19, v18, v21, s3
                                        ; implicit-def: $vgpr18
	v_cmp_ge_i32_e64 s4, v20, v4
	v_cmp_lt_i32_e64 s6, v19, v7
	s_or_b32 s4, s4, s5
	s_and_b32 s4, s6, s4
	s_xor_b32 s5, s4, -1
	s_and_saveexec_b32 s6, s5
	s_xor_b32 s5, exec_lo, s6
; %bb.89:
	v_lshl_add_u32 v18, v20, 2, v0
	ds_read_b32 v18, v18 offset:4
; %bb.90:
	s_or_saveexec_b32 s5, s5
	v_mov_b32_e32 v21, v17
	s_xor_b32 exec_lo, exec_lo, s5
	s_cbranch_execz .LBB32_92
; %bb.91:
	s_waitcnt lgkmcnt(0)
	v_lshl_add_u32 v18, v19, 2, v0
	ds_read_b32 v21, v18 offset:4
	v_mov_b32_e32 v18, v16
.LBB32_92:
	s_or_b32 exec_lo, exec_lo, s5
	v_add_nc_u32_e32 v22, 1, v20
	v_add_nc_u32_e32 v24, 1, v19
	s_waitcnt lgkmcnt(0)
	v_cmp_lt_i32_e64 s6, v21, v18
	v_cndmask_b32_e64 v23, v22, v20, s4
	v_cndmask_b32_e64 v19, v19, v24, s4
                                        ; implicit-def: $vgpr20
	v_cmp_ge_i32_e64 s5, v23, v4
	v_cmp_lt_i32_e64 s7, v19, v7
	s_or_b32 s5, s5, s6
	s_and_b32 s5, s7, s5
	s_xor_b32 s6, s5, -1
	s_and_saveexec_b32 s7, s6
	s_xor_b32 s6, exec_lo, s7
; %bb.93:
	v_lshl_add_u32 v20, v23, 2, v0
	ds_read_b32 v20, v20 offset:4
; %bb.94:
	s_or_saveexec_b32 s6, s6
	v_mov_b32_e32 v22, v21
	s_xor_b32 exec_lo, exec_lo, s6
	s_cbranch_execz .LBB32_96
; %bb.95:
	s_waitcnt lgkmcnt(0)
	v_lshl_add_u32 v20, v19, 2, v0
	ds_read_b32 v22, v20 offset:4
	v_mov_b32_e32 v20, v18
.LBB32_96:
	s_or_b32 exec_lo, exec_lo, s6
	v_add_nc_u32_e32 v24, 1, v23
	v_cndmask_b32_e64 v18, v18, v21, s5
	v_add_nc_u32_e32 v21, 1, v19
	v_cndmask_b32_e64 v14, v14, v15, s3
	v_cndmask_b32_e64 v12, v12, v13, s2
	;; [unrolled: 1-line block ×4, first 2 shown]
	v_and_b32_e32 v10, 0x80, v1
	v_cndmask_b32_e64 v11, v19, v21, s5
	s_waitcnt lgkmcnt(0)
	v_cmp_lt_i32_e64 s2, v22, v20
	v_cmp_ge_i32_e64 s1, v15, v4
	v_cndmask_b32_e64 v8, v8, v9, s0
	v_or_b32_e32 v4, 64, v10
	v_cmp_lt_i32_e64 s0, v11, v7
	v_cndmask_b32_e32 v5, v5, v6, vcc_lo
	v_and_b32_e32 v7, 0x78, v1
	s_or_b32 s1, s1, s2
	v_sub_nc_u32_e32 v6, v4, v10
	s_and_b32 vcc_lo, s0, s1
	v_cndmask_b32_e64 v16, v16, v17, s4
	; wave barrier
	v_sub_nc_u32_e64 v11, v7, 64 clamp
	v_min_i32_e32 v6, v7, v6
	ds_write2_b32 v2, v5, v8 offset1:1
	ds_write2_b32 v2, v13, v12 offset0:2 offset1:3
	v_lshl_add_u32 v5, v10, 2, v0
	v_cndmask_b32_e32 v9, v20, v22, vcc_lo
	s_mov_b32 s0, exec_lo
	ds_write2_b32 v2, v14, v16 offset0:4 offset1:5
	ds_write2_b32 v2, v18, v9 offset0:6 offset1:7
	; wave barrier
	v_cmpx_lt_i32_e64 v11, v6
	s_cbranch_execz .LBB32_100
; %bb.97:
	v_lshl_add_u32 v8, v7, 2, v5
	s_mov_b32 s1, 0
	.p2align	6
.LBB32_98:                              ; =>This Inner Loop Header: Depth=1
	v_sub_nc_u32_e32 v9, v6, v11
	v_lshrrev_b32_e32 v9, 1, v9
	v_add_nc_u32_e32 v9, v9, v11
	v_not_b32_e32 v12, v9
	v_lshl_add_u32 v13, v9, 2, v5
	v_add_nc_u32_e32 v14, 1, v9
	v_lshl_add_u32 v12, v12, 2, v8
	ds_read_b32 v13, v13
	ds_read_b32 v12, v12 offset:256
	s_waitcnt lgkmcnt(0)
	v_cmp_lt_i32_e32 vcc_lo, v12, v13
	v_cndmask_b32_e32 v6, v6, v9, vcc_lo
	v_cndmask_b32_e32 v11, v14, v11, vcc_lo
	v_cmp_ge_i32_e32 vcc_lo, v11, v6
	s_or_b32 s1, vcc_lo, s1
	s_andn2_b32 exec_lo, exec_lo, s1
	s_cbranch_execnz .LBB32_98
; %bb.99:
	s_or_b32 exec_lo, exec_lo, s1
.LBB32_100:
	s_or_b32 exec_lo, exec_lo, s0
	v_add_nc_u32_e32 v6, v10, v7
	v_lshl_add_u32 v9, v11, 2, v5
	v_add_nc_u32_e32 v8, v4, v7
	v_add_nc_u32_e32 v7, 0x80, v10
	v_cmp_lt_i32_e32 vcc_lo, 63, v11
	v_sub_nc_u32_e32 v6, v6, v11
	v_sub_nc_u32_e32 v12, v8, v11
                                        ; implicit-def: $vgpr8
	v_lshl_add_u32 v13, v6, 2, v0
	ds_read_b32 v5, v9
	ds_read_b32 v6, v13 offset:256
	v_cmp_gt_i32_e64 s1, v7, v12
	s_waitcnt lgkmcnt(0)
	v_cmp_lt_i32_e64 s0, v6, v5
	s_or_b32 s0, vcc_lo, s0
	s_and_b32 vcc_lo, s1, s0
	s_xor_b32 s0, vcc_lo, -1
	s_and_saveexec_b32 s1, s0
	s_xor_b32 s0, exec_lo, s1
; %bb.101:
	ds_read_b32 v8, v9 offset:4
                                        ; implicit-def: $vgpr13
; %bb.102:
	s_or_saveexec_b32 s0, s0
	v_mov_b32_e32 v9, v6
	s_xor_b32 exec_lo, exec_lo, s0
	s_cbranch_execz .LBB32_104
; %bb.103:
	ds_read_b32 v9, v13 offset:260
	s_waitcnt lgkmcnt(1)
	v_mov_b32_e32 v8, v5
.LBB32_104:
	s_or_b32 exec_lo, exec_lo, s0
	v_add_nc_u32_e32 v10, v11, v10
	v_add_nc_u32_e32 v14, 1, v12
	s_waitcnt lgkmcnt(0)
	v_cmp_lt_i32_e64 s1, v9, v8
	v_add_nc_u32_e32 v11, 1, v10
	v_cndmask_b32_e32 v12, v12, v14, vcc_lo
	v_cndmask_b32_e32 v13, v11, v10, vcc_lo
	v_cmp_lt_i32_e64 s2, v12, v7
                                        ; implicit-def: $vgpr10
	v_cmp_ge_i32_e64 s0, v13, v4
	s_or_b32 s0, s0, s1
	s_and_b32 s0, s2, s0
	s_xor_b32 s1, s0, -1
	s_and_saveexec_b32 s2, s1
	s_xor_b32 s1, exec_lo, s2
; %bb.105:
	v_lshl_add_u32 v10, v13, 2, v0
	ds_read_b32 v10, v10 offset:4
; %bb.106:
	s_or_saveexec_b32 s1, s1
	v_mov_b32_e32 v11, v9
	s_xor_b32 exec_lo, exec_lo, s1
	s_cbranch_execz .LBB32_108
; %bb.107:
	s_waitcnt lgkmcnt(0)
	v_lshl_add_u32 v10, v12, 2, v0
	ds_read_b32 v11, v10 offset:4
	v_mov_b32_e32 v10, v8
.LBB32_108:
	s_or_b32 exec_lo, exec_lo, s1
	v_add_nc_u32_e32 v14, 1, v13
	v_add_nc_u32_e32 v16, 1, v12
	s_waitcnt lgkmcnt(0)
	v_cmp_lt_i32_e64 s2, v11, v10
	v_cndmask_b32_e64 v15, v14, v13, s0
	v_cndmask_b32_e64 v14, v12, v16, s0
                                        ; implicit-def: $vgpr12
	v_cmp_ge_i32_e64 s1, v15, v4
	v_cmp_lt_i32_e64 s3, v14, v7
	s_or_b32 s1, s1, s2
	s_and_b32 s1, s3, s1
	s_xor_b32 s2, s1, -1
	s_and_saveexec_b32 s3, s2
	s_xor_b32 s2, exec_lo, s3
; %bb.109:
	v_lshl_add_u32 v12, v15, 2, v0
	ds_read_b32 v12, v12 offset:4
; %bb.110:
	s_or_saveexec_b32 s2, s2
	v_mov_b32_e32 v13, v11
	s_xor_b32 exec_lo, exec_lo, s2
	s_cbranch_execz .LBB32_112
; %bb.111:
	s_waitcnt lgkmcnt(0)
	v_lshl_add_u32 v12, v14, 2, v0
	ds_read_b32 v13, v12 offset:4
	v_mov_b32_e32 v12, v10
.LBB32_112:
	s_or_b32 exec_lo, exec_lo, s2
	v_add_nc_u32_e32 v16, 1, v15
	v_add_nc_u32_e32 v18, 1, v14
	s_waitcnt lgkmcnt(0)
	v_cmp_lt_i32_e64 s3, v13, v12
	v_cndmask_b32_e64 v17, v16, v15, s1
	v_cndmask_b32_e64 v16, v14, v18, s1
                                        ; implicit-def: $vgpr14
	v_cmp_ge_i32_e64 s2, v17, v4
	v_cmp_lt_i32_e64 s4, v16, v7
	s_or_b32 s2, s2, s3
	s_and_b32 s2, s4, s2
	s_xor_b32 s3, s2, -1
	s_and_saveexec_b32 s4, s3
	s_xor_b32 s3, exec_lo, s4
; %bb.113:
	v_lshl_add_u32 v14, v17, 2, v0
	ds_read_b32 v14, v14 offset:4
; %bb.114:
	s_or_saveexec_b32 s3, s3
	v_mov_b32_e32 v15, v13
	s_xor_b32 exec_lo, exec_lo, s3
	s_cbranch_execz .LBB32_116
; %bb.115:
	s_waitcnt lgkmcnt(0)
	v_lshl_add_u32 v14, v16, 2, v0
	ds_read_b32 v15, v14 offset:4
	v_mov_b32_e32 v14, v12
.LBB32_116:
	s_or_b32 exec_lo, exec_lo, s3
	v_add_nc_u32_e32 v18, 1, v17
	v_add_nc_u32_e32 v20, 1, v16
	s_waitcnt lgkmcnt(0)
	v_cmp_lt_i32_e64 s4, v15, v14
	v_cndmask_b32_e64 v19, v18, v17, s2
	v_cndmask_b32_e64 v18, v16, v20, s2
                                        ; implicit-def: $vgpr16
	v_cmp_ge_i32_e64 s3, v19, v4
	v_cmp_lt_i32_e64 s5, v18, v7
	s_or_b32 s3, s3, s4
	s_and_b32 s3, s5, s3
	s_xor_b32 s4, s3, -1
	s_and_saveexec_b32 s5, s4
	s_xor_b32 s4, exec_lo, s5
; %bb.117:
	v_lshl_add_u32 v16, v19, 2, v0
	ds_read_b32 v16, v16 offset:4
; %bb.118:
	s_or_saveexec_b32 s4, s4
	v_mov_b32_e32 v17, v15
	s_xor_b32 exec_lo, exec_lo, s4
	s_cbranch_execz .LBB32_120
; %bb.119:
	s_waitcnt lgkmcnt(0)
	v_lshl_add_u32 v16, v18, 2, v0
	ds_read_b32 v17, v16 offset:4
	v_mov_b32_e32 v16, v14
.LBB32_120:
	s_or_b32 exec_lo, exec_lo, s4
	v_add_nc_u32_e32 v20, 1, v19
	v_add_nc_u32_e32 v22, 1, v18
	s_waitcnt lgkmcnt(0)
	v_cmp_lt_i32_e64 s5, v17, v16
	v_cndmask_b32_e64 v21, v20, v19, s3
	v_cndmask_b32_e64 v19, v18, v22, s3
                                        ; implicit-def: $vgpr18
	v_cmp_ge_i32_e64 s4, v21, v4
	v_cmp_lt_i32_e64 s6, v19, v7
	s_or_b32 s4, s4, s5
	s_and_b32 s4, s6, s4
	s_xor_b32 s5, s4, -1
	s_and_saveexec_b32 s6, s5
	s_xor_b32 s5, exec_lo, s6
; %bb.121:
	v_lshl_add_u32 v18, v21, 2, v0
	ds_read_b32 v18, v18 offset:4
; %bb.122:
	s_or_saveexec_b32 s5, s5
	v_mov_b32_e32 v20, v17
	s_xor_b32 exec_lo, exec_lo, s5
	s_cbranch_execz .LBB32_124
; %bb.123:
	s_waitcnt lgkmcnt(0)
	v_lshl_add_u32 v18, v19, 2, v0
	ds_read_b32 v20, v18 offset:4
	v_mov_b32_e32 v18, v16
.LBB32_124:
	s_or_b32 exec_lo, exec_lo, s5
	v_add_nc_u32_e32 v22, 1, v21
	v_add_nc_u32_e32 v24, 1, v19
	s_waitcnt lgkmcnt(0)
	v_cmp_lt_i32_e64 s6, v20, v18
	v_cndmask_b32_e64 v23, v22, v21, s4
	v_cndmask_b32_e64 v22, v19, v24, s4
                                        ; implicit-def: $vgpr19
	v_cmp_ge_i32_e64 s5, v23, v4
	v_cmp_lt_i32_e64 s7, v22, v7
	s_or_b32 s5, s5, s6
	s_and_b32 s5, s7, s5
	s_xor_b32 s6, s5, -1
	s_and_saveexec_b32 s7, s6
	s_xor_b32 s6, exec_lo, s7
; %bb.125:
	v_lshl_add_u32 v19, v23, 2, v0
	ds_read_b32 v19, v19 offset:4
; %bb.126:
	s_or_saveexec_b32 s6, s6
	v_mov_b32_e32 v21, v20
	s_xor_b32 exec_lo, exec_lo, s6
	s_cbranch_execz .LBB32_128
; %bb.127:
	s_waitcnt lgkmcnt(0)
	v_lshl_add_u32 v19, v22, 2, v0
	ds_read_b32 v21, v19 offset:4
	v_mov_b32_e32 v19, v18
.LBB32_128:
	s_or_b32 exec_lo, exec_lo, s6
	v_add_nc_u32_e32 v24, 1, v23
	v_add_nc_u32_e32 v25, 1, v22
	v_cndmask_b32_e64 v16, v16, v17, s4
	v_cndmask_b32_e64 v14, v14, v15, s3
	;; [unrolled: 1-line block ×5, first 2 shown]
	s_waitcnt lgkmcnt(0)
	v_cmp_lt_i32_e64 s2, v21, v19
	v_cndmask_b32_e64 v10, v10, v11, s1
	v_cndmask_b32_e32 v5, v5, v6, vcc_lo
	v_cmp_ge_i32_e64 s3, v17, v4
	v_cmp_lt_i32_e64 s1, v15, v7
	v_cndmask_b32_e64 v7, v8, v9, s0
	v_subrev_nc_u32_e64 v8, 0x80, v1 clamp
	v_min_u32_e32 v4, 0x80, v1
	s_or_b32 s0, s3, s2
	v_cndmask_b32_e64 v18, v18, v20, s5
	s_and_b32 vcc_lo, s1, s0
	s_mov_b32 s0, exec_lo
	v_cndmask_b32_e32 v6, v19, v21, vcc_lo
	; wave barrier
	ds_write2_b32 v2, v5, v7 offset1:1
	ds_write2_b32 v2, v10, v12 offset0:2 offset1:3
	ds_write2_b32 v2, v14, v16 offset0:4 offset1:5
	;; [unrolled: 1-line block ×3, first 2 shown]
	; wave barrier
	v_cmpx_lt_u32_e64 v8, v4
	s_cbranch_execz .LBB32_132
; %bb.129:
	s_mov_b32 s1, 0
	.p2align	6
.LBB32_130:                             ; =>This Inner Loop Header: Depth=1
	v_sub_nc_u32_e32 v5, v4, v8
	v_lshrrev_b32_e32 v5, 1, v5
	v_add_nc_u32_e32 v5, v5, v8
	v_not_b32_e32 v6, v5
	v_lshl_add_u32 v7, v5, 2, v0
	v_add_nc_u32_e32 v9, 1, v5
	v_lshl_add_u32 v6, v6, 2, v2
	ds_read_b32 v7, v7
	ds_read_b32 v6, v6 offset:512
	s_waitcnt lgkmcnt(0)
	v_cmp_lt_i32_e32 vcc_lo, v6, v7
	v_cndmask_b32_e32 v4, v4, v5, vcc_lo
	v_cndmask_b32_e32 v8, v9, v8, vcc_lo
	v_cmp_ge_i32_e32 vcc_lo, v8, v4
	s_or_b32 s1, vcc_lo, s1
	s_andn2_b32 exec_lo, exec_lo, s1
	s_cbranch_execnz .LBB32_130
; %bb.131:
	s_or_b32 exec_lo, exec_lo, s1
.LBB32_132:
	s_or_b32 exec_lo, exec_lo, s0
	v_sub_nc_u32_e32 v1, v1, v8
	v_lshl_add_u32 v7, v8, 2, v0
	v_cmp_lt_i32_e32 vcc_lo, 0x7f, v8
                                        ; implicit-def: $vgpr6
	v_lshl_add_u32 v2, v1, 2, v0
	v_add_nc_u32_e32 v1, 0x80, v1
	ds_read_b32 v4, v7
	ds_read_b32 v5, v2 offset:512
	v_cmp_gt_i32_e64 s1, 0x100, v1
	s_waitcnt lgkmcnt(0)
	v_cmp_lt_i32_e64 s0, v5, v4
	s_or_b32 s0, vcc_lo, s0
	s_and_b32 vcc_lo, s1, s0
	s_xor_b32 s0, vcc_lo, -1
	s_and_saveexec_b32 s1, s0
	s_xor_b32 s0, exec_lo, s1
; %bb.133:
	ds_read_b32 v6, v7 offset:4
                                        ; implicit-def: $vgpr2
; %bb.134:
	s_or_saveexec_b32 s0, s0
	v_mov_b32_e32 v7, v5
	s_xor_b32 exec_lo, exec_lo, s0
	s_cbranch_execz .LBB32_136
; %bb.135:
	ds_read_b32 v7, v2 offset:516
	s_waitcnt lgkmcnt(1)
	v_mov_b32_e32 v6, v4
.LBB32_136:
	s_or_b32 exec_lo, exec_lo, s0
	v_add_nc_u32_e32 v2, 1, v8
	v_add_nc_u32_e32 v9, 1, v1
	s_waitcnt lgkmcnt(0)
	v_cmp_lt_i32_e64 s1, v7, v6
	v_cndmask_b32_e32 v2, v2, v8, vcc_lo
	v_cndmask_b32_e32 v1, v1, v9, vcc_lo
                                        ; implicit-def: $vgpr8
	v_cmp_lt_i32_e64 s0, 0x7f, v2
	v_cmp_gt_i32_e64 s2, 0x100, v1
	s_or_b32 s0, s0, s1
	s_and_b32 s0, s2, s0
	s_xor_b32 s1, s0, -1
	s_and_saveexec_b32 s2, s1
	s_xor_b32 s1, exec_lo, s2
; %bb.137:
	v_lshl_add_u32 v8, v2, 2, v0
	ds_read_b32 v8, v8 offset:4
; %bb.138:
	s_or_saveexec_b32 s1, s1
	v_mov_b32_e32 v9, v7
	s_xor_b32 exec_lo, exec_lo, s1
	s_cbranch_execz .LBB32_140
; %bb.139:
	s_waitcnt lgkmcnt(0)
	v_lshl_add_u32 v8, v1, 2, v0
	ds_read_b32 v9, v8 offset:4
	v_mov_b32_e32 v8, v6
.LBB32_140:
	s_or_b32 exec_lo, exec_lo, s1
	v_add_nc_u32_e32 v10, 1, v2
	v_add_nc_u32_e32 v11, 1, v1
	s_waitcnt lgkmcnt(0)
	v_cmp_lt_i32_e64 s2, v9, v8
	v_cndmask_b32_e64 v2, v10, v2, s0
	v_cndmask_b32_e64 v1, v1, v11, s0
                                        ; implicit-def: $vgpr10
	v_cmp_lt_i32_e64 s1, 0x7f, v2
	v_cmp_gt_i32_e64 s3, 0x100, v1
	s_or_b32 s1, s1, s2
	s_and_b32 s1, s3, s1
	s_xor_b32 s2, s1, -1
	s_and_saveexec_b32 s3, s2
	s_xor_b32 s2, exec_lo, s3
; %bb.141:
	v_lshl_add_u32 v10, v2, 2, v0
	ds_read_b32 v10, v10 offset:4
; %bb.142:
	s_or_saveexec_b32 s2, s2
	v_mov_b32_e32 v11, v9
	s_xor_b32 exec_lo, exec_lo, s2
	s_cbranch_execz .LBB32_144
; %bb.143:
	s_waitcnt lgkmcnt(0)
	v_lshl_add_u32 v10, v1, 2, v0
	ds_read_b32 v11, v10 offset:4
	v_mov_b32_e32 v10, v8
.LBB32_144:
	s_or_b32 exec_lo, exec_lo, s2
	v_add_nc_u32_e32 v12, 1, v2
	v_add_nc_u32_e32 v13, 1, v1
	s_waitcnt lgkmcnt(0)
	v_cmp_lt_i32_e64 s3, v11, v10
	v_cndmask_b32_e64 v2, v12, v2, s1
	v_cndmask_b32_e64 v1, v1, v13, s1
                                        ; implicit-def: $vgpr12
	v_cmp_lt_i32_e64 s2, 0x7f, v2
	v_cmp_gt_i32_e64 s4, 0x100, v1
	s_or_b32 s2, s2, s3
	s_and_b32 s2, s4, s2
	s_xor_b32 s3, s2, -1
	s_and_saveexec_b32 s4, s3
	s_xor_b32 s3, exec_lo, s4
; %bb.145:
	v_lshl_add_u32 v12, v2, 2, v0
	ds_read_b32 v12, v12 offset:4
; %bb.146:
	s_or_saveexec_b32 s3, s3
	v_mov_b32_e32 v13, v11
	s_xor_b32 exec_lo, exec_lo, s3
	s_cbranch_execz .LBB32_148
; %bb.147:
	s_waitcnt lgkmcnt(0)
	v_lshl_add_u32 v12, v1, 2, v0
	ds_read_b32 v13, v12 offset:4
	v_mov_b32_e32 v12, v10
.LBB32_148:
	s_or_b32 exec_lo, exec_lo, s3
	v_add_nc_u32_e32 v14, 1, v2
	v_add_nc_u32_e32 v16, 1, v1
	s_waitcnt lgkmcnt(0)
	v_cmp_lt_i32_e64 s4, v13, v12
	v_cndmask_b32_e64 v15, v14, v2, s2
	v_cndmask_b32_e64 v2, v1, v16, s2
                                        ; implicit-def: $vgpr1
	v_cmp_lt_i32_e64 s3, 0x7f, v15
	v_cmp_gt_i32_e64 s5, 0x100, v2
	s_or_b32 s3, s3, s4
	s_and_b32 s3, s5, s3
	s_xor_b32 s4, s3, -1
	s_and_saveexec_b32 s5, s4
	s_xor_b32 s4, exec_lo, s5
; %bb.149:
	v_lshl_add_u32 v1, v15, 2, v0
	ds_read_b32 v1, v1 offset:4
; %bb.150:
	s_or_saveexec_b32 s4, s4
	v_mov_b32_e32 v14, v13
	s_xor_b32 exec_lo, exec_lo, s4
	s_cbranch_execz .LBB32_152
; %bb.151:
	s_waitcnt lgkmcnt(0)
	v_lshl_add_u32 v1, v2, 2, v0
	ds_read_b32 v14, v1 offset:4
	v_mov_b32_e32 v1, v12
.LBB32_152:
	s_or_b32 exec_lo, exec_lo, s4
	v_add_nc_u32_e32 v16, 1, v15
	v_add_nc_u32_e32 v18, 1, v2
	s_waitcnt lgkmcnt(0)
	v_cmp_lt_i32_e64 s5, v14, v1
	v_cndmask_b32_e64 v17, v16, v15, s3
	v_cndmask_b32_e64 v2, v2, v18, s3
                                        ; implicit-def: $vgpr16
	v_cmp_lt_i32_e64 s4, 0x7f, v17
	v_cmp_gt_i32_e64 s6, 0x100, v2
	s_or_b32 s4, s4, s5
	s_and_b32 s4, s6, s4
	s_xor_b32 s5, s4, -1
	s_and_saveexec_b32 s6, s5
	s_xor_b32 s5, exec_lo, s6
; %bb.153:
	v_lshl_add_u32 v15, v17, 2, v0
	ds_read_b32 v16, v15 offset:4
; %bb.154:
	s_or_saveexec_b32 s5, s5
	v_mov_b32_e32 v15, v14
	s_xor_b32 exec_lo, exec_lo, s5
	s_cbranch_execz .LBB32_156
; %bb.155:
	v_lshl_add_u32 v15, v2, 2, v0
	s_waitcnt lgkmcnt(0)
	v_mov_b32_e32 v16, v1
	ds_read_b32 v15, v15 offset:4
.LBB32_156:
	s_or_b32 exec_lo, exec_lo, s5
	v_add_nc_u32_e32 v18, 1, v17
	v_add_nc_u32_e32 v19, 1, v2
	s_waitcnt lgkmcnt(0)
	v_cmp_ge_i32_e64 s6, v15, v16
	v_cndmask_b32_e64 v20, v18, v17, s4
	v_cndmask_b32_e64 v17, v2, v19, s4
                                        ; implicit-def: $vgpr18
                                        ; implicit-def: $vgpr19
	v_cmp_gt_i32_e64 s5, 0x80, v20
	v_cmp_lt_i32_e64 s7, 0xff, v17
	s_and_b32 s5, s5, s6
	s_or_b32 s5, s7, s5
	s_and_saveexec_b32 s6, s5
	s_xor_b32 s5, exec_lo, s6
; %bb.157:
	v_lshl_add_u32 v0, v20, 2, v0
	v_add_nc_u32_e32 v19, 1, v20
                                        ; implicit-def: $vgpr20
	ds_read_b32 v18, v0 offset:4
                                        ; implicit-def: $vgpr0
; %bb.158:
	s_or_saveexec_b32 s5, s5
	v_mov_b32_e32 v2, v16
	s_xor_b32 exec_lo, exec_lo, s5
	s_cbranch_execz .LBB32_160
; %bb.159:
	v_lshl_add_u32 v0, v17, 2, v0
	v_add_nc_u32_e32 v17, 1, v17
	v_mov_b32_e32 v2, v15
	v_mov_b32_e32 v19, v20
	s_waitcnt lgkmcnt(0)
	v_mov_b32_e32 v18, v16
	ds_read_b32 v0, v0 offset:4
	s_waitcnt lgkmcnt(0)
	v_mov_b32_e32 v15, v0
.LBB32_160:
	s_or_b32 exec_lo, exec_lo, s5
	v_cndmask_b32_e64 v0, v12, v13, s3
	v_cndmask_b32_e64 v10, v10, v11, s2
	v_cmp_lt_i32_e64 s2, 0x7f, v19
	s_waitcnt lgkmcnt(0)
	v_cmp_lt_i32_e64 s3, v15, v18
	v_cndmask_b32_e64 v9, v8, v9, s1
	v_cmp_gt_i32_e64 s1, 0x100, v17
	v_cndmask_b32_e64 v8, v6, v7, s0
	v_cndmask_b32_e32 v7, v4, v5, vcc_lo
	s_or_b32 s0, s2, s3
	v_lshlrev_b32_e32 v4, 2, v3
	s_and_b32 vcc_lo, s1, s0
	v_cndmask_b32_e64 v1, v1, v14, s4
	v_cndmask_b32_e32 v3, v18, v15, vcc_lo
	s_add_u32 s0, s10, s12
	s_addc_u32 s1, s11, s13
	global_store_dwordx4 v4, v[7:10], s[0:1]
	global_store_dwordx4 v4, v[0:3], s[0:1] offset:16
	s_endpgm
	.section	.rodata,"a",@progbits
	.p2align	6, 0x0
	.amdhsa_kernel _Z9sort_keysILj256ELj32ELj8EiN10test_utils4lessEEvPKT2_PS2_T3_
		.amdhsa_group_segment_fixed_size 8224
		.amdhsa_private_segment_fixed_size 0
		.amdhsa_kernarg_size 20
		.amdhsa_user_sgpr_count 6
		.amdhsa_user_sgpr_private_segment_buffer 1
		.amdhsa_user_sgpr_dispatch_ptr 0
		.amdhsa_user_sgpr_queue_ptr 0
		.amdhsa_user_sgpr_kernarg_segment_ptr 1
		.amdhsa_user_sgpr_dispatch_id 0
		.amdhsa_user_sgpr_flat_scratch_init 0
		.amdhsa_user_sgpr_private_segment_size 0
		.amdhsa_wavefront_size32 1
		.amdhsa_uses_dynamic_stack 0
		.amdhsa_system_sgpr_private_segment_wavefront_offset 0
		.amdhsa_system_sgpr_workgroup_id_x 1
		.amdhsa_system_sgpr_workgroup_id_y 0
		.amdhsa_system_sgpr_workgroup_id_z 0
		.amdhsa_system_sgpr_workgroup_info 0
		.amdhsa_system_vgpr_workitem_id 0
		.amdhsa_next_free_vgpr 32
		.amdhsa_next_free_sgpr 14
		.amdhsa_reserve_vcc 1
		.amdhsa_reserve_flat_scratch 0
		.amdhsa_float_round_mode_32 0
		.amdhsa_float_round_mode_16_64 0
		.amdhsa_float_denorm_mode_32 3
		.amdhsa_float_denorm_mode_16_64 3
		.amdhsa_dx10_clamp 1
		.amdhsa_ieee_mode 1
		.amdhsa_fp16_overflow 0
		.amdhsa_workgroup_processor_mode 1
		.amdhsa_memory_ordered 1
		.amdhsa_forward_progress 1
		.amdhsa_shared_vgpr_count 0
		.amdhsa_exception_fp_ieee_invalid_op 0
		.amdhsa_exception_fp_denorm_src 0
		.amdhsa_exception_fp_ieee_div_zero 0
		.amdhsa_exception_fp_ieee_overflow 0
		.amdhsa_exception_fp_ieee_underflow 0
		.amdhsa_exception_fp_ieee_inexact 0
		.amdhsa_exception_int_div_zero 0
	.end_amdhsa_kernel
	.section	.text._Z9sort_keysILj256ELj32ELj8EiN10test_utils4lessEEvPKT2_PS2_T3_,"axG",@progbits,_Z9sort_keysILj256ELj32ELj8EiN10test_utils4lessEEvPKT2_PS2_T3_,comdat
.Lfunc_end32:
	.size	_Z9sort_keysILj256ELj32ELj8EiN10test_utils4lessEEvPKT2_PS2_T3_, .Lfunc_end32-_Z9sort_keysILj256ELj32ELj8EiN10test_utils4lessEEvPKT2_PS2_T3_
                                        ; -- End function
	.set _Z9sort_keysILj256ELj32ELj8EiN10test_utils4lessEEvPKT2_PS2_T3_.num_vgpr, 32
	.set _Z9sort_keysILj256ELj32ELj8EiN10test_utils4lessEEvPKT2_PS2_T3_.num_agpr, 0
	.set _Z9sort_keysILj256ELj32ELj8EiN10test_utils4lessEEvPKT2_PS2_T3_.numbered_sgpr, 14
	.set _Z9sort_keysILj256ELj32ELj8EiN10test_utils4lessEEvPKT2_PS2_T3_.num_named_barrier, 0
	.set _Z9sort_keysILj256ELj32ELj8EiN10test_utils4lessEEvPKT2_PS2_T3_.private_seg_size, 0
	.set _Z9sort_keysILj256ELj32ELj8EiN10test_utils4lessEEvPKT2_PS2_T3_.uses_vcc, 1
	.set _Z9sort_keysILj256ELj32ELj8EiN10test_utils4lessEEvPKT2_PS2_T3_.uses_flat_scratch, 0
	.set _Z9sort_keysILj256ELj32ELj8EiN10test_utils4lessEEvPKT2_PS2_T3_.has_dyn_sized_stack, 0
	.set _Z9sort_keysILj256ELj32ELj8EiN10test_utils4lessEEvPKT2_PS2_T3_.has_recursion, 0
	.set _Z9sort_keysILj256ELj32ELj8EiN10test_utils4lessEEvPKT2_PS2_T3_.has_indirect_call, 0
	.section	.AMDGPU.csdata,"",@progbits
; Kernel info:
; codeLenInByte = 7288
; TotalNumSgprs: 16
; NumVgprs: 32
; ScratchSize: 0
; MemoryBound: 0
; FloatMode: 240
; IeeeMode: 1
; LDSByteSize: 8224 bytes/workgroup (compile time only)
; SGPRBlocks: 0
; VGPRBlocks: 3
; NumSGPRsForWavesPerEU: 16
; NumVGPRsForWavesPerEU: 32
; Occupancy: 16
; WaveLimiterHint : 0
; COMPUTE_PGM_RSRC2:SCRATCH_EN: 0
; COMPUTE_PGM_RSRC2:USER_SGPR: 6
; COMPUTE_PGM_RSRC2:TRAP_HANDLER: 0
; COMPUTE_PGM_RSRC2:TGID_X_EN: 1
; COMPUTE_PGM_RSRC2:TGID_Y_EN: 0
; COMPUTE_PGM_RSRC2:TGID_Z_EN: 0
; COMPUTE_PGM_RSRC2:TIDIG_COMP_CNT: 0
	.section	.text._Z10sort_pairsILj256ELj32ELj8EiN10test_utils4lessEEvPKT2_PS2_T3_,"axG",@progbits,_Z10sort_pairsILj256ELj32ELj8EiN10test_utils4lessEEvPKT2_PS2_T3_,comdat
	.protected	_Z10sort_pairsILj256ELj32ELj8EiN10test_utils4lessEEvPKT2_PS2_T3_ ; -- Begin function _Z10sort_pairsILj256ELj32ELj8EiN10test_utils4lessEEvPKT2_PS2_T3_
	.globl	_Z10sort_pairsILj256ELj32ELj8EiN10test_utils4lessEEvPKT2_PS2_T3_
	.p2align	8
	.type	_Z10sort_pairsILj256ELj32ELj8EiN10test_utils4lessEEvPKT2_PS2_T3_,@function
_Z10sort_pairsILj256ELj32ELj8EiN10test_utils4lessEEvPKT2_PS2_T3_: ; @_Z10sort_pairsILj256ELj32ELj8EiN10test_utils4lessEEvPKT2_PS2_T3_
; %bb.0:
	s_load_dwordx4 s[20:23], s[4:5], 0x0
	s_mov_b32 s1, 0
	s_lshl_b32 s0, s6, 11
	v_lshlrev_b32_e32 v1, 5, v0
	s_lshl_b64 s[24:25], s[0:1], 2
	v_mov_b32_e32 v23, 0
	s_mov_b32 s12, exec_lo
	s_waitcnt lgkmcnt(0)
	s_add_u32 s0, s20, s24
	s_addc_u32 s1, s21, s25
	s_clause 0x1
	global_load_dwordx4 v[5:8], v1, s[0:1]
	global_load_dwordx4 v[9:12], v1, s[0:1] offset:16
	s_waitcnt vmcnt(1)
	v_add_nc_u32_e32 v1, 1, v5
	v_add_nc_u32_e32 v2, 1, v6
	;; [unrolled: 1-line block ×4, first 2 shown]
	s_waitcnt vmcnt(0)
	v_add_nc_u32_e32 v14, 1, v9
	v_add_nc_u32_e32 v15, 1, v10
	;; [unrolled: 1-line block ×4, first 2 shown]
	v_cmp_lt_i32_e32 vcc_lo, v6, v5
	v_cmp_lt_i32_e64 s0, v8, v7
	v_cmp_lt_i32_e64 s1, v10, v9
	;; [unrolled: 1-line block ×3, first 2 shown]
	v_cndmask_b32_e32 v18, v2, v1, vcc_lo
	v_cndmask_b32_e32 v4, v1, v2, vcc_lo
	v_cndmask_b32_e32 v1, v5, v6, vcc_lo
	v_cndmask_b32_e32 v2, v6, v5, vcc_lo
	v_cndmask_b32_e64 v6, v13, v3, s0
	v_cndmask_b32_e64 v3, v3, v13, s0
	;; [unrolled: 1-line block ×12, first 2 shown]
	v_cmp_lt_i32_e32 vcc_lo, v7, v2
	v_cmp_lt_i32_e64 s0, v9, v13
	v_cmp_lt_i32_e64 s1, v11, v15
	v_cndmask_b32_e32 v12, v3, v18, vcc_lo
	v_cndmask_b32_e64 v19, v14, v6, s0
	v_cndmask_b32_e32 v5, v18, v3, vcc_lo
	v_cndmask_b32_e32 v3, v7, v2, vcc_lo
	;; [unrolled: 1-line block ×3, first 2 shown]
	v_cndmask_b32_e64 v7, v6, v14, s0
	v_cndmask_b32_e64 v14, v9, v13, s0
	;; [unrolled: 1-line block ×7, first 2 shown]
	v_cmp_lt_i32_e32 vcc_lo, v2, v1
	v_cmp_lt_i32_e64 s0, v9, v3
	v_cmp_lt_i32_e64 s1, v11, v14
	;; [unrolled: 1-line block ×3, first 2 shown]
	v_cndmask_b32_e32 v21, v1, v2, vcc_lo
	v_cndmask_b32_e64 v15, v7, v12, s0
	v_cndmask_b32_e32 v1, v2, v1, vcc_lo
	v_cndmask_b32_e64 v7, v12, v7, s0
	v_cndmask_b32_e64 v2, v9, v3, s0
	;; [unrolled: 1-line block ×11, first 2 shown]
	v_cmp_lt_i32_e64 s0, v3, v1
	v_cmp_lt_i32_e64 s1, v11, v2
	;; [unrolled: 1-line block ×3, first 2 shown]
	v_cndmask_b32_e32 v6, v5, v4, vcc_lo
	v_cndmask_b32_e64 v20, v3, v1, s0
	v_cndmask_b32_e64 v17, v9, v15, s1
	;; [unrolled: 1-line block ×10, first 2 shown]
	v_cmp_lt_i32_e64 s1, v1, v21
	v_cmp_lt_i32_e64 s2, v2, v20
	v_cndmask_b32_e64 v8, v7, v6, s0
	v_cmp_lt_i32_e64 s4, v14, v16
	v_cmp_lt_i32_e64 s3, v12, v3
	v_cndmask_b32_e64 v22, v21, v1, s1
	v_cndmask_b32_e64 v1, v1, v21, s1
	;; [unrolled: 1-line block ×12, first 2 shown]
	v_cmp_lt_i32_e64 s3, v2, v1
	v_cmp_lt_i32_e64 s4, v3, v21
	v_cndmask_b32_e64 v10, v9, v8, s2
	v_cmp_lt_i32_e64 s5, v19, v17
	v_cndmask_b32_e64 v20, v2, v1, s3
	v_cndmask_b32_e64 v25, v1, v2, s3
	;; [unrolled: 1-line block ×8, first 2 shown]
	v_cmp_lt_i32_e64 s5, v25, v22
	v_cmp_lt_i32_e64 s6, v3, v20
	;; [unrolled: 1-line block ×4, first 2 shown]
	v_cndmask_b32_e64 v14, v13, v10, s4
	v_cndmask_b32_e64 v2, v22, v25, s5
	;; [unrolled: 1-line block ×9, first 2 shown]
	v_cmp_lt_i32_e64 s8, v27, v25
	v_cndmask_b32_e64 v12, v16, v14, s7
	v_cmp_lt_i32_e64 s9, v17, v24
	v_cndmask_b32_e64 v20, v18, v21, s10
	v_mov_b32_e32 v28, v3
	v_cndmask_b32_e64 v21, v27, v25, s8
	v_cndmask_b32_e64 v25, v25, v27, s8
	;; [unrolled: 1-line block ×4, first 2 shown]
	v_mov_b32_e32 v17, v1
	v_cmpx_lt_i32_e64 v3, v19
; %bb.1:
	v_mov_b32_e32 v28, v19
	v_mov_b32_e32 v19, v3
	v_mov_b32_e32 v17, v12
	v_mov_b32_e32 v12, v1
; %bb.2:
	s_or_b32 exec_lo, exec_lo, s12
	v_mbcnt_lo_u32_b32 v1, -1, 0
	v_lshrrev_b32_e32 v29, 5, v0
	v_lshlrev_b32_e32 v0, 3, v0
	; wave barrier
	v_lshlrev_b32_e32 v3, 3, v1
	v_lshlrev_b32_e32 v1, 5, v1
	s_mov_b32 s12, exec_lo
	v_and_b32_e32 v26, 0xf0, v3
	v_and_b32_e32 v24, 8, v3
	v_mad_u32_u24 v1, 0x404, v29, v1
	ds_write2_b32 v1, v2, v25 offset1:1
	ds_write2_b32 v1, v21, v27 offset0:2 offset1:3
	v_or_b32_e32 v18, 8, v26
	v_lshlrev_b32_e32 v31, 2, v26
	ds_write2_b32 v1, v22, v19 offset0:4 offset1:5
	ds_write2_b32 v1, v28, v20 offset0:6 offset1:7
	; wave barrier
	v_sub_nc_u32_e32 v30, v18, v26
	v_mad_u32_u24 v21, 0x404, v29, v31
	v_min_i32_e32 v30, v24, v30
	v_cmpx_lt_i32_e32 0, v30
	s_cbranch_execz .LBB33_6
; %bb.3:
	v_lshl_add_u32 v2, v24, 2, v21
	v_mov_b32_e32 v23, 0
	s_mov_b32 s13, 0
	.p2align	6
.LBB33_4:                               ; =>This Inner Loop Header: Depth=1
	v_sub_nc_u32_e32 v19, v30, v23
	v_lshrrev_b32_e32 v19, 1, v19
	v_add_nc_u32_e32 v19, v19, v23
	v_not_b32_e32 v20, v19
	v_lshl_add_u32 v22, v19, 2, v21
	v_add_nc_u32_e32 v25, 1, v19
	v_lshl_add_u32 v20, v20, 2, v2
	ds_read_b32 v22, v22
	ds_read_b32 v20, v20 offset:32
	s_waitcnt lgkmcnt(0)
	v_cmp_lt_i32_e64 s11, v20, v22
	v_cndmask_b32_e64 v30, v30, v19, s11
	v_cndmask_b32_e64 v23, v25, v23, s11
	v_cmp_ge_i32_e64 s11, v23, v30
	s_or_b32 s13, s11, s13
	s_andn2_b32 exec_lo, exec_lo, s13
	s_cbranch_execnz .LBB33_4
; %bb.5:
	s_or_b32 exec_lo, exec_lo, s13
.LBB33_6:
	s_or_b32 exec_lo, exec_lo, s12
	v_add_nc_u32_e32 v19, v26, v24
	v_mul_u32_u24_e32 v2, 0x404, v29
	v_lshl_add_u32 v22, v23, 2, v21
	v_add_nc_u32_e32 v21, v18, v24
	v_add_nc_u32_e32 v24, 16, v26
	v_sub_nc_u32_e32 v19, v19, v23
	v_cmp_lt_i32_e64 s11, 7, v23
	v_sub_nc_u32_e32 v25, v21, v23
                                        ; implicit-def: $vgpr21
	v_lshl_add_u32 v27, v19, 2, v2
	ds_read_b32 v19, v22
	ds_read_b32 v20, v27 offset:32
	v_cmp_gt_i32_e64 s13, v24, v25
	s_waitcnt lgkmcnt(0)
	v_cmp_lt_i32_e64 s12, v20, v19
	s_or_b32 s11, s11, s12
	s_and_b32 s11, s13, s11
	s_xor_b32 s12, s11, -1
	s_and_saveexec_b32 s13, s12
	s_xor_b32 s12, exec_lo, s13
; %bb.7:
	ds_read_b32 v21, v22 offset:4
                                        ; implicit-def: $vgpr27
; %bb.8:
	s_or_saveexec_b32 s12, s12
	v_mov_b32_e32 v22, v20
	s_xor_b32 exec_lo, exec_lo, s12
	s_cbranch_execz .LBB33_10
; %bb.9:
	ds_read_b32 v22, v27 offset:36
	s_waitcnt lgkmcnt(1)
	v_mov_b32_e32 v21, v19
.LBB33_10:
	s_or_b32 exec_lo, exec_lo, s12
	v_add_nc_u32_e32 v28, v23, v26
	v_add_nc_u32_e32 v26, 1, v25
	s_waitcnt lgkmcnt(0)
	v_cmp_lt_i32_e64 s13, v22, v21
	v_add_nc_u32_e32 v23, 1, v28
	v_cndmask_b32_e64 v31, v25, v26, s11
	v_cndmask_b32_e64 v30, v23, v28, s11
	v_cmp_lt_i32_e64 s14, v31, v24
                                        ; implicit-def: $vgpr23
	v_cmp_ge_i32_e64 s12, v30, v18
	s_or_b32 s12, s12, s13
	s_and_b32 s12, s14, s12
	s_xor_b32 s13, s12, -1
	s_and_saveexec_b32 s14, s13
	s_xor_b32 s13, exec_lo, s14
; %bb.11:
	v_lshl_add_u32 v23, v30, 2, v2
	ds_read_b32 v23, v23 offset:4
; %bb.12:
	s_or_saveexec_b32 s13, s13
	v_mov_b32_e32 v26, v22
	s_xor_b32 exec_lo, exec_lo, s13
	s_cbranch_execz .LBB33_14
; %bb.13:
	s_waitcnt lgkmcnt(0)
	v_lshl_add_u32 v23, v31, 2, v2
	ds_read_b32 v26, v23 offset:4
	v_mov_b32_e32 v23, v21
.LBB33_14:
	s_or_b32 exec_lo, exec_lo, s13
	v_add_nc_u32_e32 v27, 1, v30
	v_add_nc_u32_e32 v29, 1, v31
	s_waitcnt lgkmcnt(0)
	v_cmp_lt_i32_e64 s14, v26, v23
	v_cndmask_b32_e64 v34, v27, v30, s12
	v_cndmask_b32_e64 v35, v31, v29, s12
                                        ; implicit-def: $vgpr27
	v_cmp_ge_i32_e64 s13, v34, v18
	v_cmp_lt_i32_e64 s15, v35, v24
	s_or_b32 s13, s13, s14
	s_and_b32 s13, s15, s13
	s_xor_b32 s14, s13, -1
	s_and_saveexec_b32 s15, s14
	s_xor_b32 s14, exec_lo, s15
; %bb.15:
	v_lshl_add_u32 v27, v34, 2, v2
	ds_read_b32 v27, v27 offset:4
; %bb.16:
	s_or_saveexec_b32 s14, s14
	v_mov_b32_e32 v29, v26
	s_xor_b32 exec_lo, exec_lo, s14
	s_cbranch_execz .LBB33_18
; %bb.17:
	s_waitcnt lgkmcnt(0)
	v_lshl_add_u32 v27, v35, 2, v2
	ds_read_b32 v29, v27 offset:4
	v_mov_b32_e32 v27, v23
.LBB33_18:
	s_or_b32 exec_lo, exec_lo, s14
	v_add_nc_u32_e32 v32, 1, v34
	v_add_nc_u32_e32 v33, 1, v35
	s_waitcnt lgkmcnt(0)
	v_cmp_lt_i32_e64 s15, v29, v27
	v_cndmask_b32_e64 v36, v32, v34, s13
	v_cndmask_b32_e64 v37, v35, v33, s13
                                        ; implicit-def: $vgpr32
	v_cmp_ge_i32_e64 s14, v36, v18
	v_cmp_lt_i32_e64 s16, v37, v24
	s_or_b32 s14, s14, s15
	s_and_b32 s14, s16, s14
	s_xor_b32 s15, s14, -1
	s_and_saveexec_b32 s16, s15
	s_xor_b32 s15, exec_lo, s16
; %bb.19:
	v_lshl_add_u32 v32, v36, 2, v2
	ds_read_b32 v32, v32 offset:4
; %bb.20:
	s_or_saveexec_b32 s15, s15
	v_mov_b32_e32 v33, v29
	s_xor_b32 exec_lo, exec_lo, s15
	s_cbranch_execz .LBB33_22
; %bb.21:
	s_waitcnt lgkmcnt(0)
	v_lshl_add_u32 v32, v37, 2, v2
	ds_read_b32 v33, v32 offset:4
	v_mov_b32_e32 v32, v27
.LBB33_22:
	s_or_b32 exec_lo, exec_lo, s15
	v_add_nc_u32_e32 v38, 1, v36
	v_add_nc_u32_e32 v39, 1, v37
	s_waitcnt lgkmcnt(0)
	v_cmp_lt_i32_e64 s16, v33, v32
                                        ; implicit-def: $vgpr40
	v_cndmask_b32_e64 v38, v38, v36, s14
	v_cndmask_b32_e64 v39, v37, v39, s14
	v_cmp_ge_i32_e64 s15, v38, v18
	v_cmp_lt_i32_e64 s17, v39, v24
	s_or_b32 s15, s15, s16
	s_and_b32 s15, s17, s15
	s_xor_b32 s16, s15, -1
	s_and_saveexec_b32 s17, s16
	s_xor_b32 s16, exec_lo, s17
; %bb.23:
	v_lshl_add_u32 v40, v38, 2, v2
	ds_read_b32 v40, v40 offset:4
; %bb.24:
	s_or_saveexec_b32 s16, s16
	v_mov_b32_e32 v41, v33
	s_xor_b32 exec_lo, exec_lo, s16
	s_cbranch_execz .LBB33_26
; %bb.25:
	s_waitcnt lgkmcnt(0)
	v_lshl_add_u32 v40, v39, 2, v2
	ds_read_b32 v41, v40 offset:4
	v_mov_b32_e32 v40, v32
.LBB33_26:
	s_or_b32 exec_lo, exec_lo, s16
	v_add_nc_u32_e32 v42, 1, v38
	v_add_nc_u32_e32 v43, 1, v39
	s_waitcnt lgkmcnt(0)
	v_cmp_lt_i32_e64 s17, v41, v40
                                        ; implicit-def: $vgpr46
	v_cndmask_b32_e64 v42, v42, v38, s15
	v_cndmask_b32_e64 v43, v39, v43, s15
	v_cmp_ge_i32_e64 s16, v42, v18
	v_cmp_lt_i32_e64 s18, v43, v24
	s_or_b32 s16, s16, s17
	s_and_b32 s16, s18, s16
	s_xor_b32 s17, s16, -1
	s_and_saveexec_b32 s18, s17
	s_xor_b32 s17, exec_lo, s18
; %bb.27:
	v_lshl_add_u32 v44, v42, 2, v2
	ds_read_b32 v46, v44 offset:4
; %bb.28:
	s_or_saveexec_b32 s17, s17
	v_mov_b32_e32 v49, v41
	s_xor_b32 exec_lo, exec_lo, s17
	s_cbranch_execz .LBB33_30
; %bb.29:
	v_lshl_add_u32 v44, v43, 2, v2
	s_waitcnt lgkmcnt(0)
	v_mov_b32_e32 v46, v40
	ds_read_b32 v49, v44 offset:4
.LBB33_30:
	s_or_b32 exec_lo, exec_lo, s17
	v_add_nc_u32_e32 v44, 1, v42
	v_add_nc_u32_e32 v45, 1, v43
	s_waitcnt lgkmcnt(0)
	v_cmp_lt_i32_e64 s18, v49, v46
	v_cndmask_b32_e64 v47, v44, v42, s16
	v_cndmask_b32_e64 v48, v43, v45, s16
                                        ; implicit-def: $vgpr44
	v_cmp_ge_i32_e64 s17, v47, v18
	v_cmp_lt_i32_e64 s19, v48, v24
	s_or_b32 s17, s17, s18
	s_and_b32 s17, s19, s17
	s_xor_b32 s18, s17, -1
	s_and_saveexec_b32 s19, s18
	s_xor_b32 s18, exec_lo, s19
; %bb.31:
	v_lshl_add_u32 v44, v47, 2, v2
	ds_read_b32 v44, v44 offset:4
; %bb.32:
	s_or_saveexec_b32 s18, s18
	v_mov_b32_e32 v45, v49
	s_xor_b32 exec_lo, exec_lo, s18
	s_cbranch_execz .LBB33_34
; %bb.33:
	s_waitcnt lgkmcnt(0)
	v_lshl_add_u32 v44, v48, 2, v2
	ds_read_b32 v45, v44 offset:4
	v_mov_b32_e32 v44, v46
.LBB33_34:
	s_or_b32 exec_lo, exec_lo, s18
	v_cndmask_b32_e32 v4, v4, v5, vcc_lo
	v_cndmask_b32_e64 v5, v6, v7, s0
	v_cndmask_b32_e64 v40, v40, v41, s16
	;; [unrolled: 1-line block ×4, first 2 shown]
	v_add_nc_u32_e32 v51, 1, v47
	v_cndmask_b32_e64 v42, v5, v4, s1
	v_add_nc_u32_e32 v50, 1, v48
	v_cndmask_b32_e64 v4, v4, v5, s1
	v_cndmask_b32_e64 v10, v10, v13, s4
	;; [unrolled: 1-line block ×7, first 2 shown]
	v_cmp_ge_i32_e32 vcc_lo, v7, v18
	v_cndmask_b32_e64 v28, v5, v4, s5
	v_cndmask_b32_e64 v4, v4, v5, s5
	v_cndmask_b32_e64 v5, v10, v8, s6
	v_cndmask_b32_e64 v8, v8, v10, s6
	v_cndmask_b32_e64 v10, v14, v16, s7
	s_waitcnt lgkmcnt(0)
	v_cmp_lt_i32_e64 s0, v45, v44
	v_cmp_lt_i32_e64 s1, v6, v24
	v_cndmask_b32_e64 v13, v30, v31, s12
	v_cndmask_b32_e64 v14, v8, v28, s8
	;; [unrolled: 1-line block ×5, first 2 shown]
	s_or_b32 s0, vcc_lo, s0
	v_cndmask_b32_e64 v5, v5, v10, s9
	v_cndmask_b32_e64 v34, v34, v35, s13
	;; [unrolled: 1-line block ×3, first 2 shown]
	s_and_b32 vcc_lo, s1, s0
	v_cndmask_b32_e64 v47, v47, v48, s17
	v_cndmask_b32_e64 v9, v38, v39, s15
	v_cndmask_b32_e32 v6, v7, v6, vcc_lo
	; wave barrier
	ds_write2_b32 v1, v4, v8 offset1:1
	ds_write2_b32 v1, v14, v5 offset0:2 offset1:3
	ds_write2_b32 v1, v15, v12 offset0:4 offset1:5
	ds_write2_b32 v1, v17, v11 offset0:6 offset1:7
	v_lshl_add_u32 v4, v25, 2, v2
	v_lshl_add_u32 v5, v13, 2, v2
	;; [unrolled: 1-line block ×7, first 2 shown]
	; wave barrier
	v_lshl_add_u32 v12, v6, 2, v2
	ds_read_b32 v4, v4
	ds_read_b32 v5, v5
	;; [unrolled: 1-line block ×8, first 2 shown]
	v_and_b32_e32 v24, 0xe0, v3
	v_and_b32_e32 v15, 24, v3
	v_cndmask_b32_e64 v21, v21, v22, s12
	v_cndmask_b32_e64 v20, v19, v20, s11
	;; [unrolled: 1-line block ×3, first 2 shown]
	v_or_b32_e32 v12, 16, v24
	v_cndmask_b32_e64 v18, v23, v26, s13
	v_cndmask_b32_e64 v17, v32, v33, s15
	; wave barrier
	v_sub_nc_u32_e64 v19, v15, 16 clamp
	v_sub_nc_u32_e32 v14, v12, v24
	ds_write2_b32 v1, v20, v21 offset1:1
	ds_write2_b32 v1, v18, v13 offset0:2 offset1:3
	v_lshl_add_u32 v13, v24, 2, v2
	v_cndmask_b32_e64 v46, v46, v49, s17
	v_min_i32_e32 v14, v15, v14
	v_cndmask_b32_e32 v16, v44, v45, vcc_lo
	s_mov_b32 s0, exec_lo
	ds_write2_b32 v1, v17, v40 offset0:4 offset1:5
	ds_write2_b32 v1, v46, v16 offset0:6 offset1:7
	; wave barrier
	v_cmpx_lt_i32_e64 v19, v14
	s_cbranch_execz .LBB33_38
; %bb.35:
	v_lshl_add_u32 v16, v15, 2, v13
	s_mov_b32 s1, 0
	.p2align	6
.LBB33_36:                              ; =>This Inner Loop Header: Depth=1
	v_sub_nc_u32_e32 v17, v14, v19
	v_lshrrev_b32_e32 v17, 1, v17
	v_add_nc_u32_e32 v17, v17, v19
	v_not_b32_e32 v18, v17
	v_lshl_add_u32 v20, v17, 2, v13
	v_add_nc_u32_e32 v21, 1, v17
	v_lshl_add_u32 v18, v18, 2, v16
	ds_read_b32 v20, v20
	ds_read_b32 v18, v18 offset:64
	s_waitcnt lgkmcnt(0)
	v_cmp_lt_i32_e32 vcc_lo, v18, v20
	v_cndmask_b32_e32 v14, v14, v17, vcc_lo
	v_cndmask_b32_e32 v19, v21, v19, vcc_lo
	v_cmp_ge_i32_e32 vcc_lo, v19, v14
	s_or_b32 s1, vcc_lo, s1
	s_andn2_b32 exec_lo, exec_lo, s1
	s_cbranch_execnz .LBB33_36
; %bb.37:
	s_or_b32 exec_lo, exec_lo, s1
.LBB33_38:
	s_or_b32 exec_lo, exec_lo, s0
	v_add_nc_u32_e32 v14, v24, v15
	v_lshl_add_u32 v16, v19, 2, v13
	v_add_nc_u32_e32 v15, v12, v15
	v_add_nc_u32_e32 v18, 32, v24
	v_cmp_lt_i32_e32 vcc_lo, 15, v19
	v_sub_nc_u32_e32 v14, v14, v19
	v_sub_nc_u32_e32 v17, v15, v19
                                        ; implicit-def: $vgpr15
	v_lshl_add_u32 v20, v14, 2, v2
	ds_read_b32 v13, v16
	ds_read_b32 v14, v20 offset:64
	v_cmp_gt_i32_e64 s1, v18, v17
	s_waitcnt lgkmcnt(0)
	v_cmp_lt_i32_e64 s0, v14, v13
	s_or_b32 s0, vcc_lo, s0
	s_and_b32 vcc_lo, s1, s0
	s_xor_b32 s0, vcc_lo, -1
	s_and_saveexec_b32 s1, s0
	s_xor_b32 s0, exec_lo, s1
; %bb.39:
	ds_read_b32 v15, v16 offset:4
                                        ; implicit-def: $vgpr20
; %bb.40:
	s_or_saveexec_b32 s0, s0
	v_mov_b32_e32 v16, v14
	s_xor_b32 exec_lo, exec_lo, s0
	s_cbranch_execz .LBB33_42
; %bb.41:
	ds_read_b32 v16, v20 offset:68
	s_waitcnt lgkmcnt(1)
	v_mov_b32_e32 v15, v13
.LBB33_42:
	s_or_b32 exec_lo, exec_lo, s0
	v_add_nc_u32_e32 v21, v19, v24
	v_add_nc_u32_e32 v20, 1, v17
	s_waitcnt lgkmcnt(0)
	v_cmp_lt_i32_e64 s1, v16, v15
	v_add_nc_u32_e32 v19, 1, v21
	v_cndmask_b32_e32 v23, v17, v20, vcc_lo
	v_cndmask_b32_e32 v22, v19, v21, vcc_lo
	v_cmp_lt_i32_e64 s2, v23, v18
                                        ; implicit-def: $vgpr19
	v_cmp_ge_i32_e64 s0, v22, v12
	s_or_b32 s0, s0, s1
	s_and_b32 s0, s2, s0
	s_xor_b32 s1, s0, -1
	s_and_saveexec_b32 s2, s1
	s_xor_b32 s1, exec_lo, s2
; %bb.43:
	v_lshl_add_u32 v19, v22, 2, v2
	ds_read_b32 v19, v19 offset:4
; %bb.44:
	s_or_saveexec_b32 s1, s1
	v_mov_b32_e32 v20, v16
	s_xor_b32 exec_lo, exec_lo, s1
	s_cbranch_execz .LBB33_46
; %bb.45:
	s_waitcnt lgkmcnt(0)
	v_lshl_add_u32 v19, v23, 2, v2
	ds_read_b32 v20, v19 offset:4
	v_mov_b32_e32 v19, v15
.LBB33_46:
	s_or_b32 exec_lo, exec_lo, s1
	v_add_nc_u32_e32 v24, 1, v22
	v_add_nc_u32_e32 v25, 1, v23
	s_waitcnt lgkmcnt(0)
	v_cmp_lt_i32_e64 s2, v20, v19
	v_cndmask_b32_e64 v26, v24, v22, s0
	v_cndmask_b32_e64 v27, v23, v25, s0
                                        ; implicit-def: $vgpr24
	v_cmp_ge_i32_e64 s1, v26, v12
	v_cmp_lt_i32_e64 s3, v27, v18
	s_or_b32 s1, s1, s2
	s_and_b32 s1, s3, s1
	s_xor_b32 s2, s1, -1
	s_and_saveexec_b32 s3, s2
	s_xor_b32 s2, exec_lo, s3
; %bb.47:
	v_lshl_add_u32 v24, v26, 2, v2
	ds_read_b32 v24, v24 offset:4
; %bb.48:
	s_or_saveexec_b32 s2, s2
	v_mov_b32_e32 v25, v20
	s_xor_b32 exec_lo, exec_lo, s2
	s_cbranch_execz .LBB33_50
; %bb.49:
	s_waitcnt lgkmcnt(0)
	v_lshl_add_u32 v24, v27, 2, v2
	ds_read_b32 v25, v24 offset:4
	v_mov_b32_e32 v24, v19
.LBB33_50:
	s_or_b32 exec_lo, exec_lo, s2
	v_add_nc_u32_e32 v28, 1, v26
	v_add_nc_u32_e32 v29, 1, v27
	s_waitcnt lgkmcnt(0)
	v_cmp_lt_i32_e64 s3, v25, v24
	v_cndmask_b32_e64 v30, v28, v26, s1
	v_cndmask_b32_e64 v31, v27, v29, s1
                                        ; implicit-def: $vgpr28
	v_cmp_ge_i32_e64 s2, v30, v12
	v_cmp_lt_i32_e64 s4, v31, v18
	s_or_b32 s2, s2, s3
	s_and_b32 s2, s4, s2
	s_xor_b32 s3, s2, -1
	s_and_saveexec_b32 s4, s3
	s_xor_b32 s3, exec_lo, s4
; %bb.51:
	v_lshl_add_u32 v28, v30, 2, v2
	ds_read_b32 v28, v28 offset:4
; %bb.52:
	s_or_saveexec_b32 s3, s3
	v_mov_b32_e32 v29, v25
	s_xor_b32 exec_lo, exec_lo, s3
	s_cbranch_execz .LBB33_54
; %bb.53:
	s_waitcnt lgkmcnt(0)
	v_lshl_add_u32 v28, v31, 2, v2
	ds_read_b32 v29, v28 offset:4
	v_mov_b32_e32 v28, v24
.LBB33_54:
	s_or_b32 exec_lo, exec_lo, s3
	v_add_nc_u32_e32 v32, 1, v30
	v_add_nc_u32_e32 v33, 1, v31
	s_waitcnt lgkmcnt(0)
	v_cmp_lt_i32_e64 s4, v29, v28
                                        ; implicit-def: $vgpr34
	v_cndmask_b32_e64 v32, v32, v30, s2
	v_cndmask_b32_e64 v33, v31, v33, s2
	v_cmp_ge_i32_e64 s3, v32, v12
	v_cmp_lt_i32_e64 s5, v33, v18
	s_or_b32 s3, s3, s4
	s_and_b32 s3, s5, s3
	s_xor_b32 s4, s3, -1
	s_and_saveexec_b32 s5, s4
	s_xor_b32 s4, exec_lo, s5
; %bb.55:
	v_lshl_add_u32 v34, v32, 2, v2
	ds_read_b32 v34, v34 offset:4
; %bb.56:
	s_or_saveexec_b32 s4, s4
	v_mov_b32_e32 v35, v29
	s_xor_b32 exec_lo, exec_lo, s4
	s_cbranch_execz .LBB33_58
; %bb.57:
	s_waitcnt lgkmcnt(0)
	v_lshl_add_u32 v34, v33, 2, v2
	ds_read_b32 v35, v34 offset:4
	v_mov_b32_e32 v34, v28
.LBB33_58:
	s_or_b32 exec_lo, exec_lo, s4
	v_add_nc_u32_e32 v36, 1, v32
	v_add_nc_u32_e32 v37, 1, v33
	s_waitcnt lgkmcnt(0)
	v_cmp_lt_i32_e64 s5, v35, v34
                                        ; implicit-def: $vgpr38
	v_cndmask_b32_e64 v36, v36, v32, s3
	v_cndmask_b32_e64 v37, v33, v37, s3
	v_cmp_ge_i32_e64 s4, v36, v12
	v_cmp_lt_i32_e64 s6, v37, v18
	s_or_b32 s4, s4, s5
	s_and_b32 s4, s6, s4
	s_xor_b32 s5, s4, -1
	s_and_saveexec_b32 s6, s5
	s_xor_b32 s5, exec_lo, s6
; %bb.59:
	v_lshl_add_u32 v38, v36, 2, v2
	ds_read_b32 v38, v38 offset:4
; %bb.60:
	s_or_saveexec_b32 s5, s5
	v_mov_b32_e32 v39, v35
	s_xor_b32 exec_lo, exec_lo, s5
	s_cbranch_execz .LBB33_62
; %bb.61:
	s_waitcnt lgkmcnt(0)
	v_lshl_add_u32 v38, v37, 2, v2
	ds_read_b32 v39, v38 offset:4
	v_mov_b32_e32 v38, v34
.LBB33_62:
	s_or_b32 exec_lo, exec_lo, s5
	v_add_nc_u32_e32 v40, 1, v36
	v_add_nc_u32_e32 v41, 1, v37
	s_waitcnt lgkmcnt(0)
	v_cmp_lt_i32_e64 s6, v39, v38
	v_cndmask_b32_e64 v42, v40, v36, s4
	v_cndmask_b32_e64 v41, v37, v41, s4
                                        ; implicit-def: $vgpr40
	v_cmp_ge_i32_e64 s5, v42, v12
	v_cmp_lt_i32_e64 s7, v41, v18
	s_or_b32 s5, s5, s6
	s_and_b32 s5, s7, s5
	s_xor_b32 s6, s5, -1
	s_and_saveexec_b32 s7, s6
	s_xor_b32 s6, exec_lo, s7
; %bb.63:
	v_lshl_add_u32 v40, v42, 2, v2
	ds_read_b32 v40, v40 offset:4
; %bb.64:
	s_or_saveexec_b32 s6, s6
	v_mov_b32_e32 v43, v39
	s_xor_b32 exec_lo, exec_lo, s6
	s_cbranch_execz .LBB33_66
; %bb.65:
	s_waitcnt lgkmcnt(0)
	v_lshl_add_u32 v40, v41, 2, v2
	ds_read_b32 v43, v40 offset:4
	v_mov_b32_e32 v40, v38
.LBB33_66:
	s_or_b32 exec_lo, exec_lo, s6
	v_add_nc_u32_e32 v44, 1, v42
	v_cndmask_b32_e64 v38, v38, v39, s5
	v_add_nc_u32_e32 v39, 1, v41
	v_cndmask_b32_e64 v34, v34, v35, s4
	v_cndmask_b32_e64 v36, v36, v37, s4
	;; [unrolled: 1-line block ×5, first 2 shown]
	s_waitcnt lgkmcnt(0)
	v_cmp_lt_i32_e64 s4, v43, v40
	v_cndmask_b32_e32 v17, v21, v17, vcc_lo
	v_cmp_ge_i32_e64 s5, v35, v12
	v_cndmask_b32_e64 v22, v22, v23, s0
	v_cmp_lt_i32_e64 s6, v37, v18
	v_cndmask_b32_e64 v18, v26, v27, s1
	v_cndmask_b32_e64 v12, v30, v31, s2
	s_or_b32 s4, s5, s4
	v_cndmask_b32_e64 v32, v32, v33, s3
	s_and_b32 s4, s6, s4
	v_cndmask_b32_e64 v21, v35, v37, s4
	; wave barrier
	ds_write2_b32 v1, v4, v5 offset1:1
	ds_write2_b32 v1, v6, v7 offset0:2 offset1:3
	ds_write2_b32 v1, v8, v9 offset0:4 offset1:5
	ds_write2_b32 v1, v10, v11 offset0:6 offset1:7
	v_lshl_add_u32 v4, v17, 2, v2
	v_lshl_add_u32 v5, v22, 2, v2
	;; [unrolled: 1-line block ×8, first 2 shown]
	; wave barrier
	ds_read_b32 v4, v4
	ds_read_b32 v5, v5
	;; [unrolled: 1-line block ×8, first 2 shown]
	v_and_b32_e32 v21, 0xc0, v3
	v_cndmask_b32_e64 v22, v24, v25, s2
	v_and_b32_e32 v17, 56, v3
	v_cndmask_b32_e64 v15, v15, v16, s0
	v_cndmask_b32_e32 v13, v13, v14, vcc_lo
	v_or_b32_e32 v12, 32, v21
	v_cndmask_b32_e64 v20, v19, v20, s1
	v_cndmask_b32_e64 v18, v28, v29, s3
	; wave barrier
	v_sub_nc_u32_e64 v19, v17, 32 clamp
	v_sub_nc_u32_e32 v24, v12, v21
	ds_write2_b32 v1, v13, v15 offset1:1
	ds_write2_b32 v1, v20, v22 offset0:2 offset1:3
	v_lshl_add_u32 v13, v21, 2, v2
	v_cndmask_b32_e64 v23, v40, v43, s4
	v_min_i32_e32 v14, v17, v24
	s_mov_b32 s0, exec_lo
	ds_write2_b32 v1, v18, v34 offset0:4 offset1:5
	ds_write2_b32 v1, v38, v23 offset0:6 offset1:7
	; wave barrier
	v_cmpx_lt_i32_e64 v19, v14
	s_cbranch_execz .LBB33_70
; %bb.67:
	v_lshl_add_u32 v15, v17, 2, v13
	s_mov_b32 s1, 0
	.p2align	6
.LBB33_68:                              ; =>This Inner Loop Header: Depth=1
	v_sub_nc_u32_e32 v16, v14, v19
	v_lshrrev_b32_e32 v16, 1, v16
	v_add_nc_u32_e32 v16, v16, v19
	v_not_b32_e32 v18, v16
	v_lshl_add_u32 v20, v16, 2, v13
	v_add_nc_u32_e32 v22, 1, v16
	v_lshl_add_u32 v18, v18, 2, v15
	ds_read_b32 v20, v20
	ds_read_b32 v18, v18 offset:128
	s_waitcnt lgkmcnt(0)
	v_cmp_lt_i32_e32 vcc_lo, v18, v20
	v_cndmask_b32_e32 v14, v14, v16, vcc_lo
	v_cndmask_b32_e32 v19, v22, v19, vcc_lo
	v_cmp_ge_i32_e32 vcc_lo, v19, v14
	s_or_b32 s1, vcc_lo, s1
	s_andn2_b32 exec_lo, exec_lo, s1
	s_cbranch_execnz .LBB33_68
; %bb.69:
	s_or_b32 exec_lo, exec_lo, s1
.LBB33_70:
	s_or_b32 exec_lo, exec_lo, s0
	v_add_nc_u32_e32 v14, v21, v17
	v_lshl_add_u32 v16, v19, 2, v13
	v_add_nc_u32_e32 v15, v12, v17
	v_add_nc_u32_e32 v18, 64, v21
	v_cmp_lt_i32_e32 vcc_lo, 31, v19
	v_sub_nc_u32_e32 v14, v14, v19
	v_sub_nc_u32_e32 v17, v15, v19
                                        ; implicit-def: $vgpr15
	v_lshl_add_u32 v20, v14, 2, v2
	ds_read_b32 v13, v16
	ds_read_b32 v14, v20 offset:128
	v_cmp_gt_i32_e64 s1, v18, v17
	s_waitcnt lgkmcnt(0)
	v_cmp_lt_i32_e64 s0, v14, v13
	s_or_b32 s0, vcc_lo, s0
	s_and_b32 vcc_lo, s1, s0
	s_xor_b32 s0, vcc_lo, -1
	s_and_saveexec_b32 s1, s0
	s_xor_b32 s0, exec_lo, s1
; %bb.71:
	ds_read_b32 v15, v16 offset:4
                                        ; implicit-def: $vgpr20
; %bb.72:
	s_or_saveexec_b32 s0, s0
	v_mov_b32_e32 v16, v14
	s_xor_b32 exec_lo, exec_lo, s0
	s_cbranch_execz .LBB33_74
; %bb.73:
	ds_read_b32 v16, v20 offset:132
	s_waitcnt lgkmcnt(1)
	v_mov_b32_e32 v15, v13
.LBB33_74:
	s_or_b32 exec_lo, exec_lo, s0
	v_add_nc_u32_e32 v21, v19, v21
	v_add_nc_u32_e32 v20, 1, v17
	s_waitcnt lgkmcnt(0)
	v_cmp_lt_i32_e64 s1, v16, v15
	v_add_nc_u32_e32 v19, 1, v21
	v_cndmask_b32_e32 v23, v17, v20, vcc_lo
	v_cndmask_b32_e32 v22, v19, v21, vcc_lo
	v_cmp_lt_i32_e64 s2, v23, v18
                                        ; implicit-def: $vgpr19
	v_cmp_ge_i32_e64 s0, v22, v12
	s_or_b32 s0, s0, s1
	s_and_b32 s0, s2, s0
	s_xor_b32 s1, s0, -1
	s_and_saveexec_b32 s2, s1
	s_xor_b32 s1, exec_lo, s2
; %bb.75:
	v_lshl_add_u32 v19, v22, 2, v2
	ds_read_b32 v19, v19 offset:4
; %bb.76:
	s_or_saveexec_b32 s1, s1
	v_mov_b32_e32 v20, v16
	s_xor_b32 exec_lo, exec_lo, s1
	s_cbranch_execz .LBB33_78
; %bb.77:
	s_waitcnt lgkmcnt(0)
	v_lshl_add_u32 v19, v23, 2, v2
	ds_read_b32 v20, v19 offset:4
	v_mov_b32_e32 v19, v15
.LBB33_78:
	s_or_b32 exec_lo, exec_lo, s1
	v_add_nc_u32_e32 v24, 1, v22
	v_add_nc_u32_e32 v25, 1, v23
	s_waitcnt lgkmcnt(0)
	v_cmp_lt_i32_e64 s2, v20, v19
	v_cndmask_b32_e64 v26, v24, v22, s0
	v_cndmask_b32_e64 v27, v23, v25, s0
                                        ; implicit-def: $vgpr24
	v_cmp_ge_i32_e64 s1, v26, v12
	v_cmp_lt_i32_e64 s3, v27, v18
	s_or_b32 s1, s1, s2
	s_and_b32 s1, s3, s1
	s_xor_b32 s2, s1, -1
	s_and_saveexec_b32 s3, s2
	s_xor_b32 s2, exec_lo, s3
; %bb.79:
	v_lshl_add_u32 v24, v26, 2, v2
	ds_read_b32 v24, v24 offset:4
; %bb.80:
	s_or_saveexec_b32 s2, s2
	v_mov_b32_e32 v25, v20
	s_xor_b32 exec_lo, exec_lo, s2
	s_cbranch_execz .LBB33_82
; %bb.81:
	s_waitcnt lgkmcnt(0)
	v_lshl_add_u32 v24, v27, 2, v2
	ds_read_b32 v25, v24 offset:4
	v_mov_b32_e32 v24, v19
.LBB33_82:
	s_or_b32 exec_lo, exec_lo, s2
	v_add_nc_u32_e32 v28, 1, v26
	v_add_nc_u32_e32 v29, 1, v27
	s_waitcnt lgkmcnt(0)
	v_cmp_lt_i32_e64 s3, v25, v24
	v_cndmask_b32_e64 v30, v28, v26, s1
	v_cndmask_b32_e64 v31, v27, v29, s1
                                        ; implicit-def: $vgpr28
	v_cmp_ge_i32_e64 s2, v30, v12
	v_cmp_lt_i32_e64 s4, v31, v18
	s_or_b32 s2, s2, s3
	s_and_b32 s2, s4, s2
	s_xor_b32 s3, s2, -1
	s_and_saveexec_b32 s4, s3
	s_xor_b32 s3, exec_lo, s4
; %bb.83:
	v_lshl_add_u32 v28, v30, 2, v2
	ds_read_b32 v28, v28 offset:4
; %bb.84:
	s_or_saveexec_b32 s3, s3
	v_mov_b32_e32 v29, v25
	s_xor_b32 exec_lo, exec_lo, s3
	s_cbranch_execz .LBB33_86
; %bb.85:
	s_waitcnt lgkmcnt(0)
	v_lshl_add_u32 v28, v31, 2, v2
	ds_read_b32 v29, v28 offset:4
	v_mov_b32_e32 v28, v24
.LBB33_86:
	s_or_b32 exec_lo, exec_lo, s3
	v_add_nc_u32_e32 v32, 1, v30
	v_add_nc_u32_e32 v33, 1, v31
	s_waitcnt lgkmcnt(0)
	v_cmp_lt_i32_e64 s4, v29, v28
                                        ; implicit-def: $vgpr34
	v_cndmask_b32_e64 v32, v32, v30, s2
	v_cndmask_b32_e64 v33, v31, v33, s2
	v_cmp_ge_i32_e64 s3, v32, v12
	v_cmp_lt_i32_e64 s5, v33, v18
	s_or_b32 s3, s3, s4
	s_and_b32 s3, s5, s3
	s_xor_b32 s4, s3, -1
	s_and_saveexec_b32 s5, s4
	s_xor_b32 s4, exec_lo, s5
; %bb.87:
	v_lshl_add_u32 v34, v32, 2, v2
	ds_read_b32 v34, v34 offset:4
; %bb.88:
	s_or_saveexec_b32 s4, s4
	v_mov_b32_e32 v35, v29
	s_xor_b32 exec_lo, exec_lo, s4
	s_cbranch_execz .LBB33_90
; %bb.89:
	s_waitcnt lgkmcnt(0)
	v_lshl_add_u32 v34, v33, 2, v2
	ds_read_b32 v35, v34 offset:4
	v_mov_b32_e32 v34, v28
.LBB33_90:
	s_or_b32 exec_lo, exec_lo, s4
	v_add_nc_u32_e32 v36, 1, v32
	v_add_nc_u32_e32 v37, 1, v33
	s_waitcnt lgkmcnt(0)
	v_cmp_lt_i32_e64 s5, v35, v34
                                        ; implicit-def: $vgpr38
	v_cndmask_b32_e64 v36, v36, v32, s3
	v_cndmask_b32_e64 v37, v33, v37, s3
	v_cmp_ge_i32_e64 s4, v36, v12
	v_cmp_lt_i32_e64 s6, v37, v18
	s_or_b32 s4, s4, s5
	s_and_b32 s4, s6, s4
	s_xor_b32 s5, s4, -1
	s_and_saveexec_b32 s6, s5
	s_xor_b32 s5, exec_lo, s6
; %bb.91:
	v_lshl_add_u32 v38, v36, 2, v2
	ds_read_b32 v38, v38 offset:4
; %bb.92:
	s_or_saveexec_b32 s5, s5
	v_mov_b32_e32 v39, v35
	s_xor_b32 exec_lo, exec_lo, s5
	s_cbranch_execz .LBB33_94
; %bb.93:
	s_waitcnt lgkmcnt(0)
	v_lshl_add_u32 v38, v37, 2, v2
	ds_read_b32 v39, v38 offset:4
	v_mov_b32_e32 v38, v34
.LBB33_94:
	s_or_b32 exec_lo, exec_lo, s5
	v_add_nc_u32_e32 v40, 1, v36
	v_add_nc_u32_e32 v41, 1, v37
	s_waitcnt lgkmcnt(0)
	v_cmp_lt_i32_e64 s6, v39, v38
	v_cndmask_b32_e64 v42, v40, v36, s4
	v_cndmask_b32_e64 v41, v37, v41, s4
                                        ; implicit-def: $vgpr40
	v_cmp_ge_i32_e64 s5, v42, v12
	v_cmp_lt_i32_e64 s7, v41, v18
	s_or_b32 s5, s5, s6
	s_and_b32 s5, s7, s5
	s_xor_b32 s6, s5, -1
	s_and_saveexec_b32 s7, s6
	s_xor_b32 s6, exec_lo, s7
; %bb.95:
	v_lshl_add_u32 v40, v42, 2, v2
	ds_read_b32 v40, v40 offset:4
; %bb.96:
	s_or_saveexec_b32 s6, s6
	v_mov_b32_e32 v43, v39
	s_xor_b32 exec_lo, exec_lo, s6
	s_cbranch_execz .LBB33_98
; %bb.97:
	s_waitcnt lgkmcnt(0)
	v_lshl_add_u32 v40, v41, 2, v2
	ds_read_b32 v43, v40 offset:4
	v_mov_b32_e32 v40, v38
.LBB33_98:
	s_or_b32 exec_lo, exec_lo, s6
	v_add_nc_u32_e32 v44, 1, v42
	v_cndmask_b32_e64 v38, v38, v39, s5
	v_add_nc_u32_e32 v39, 1, v41
	v_cndmask_b32_e64 v34, v34, v35, s4
	v_cndmask_b32_e64 v36, v36, v37, s4
	;; [unrolled: 1-line block ×5, first 2 shown]
	s_waitcnt lgkmcnt(0)
	v_cmp_lt_i32_e64 s4, v43, v40
	v_cndmask_b32_e32 v17, v21, v17, vcc_lo
	v_cmp_ge_i32_e64 s5, v35, v12
	v_cndmask_b32_e64 v22, v22, v23, s0
	v_cmp_lt_i32_e64 s6, v37, v18
	v_cndmask_b32_e64 v18, v26, v27, s1
	v_cndmask_b32_e64 v12, v30, v31, s2
	s_or_b32 s4, s5, s4
	v_cndmask_b32_e64 v32, v32, v33, s3
	s_and_b32 s4, s6, s4
	v_cndmask_b32_e64 v21, v35, v37, s4
	; wave barrier
	ds_write2_b32 v1, v4, v5 offset1:1
	ds_write2_b32 v1, v6, v7 offset0:2 offset1:3
	ds_write2_b32 v1, v8, v9 offset0:4 offset1:5
	;; [unrolled: 1-line block ×3, first 2 shown]
	v_lshl_add_u32 v4, v17, 2, v2
	v_lshl_add_u32 v5, v22, 2, v2
	;; [unrolled: 1-line block ×8, first 2 shown]
	; wave barrier
	ds_read_b32 v4, v4
	ds_read_b32 v5, v5
	;; [unrolled: 1-line block ×8, first 2 shown]
	v_and_b32_e32 v21, 0x80, v3
	v_cndmask_b32_e64 v22, v24, v25, s2
	v_and_b32_e32 v17, 0x78, v3
	v_cndmask_b32_e64 v15, v15, v16, s0
	v_cndmask_b32_e32 v13, v13, v14, vcc_lo
	v_or_b32_e32 v12, 64, v21
	v_cndmask_b32_e64 v20, v19, v20, s1
	v_cndmask_b32_e64 v18, v28, v29, s3
	; wave barrier
	v_sub_nc_u32_e64 v19, v17, 64 clamp
	v_sub_nc_u32_e32 v24, v12, v21
	ds_write2_b32 v1, v13, v15 offset1:1
	ds_write2_b32 v1, v20, v22 offset0:2 offset1:3
	v_lshl_add_u32 v13, v21, 2, v2
	v_cndmask_b32_e64 v23, v40, v43, s4
	v_min_i32_e32 v14, v17, v24
	s_mov_b32 s0, exec_lo
	ds_write2_b32 v1, v18, v34 offset0:4 offset1:5
	ds_write2_b32 v1, v38, v23 offset0:6 offset1:7
	; wave barrier
	v_cmpx_lt_i32_e64 v19, v14
	s_cbranch_execz .LBB33_102
; %bb.99:
	v_lshl_add_u32 v15, v17, 2, v13
	s_mov_b32 s1, 0
	.p2align	6
.LBB33_100:                             ; =>This Inner Loop Header: Depth=1
	v_sub_nc_u32_e32 v16, v14, v19
	v_lshrrev_b32_e32 v16, 1, v16
	v_add_nc_u32_e32 v16, v16, v19
	v_not_b32_e32 v18, v16
	v_lshl_add_u32 v20, v16, 2, v13
	v_add_nc_u32_e32 v22, 1, v16
	v_lshl_add_u32 v18, v18, 2, v15
	ds_read_b32 v20, v20
	ds_read_b32 v18, v18 offset:256
	s_waitcnt lgkmcnt(0)
	v_cmp_lt_i32_e32 vcc_lo, v18, v20
	v_cndmask_b32_e32 v14, v14, v16, vcc_lo
	v_cndmask_b32_e32 v19, v22, v19, vcc_lo
	v_cmp_ge_i32_e32 vcc_lo, v19, v14
	s_or_b32 s1, vcc_lo, s1
	s_andn2_b32 exec_lo, exec_lo, s1
	s_cbranch_execnz .LBB33_100
; %bb.101:
	s_or_b32 exec_lo, exec_lo, s1
.LBB33_102:
	s_or_b32 exec_lo, exec_lo, s0
	v_add_nc_u32_e32 v14, v21, v17
	v_lshl_add_u32 v16, v19, 2, v13
	v_add_nc_u32_e32 v15, v12, v17
	v_add_nc_u32_e32 v17, 0x80, v21
	v_cmp_lt_i32_e32 vcc_lo, 63, v19
	v_sub_nc_u32_e32 v14, v14, v19
	v_sub_nc_u32_e32 v18, v15, v19
                                        ; implicit-def: $vgpr15
	v_lshl_add_u32 v20, v14, 2, v2
	ds_read_b32 v13, v16
	ds_read_b32 v14, v20 offset:256
	v_cmp_gt_i32_e64 s1, v17, v18
	s_waitcnt lgkmcnt(0)
	v_cmp_lt_i32_e64 s0, v14, v13
	s_or_b32 s0, vcc_lo, s0
	s_and_b32 vcc_lo, s1, s0
	s_xor_b32 s0, vcc_lo, -1
	s_and_saveexec_b32 s1, s0
	s_xor_b32 s0, exec_lo, s1
; %bb.103:
	ds_read_b32 v15, v16 offset:4
                                        ; implicit-def: $vgpr20
; %bb.104:
	s_or_saveexec_b32 s0, s0
	v_mov_b32_e32 v16, v14
	s_xor_b32 exec_lo, exec_lo, s0
	s_cbranch_execz .LBB33_106
; %bb.105:
	ds_read_b32 v16, v20 offset:260
	s_waitcnt lgkmcnt(1)
	v_mov_b32_e32 v15, v13
.LBB33_106:
	s_or_b32 exec_lo, exec_lo, s0
	v_add_nc_u32_e32 v21, v19, v21
	v_add_nc_u32_e32 v20, 1, v18
	s_waitcnt lgkmcnt(0)
	v_cmp_lt_i32_e64 s1, v16, v15
	v_add_nc_u32_e32 v19, 1, v21
	v_cndmask_b32_e32 v23, v18, v20, vcc_lo
	v_cndmask_b32_e32 v22, v19, v21, vcc_lo
	v_cmp_lt_i32_e64 s2, v23, v17
                                        ; implicit-def: $vgpr19
	v_cmp_ge_i32_e64 s0, v22, v12
	s_or_b32 s0, s0, s1
	s_and_b32 s0, s2, s0
	s_xor_b32 s1, s0, -1
	s_and_saveexec_b32 s2, s1
	s_xor_b32 s1, exec_lo, s2
; %bb.107:
	v_lshl_add_u32 v19, v22, 2, v2
	ds_read_b32 v19, v19 offset:4
; %bb.108:
	s_or_saveexec_b32 s1, s1
	v_mov_b32_e32 v20, v16
	s_xor_b32 exec_lo, exec_lo, s1
	s_cbranch_execz .LBB33_110
; %bb.109:
	s_waitcnt lgkmcnt(0)
	v_lshl_add_u32 v19, v23, 2, v2
	ds_read_b32 v20, v19 offset:4
	v_mov_b32_e32 v19, v15
.LBB33_110:
	s_or_b32 exec_lo, exec_lo, s1
	v_add_nc_u32_e32 v24, 1, v22
	v_add_nc_u32_e32 v25, 1, v23
	s_waitcnt lgkmcnt(0)
	v_cmp_lt_i32_e64 s2, v20, v19
	v_cndmask_b32_e64 v26, v24, v22, s0
	v_cndmask_b32_e64 v27, v23, v25, s0
                                        ; implicit-def: $vgpr24
	v_cmp_ge_i32_e64 s1, v26, v12
	v_cmp_lt_i32_e64 s3, v27, v17
	s_or_b32 s1, s1, s2
	s_and_b32 s1, s3, s1
	s_xor_b32 s2, s1, -1
	s_and_saveexec_b32 s3, s2
	s_xor_b32 s2, exec_lo, s3
; %bb.111:
	v_lshl_add_u32 v24, v26, 2, v2
	ds_read_b32 v24, v24 offset:4
; %bb.112:
	s_or_saveexec_b32 s2, s2
	v_mov_b32_e32 v25, v20
	s_xor_b32 exec_lo, exec_lo, s2
	s_cbranch_execz .LBB33_114
; %bb.113:
	s_waitcnt lgkmcnt(0)
	v_lshl_add_u32 v24, v27, 2, v2
	ds_read_b32 v25, v24 offset:4
	v_mov_b32_e32 v24, v19
.LBB33_114:
	s_or_b32 exec_lo, exec_lo, s2
	v_add_nc_u32_e32 v28, 1, v26
	v_add_nc_u32_e32 v29, 1, v27
	s_waitcnt lgkmcnt(0)
	v_cmp_lt_i32_e64 s3, v25, v24
	v_cndmask_b32_e64 v31, v28, v26, s1
	v_cndmask_b32_e64 v32, v27, v29, s1
                                        ; implicit-def: $vgpr28
	v_cmp_ge_i32_e64 s2, v31, v12
	v_cmp_lt_i32_e64 s4, v32, v17
	s_or_b32 s2, s2, s3
	s_and_b32 s2, s4, s2
	s_xor_b32 s3, s2, -1
	s_and_saveexec_b32 s4, s3
	s_xor_b32 s3, exec_lo, s4
; %bb.115:
	v_lshl_add_u32 v28, v31, 2, v2
	ds_read_b32 v28, v28 offset:4
; %bb.116:
	s_or_saveexec_b32 s3, s3
	v_mov_b32_e32 v29, v25
	s_xor_b32 exec_lo, exec_lo, s3
	s_cbranch_execz .LBB33_118
; %bb.117:
	s_waitcnt lgkmcnt(0)
	v_lshl_add_u32 v28, v32, 2, v2
	ds_read_b32 v29, v28 offset:4
	v_mov_b32_e32 v28, v24
.LBB33_118:
	s_or_b32 exec_lo, exec_lo, s3
	v_add_nc_u32_e32 v30, 1, v31
	v_add_nc_u32_e32 v33, 1, v32
	s_waitcnt lgkmcnt(0)
	v_cmp_lt_i32_e64 s4, v29, v28
	v_cndmask_b32_e64 v35, v30, v31, s2
	v_cndmask_b32_e64 v36, v32, v33, s2
                                        ; implicit-def: $vgpr30
	v_cmp_ge_i32_e64 s3, v35, v12
	v_cmp_lt_i32_e64 s5, v36, v17
	s_or_b32 s3, s3, s4
	s_and_b32 s3, s5, s3
	s_xor_b32 s4, s3, -1
	s_and_saveexec_b32 s5, s4
	s_xor_b32 s4, exec_lo, s5
; %bb.119:
	v_lshl_add_u32 v30, v35, 2, v2
	ds_read_b32 v30, v30 offset:4
; %bb.120:
	s_or_saveexec_b32 s4, s4
	v_mov_b32_e32 v33, v29
	s_xor_b32 exec_lo, exec_lo, s4
	s_cbranch_execz .LBB33_122
; %bb.121:
	s_waitcnt lgkmcnt(0)
	v_lshl_add_u32 v30, v36, 2, v2
	ds_read_b32 v33, v30 offset:4
	v_mov_b32_e32 v30, v28
.LBB33_122:
	s_or_b32 exec_lo, exec_lo, s4
	v_add_nc_u32_e32 v34, 1, v35
	v_add_nc_u32_e32 v37, 1, v36
	s_waitcnt lgkmcnt(0)
	v_cmp_lt_i32_e64 s5, v33, v30
	v_cndmask_b32_e64 v38, v34, v35, s3
	v_cndmask_b32_e64 v39, v36, v37, s3
                                        ; implicit-def: $vgpr34
	v_cmp_ge_i32_e64 s4, v38, v12
	v_cmp_lt_i32_e64 s6, v39, v17
	s_or_b32 s4, s4, s5
	s_and_b32 s4, s6, s4
	s_xor_b32 s5, s4, -1
	s_and_saveexec_b32 s6, s5
	s_xor_b32 s5, exec_lo, s6
; %bb.123:
	v_lshl_add_u32 v34, v38, 2, v2
	ds_read_b32 v34, v34 offset:4
; %bb.124:
	s_or_saveexec_b32 s5, s5
	v_mov_b32_e32 v37, v33
	s_xor_b32 exec_lo, exec_lo, s5
	s_cbranch_execz .LBB33_126
; %bb.125:
	s_waitcnt lgkmcnt(0)
	v_lshl_add_u32 v34, v39, 2, v2
	ds_read_b32 v37, v34 offset:4
	v_mov_b32_e32 v34, v30
.LBB33_126:
	s_or_b32 exec_lo, exec_lo, s5
	v_add_nc_u32_e32 v40, 1, v38
	v_add_nc_u32_e32 v41, 1, v39
	s_waitcnt lgkmcnt(0)
	v_cmp_lt_i32_e64 s6, v37, v34
	v_cndmask_b32_e64 v42, v40, v38, s4
	v_cndmask_b32_e64 v41, v39, v41, s4
                                        ; implicit-def: $vgpr40
	v_cmp_ge_i32_e64 s5, v42, v12
	v_cmp_lt_i32_e64 s7, v41, v17
	s_or_b32 s5, s5, s6
	s_and_b32 s5, s7, s5
	s_xor_b32 s6, s5, -1
	s_and_saveexec_b32 s7, s6
	s_xor_b32 s6, exec_lo, s7
; %bb.127:
	v_lshl_add_u32 v40, v42, 2, v2
	ds_read_b32 v40, v40 offset:4
; %bb.128:
	s_or_saveexec_b32 s6, s6
	v_mov_b32_e32 v43, v37
	s_xor_b32 exec_lo, exec_lo, s6
	s_cbranch_execz .LBB33_130
; %bb.129:
	s_waitcnt lgkmcnt(0)
	v_lshl_add_u32 v40, v41, 2, v2
	ds_read_b32 v43, v40 offset:4
	v_mov_b32_e32 v40, v34
.LBB33_130:
	s_or_b32 exec_lo, exec_lo, s6
	v_add_nc_u32_e32 v44, 1, v42
	v_add_nc_u32_e32 v45, 1, v41
	v_cndmask_b32_e64 v35, v35, v36, s3
	v_cndmask_b32_e64 v31, v31, v32, s2
	s_waitcnt lgkmcnt(0)
	v_cmp_lt_i32_e64 s6, v43, v40
	v_cndmask_b32_e64 v36, v44, v42, s5
	v_cndmask_b32_e64 v32, v41, v45, s5
	;; [unrolled: 1-line block ×5, first 2 shown]
	v_cmp_ge_i32_e64 s7, v36, v12
	v_cmp_lt_i32_e64 s8, v32, v17
	v_cndmask_b32_e32 v17, v21, v18, vcc_lo
	v_cndmask_b32_e64 v12, v22, v23, s0
	s_or_b32 s6, s7, s6
	; wave barrier
	s_and_b32 s6, s8, s6
	ds_write2_b32 v1, v4, v5 offset1:1
	ds_write2_b32 v1, v6, v7 offset0:2 offset1:3
	ds_write2_b32 v1, v8, v9 offset0:4 offset1:5
	;; [unrolled: 1-line block ×3, first 2 shown]
	v_cndmask_b32_e64 v21, v36, v32, s6
	v_lshl_add_u32 v4, v17, 2, v2
	v_lshl_add_u32 v5, v12, 2, v2
	;; [unrolled: 1-line block ×8, first 2 shown]
	; wave barrier
	ds_read_b32 v4, v4
	ds_read_b32 v5, v5
	;; [unrolled: 1-line block ×8, first 2 shown]
	v_cndmask_b32_e64 v15, v15, v16, s0
	v_cndmask_b32_e32 v14, v13, v14, vcc_lo
	v_subrev_nc_u32_e64 v12, 0x80, v3 clamp
	v_min_u32_e32 v13, 0x80, v3
	v_cndmask_b32_e64 v23, v24, v25, s2
	v_cndmask_b32_e64 v19, v19, v20, s1
	;; [unrolled: 1-line block ×6, first 2 shown]
	s_mov_b32 s0, exec_lo
	; wave barrier
	ds_write2_b32 v1, v14, v15 offset1:1
	ds_write2_b32 v1, v19, v23 offset0:2 offset1:3
	ds_write2_b32 v1, v22, v21 offset0:4 offset1:5
	;; [unrolled: 1-line block ×3, first 2 shown]
	; wave barrier
	v_cmpx_lt_u32_e64 v12, v13
	s_cbranch_execz .LBB33_134
; %bb.131:
	s_mov_b32 s1, 0
	.p2align	6
.LBB33_132:                             ; =>This Inner Loop Header: Depth=1
	v_sub_nc_u32_e32 v14, v13, v12
	v_lshrrev_b32_e32 v14, 1, v14
	v_add_nc_u32_e32 v14, v14, v12
	v_not_b32_e32 v15, v14
	v_lshl_add_u32 v16, v14, 2, v2
	v_add_nc_u32_e32 v17, 1, v14
	v_lshl_add_u32 v15, v15, 2, v1
	ds_read_b32 v16, v16
	ds_read_b32 v15, v15 offset:512
	s_waitcnt lgkmcnt(0)
	v_cmp_lt_i32_e32 vcc_lo, v15, v16
	v_cndmask_b32_e32 v13, v13, v14, vcc_lo
	v_cndmask_b32_e32 v12, v17, v12, vcc_lo
	v_cmp_ge_i32_e32 vcc_lo, v12, v13
	s_or_b32 s1, vcc_lo, s1
	s_andn2_b32 exec_lo, exec_lo, s1
	s_cbranch_execnz .LBB33_132
; %bb.133:
	s_or_b32 exec_lo, exec_lo, s1
.LBB33_134:
	s_or_b32 exec_lo, exec_lo, s0
	v_sub_nc_u32_e32 v14, v3, v12
	v_lshl_add_u32 v15, v12, 2, v2
	v_cmp_lt_i32_e32 vcc_lo, 0x7f, v12
	v_lshl_add_u32 v17, v14, 2, v2
	v_add_nc_u32_e32 v16, 0x80, v14
                                        ; implicit-def: $vgpr14
	ds_read_b32 v3, v15
	ds_read_b32 v13, v17 offset:512
	v_cmp_gt_i32_e64 s1, 0x100, v16
	s_waitcnt lgkmcnt(0)
	v_cmp_lt_i32_e64 s0, v13, v3
	s_or_b32 s0, vcc_lo, s0
	s_and_b32 vcc_lo, s1, s0
	s_xor_b32 s0, vcc_lo, -1
	s_and_saveexec_b32 s1, s0
	s_xor_b32 s0, exec_lo, s1
; %bb.135:
	ds_read_b32 v14, v15 offset:4
                                        ; implicit-def: $vgpr17
; %bb.136:
	s_or_saveexec_b32 s0, s0
	v_mov_b32_e32 v15, v13
	s_xor_b32 exec_lo, exec_lo, s0
	s_cbranch_execz .LBB33_138
; %bb.137:
	ds_read_b32 v15, v17 offset:516
	s_waitcnt lgkmcnt(1)
	v_mov_b32_e32 v14, v3
.LBB33_138:
	s_or_b32 exec_lo, exec_lo, s0
	v_add_nc_u32_e32 v17, 1, v12
	v_add_nc_u32_e32 v18, 1, v16
	s_waitcnt lgkmcnt(0)
	v_cmp_lt_i32_e64 s1, v15, v14
	v_cndmask_b32_e32 v19, v17, v12, vcc_lo
	v_cndmask_b32_e32 v20, v16, v18, vcc_lo
                                        ; implicit-def: $vgpr17
	v_cmp_lt_i32_e64 s0, 0x7f, v19
	v_cmp_gt_i32_e64 s2, 0x100, v20
	s_or_b32 s0, s0, s1
	s_and_b32 s0, s2, s0
	s_xor_b32 s1, s0, -1
	s_and_saveexec_b32 s2, s1
	s_xor_b32 s1, exec_lo, s2
; %bb.139:
	v_lshl_add_u32 v17, v19, 2, v2
	ds_read_b32 v17, v17 offset:4
; %bb.140:
	s_or_saveexec_b32 s1, s1
	v_mov_b32_e32 v18, v15
	s_xor_b32 exec_lo, exec_lo, s1
	s_cbranch_execz .LBB33_142
; %bb.141:
	s_waitcnt lgkmcnt(0)
	v_lshl_add_u32 v17, v20, 2, v2
	ds_read_b32 v18, v17 offset:4
	v_mov_b32_e32 v17, v14
.LBB33_142:
	s_or_b32 exec_lo, exec_lo, s1
	v_add_nc_u32_e32 v21, 1, v19
	v_add_nc_u32_e32 v22, 1, v20
	s_waitcnt lgkmcnt(0)
	v_cmp_lt_i32_e64 s2, v18, v17
	v_cndmask_b32_e64 v23, v21, v19, s0
	v_cndmask_b32_e64 v24, v20, v22, s0
                                        ; implicit-def: $vgpr21
	v_cmp_lt_i32_e64 s1, 0x7f, v23
	v_cmp_gt_i32_e64 s3, 0x100, v24
	s_or_b32 s1, s1, s2
	s_and_b32 s1, s3, s1
	s_xor_b32 s2, s1, -1
	s_and_saveexec_b32 s3, s2
	s_xor_b32 s2, exec_lo, s3
; %bb.143:
	v_lshl_add_u32 v21, v23, 2, v2
	ds_read_b32 v21, v21 offset:4
; %bb.144:
	s_or_saveexec_b32 s2, s2
	v_mov_b32_e32 v22, v18
	s_xor_b32 exec_lo, exec_lo, s2
	s_cbranch_execz .LBB33_146
; %bb.145:
	s_waitcnt lgkmcnt(0)
	v_lshl_add_u32 v21, v24, 2, v2
	ds_read_b32 v22, v21 offset:4
	v_mov_b32_e32 v21, v17
.LBB33_146:
	s_or_b32 exec_lo, exec_lo, s2
	v_add_nc_u32_e32 v25, 1, v23
	v_add_nc_u32_e32 v26, 1, v24
	s_waitcnt lgkmcnt(0)
	v_cmp_lt_i32_e64 s3, v22, v21
	v_cndmask_b32_e64 v27, v25, v23, s1
	v_cndmask_b32_e64 v28, v24, v26, s1
                                        ; implicit-def: $vgpr25
	v_cmp_lt_i32_e64 s2, 0x7f, v27
	v_cmp_gt_i32_e64 s4, 0x100, v28
	s_or_b32 s2, s2, s3
	s_and_b32 s2, s4, s2
	s_xor_b32 s3, s2, -1
	s_and_saveexec_b32 s4, s3
	s_xor_b32 s3, exec_lo, s4
; %bb.147:
	v_lshl_add_u32 v25, v27, 2, v2
	ds_read_b32 v25, v25 offset:4
; %bb.148:
	s_or_saveexec_b32 s3, s3
	v_mov_b32_e32 v26, v22
	s_xor_b32 exec_lo, exec_lo, s3
	s_cbranch_execz .LBB33_150
; %bb.149:
	s_waitcnt lgkmcnt(0)
	v_lshl_add_u32 v25, v28, 2, v2
	ds_read_b32 v26, v25 offset:4
	v_mov_b32_e32 v25, v21
.LBB33_150:
	s_or_b32 exec_lo, exec_lo, s3
	v_add_nc_u32_e32 v29, 1, v27
	v_add_nc_u32_e32 v30, 1, v28
	s_waitcnt lgkmcnt(0)
	v_cmp_lt_i32_e64 s4, v26, v25
	v_cndmask_b32_e64 v31, v29, v27, s2
	v_cndmask_b32_e64 v32, v28, v30, s2
                                        ; implicit-def: $vgpr29
	v_cmp_lt_i32_e64 s3, 0x7f, v31
	v_cmp_gt_i32_e64 s5, 0x100, v32
	s_or_b32 s3, s3, s4
	s_and_b32 s3, s5, s3
	s_xor_b32 s4, s3, -1
	s_and_saveexec_b32 s5, s4
	s_xor_b32 s4, exec_lo, s5
; %bb.151:
	v_lshl_add_u32 v29, v31, 2, v2
	ds_read_b32 v29, v29 offset:4
; %bb.152:
	s_or_saveexec_b32 s4, s4
	v_mov_b32_e32 v30, v26
	s_xor_b32 exec_lo, exec_lo, s4
	s_cbranch_execz .LBB33_154
; %bb.153:
	s_waitcnt lgkmcnt(0)
	v_lshl_add_u32 v29, v32, 2, v2
	ds_read_b32 v30, v29 offset:4
	v_mov_b32_e32 v29, v25
.LBB33_154:
	s_or_b32 exec_lo, exec_lo, s4
	v_add_nc_u32_e32 v33, 1, v31
	v_add_nc_u32_e32 v34, 1, v32
	s_waitcnt lgkmcnt(0)
	v_cmp_lt_i32_e64 s5, v30, v29
                                        ; implicit-def: $vgpr38
	v_cndmask_b32_e64 v33, v33, v31, s3
	v_cndmask_b32_e64 v34, v32, v34, s3
	v_cmp_lt_i32_e64 s4, 0x7f, v33
	v_cmp_gt_i32_e64 s6, 0x100, v34
	s_or_b32 s4, s4, s5
	s_and_b32 s4, s6, s4
	s_xor_b32 s5, s4, -1
	s_and_saveexec_b32 s6, s5
	s_xor_b32 s5, exec_lo, s6
; %bb.155:
	v_lshl_add_u32 v35, v33, 2, v2
	ds_read_b32 v38, v35 offset:4
; %bb.156:
	s_or_saveexec_b32 s5, s5
	v_mov_b32_e32 v36, v30
	s_xor_b32 exec_lo, exec_lo, s5
	s_cbranch_execz .LBB33_158
; %bb.157:
	v_lshl_add_u32 v35, v34, 2, v2
	s_waitcnt lgkmcnt(0)
	v_mov_b32_e32 v38, v29
	ds_read_b32 v36, v35 offset:4
.LBB33_158:
	s_or_b32 exec_lo, exec_lo, s5
	v_add_nc_u32_e32 v35, 1, v33
	v_add_nc_u32_e32 v37, 1, v34
	s_waitcnt lgkmcnt(0)
	v_cmp_ge_i32_e64 s6, v36, v38
                                        ; implicit-def: $vgpr41
                                        ; implicit-def: $vgpr40
	v_cndmask_b32_e64 v42, v35, v33, s4
	v_cndmask_b32_e64 v37, v34, v37, s4
	v_cmp_gt_i32_e64 s5, 0x80, v42
	v_cmp_lt_i32_e64 s7, 0xff, v37
	s_and_b32 s5, s5, s6
	s_or_b32 s5, s7, s5
	s_and_saveexec_b32 s6, s5
	s_xor_b32 s5, exec_lo, s6
; %bb.159:
	v_lshl_add_u32 v35, v42, 2, v2
	v_add_nc_u32_e32 v40, 1, v42
	ds_read_b32 v41, v35 offset:4
; %bb.160:
	s_or_saveexec_b32 s5, s5
	v_mov_b32_e32 v35, v38
	v_mov_b32_e32 v39, v42
	s_xor_b32 exec_lo, exec_lo, s5
	s_cbranch_execz .LBB33_162
; %bb.161:
	v_lshl_add_u32 v35, v37, 2, v2
	s_waitcnt lgkmcnt(0)
	v_add_nc_u32_e32 v41, 1, v37
	v_mov_b32_e32 v39, v37
	v_mov_b32_e32 v40, v42
	ds_read_b32 v43, v35 offset:4
	v_mov_b32_e32 v35, v36
	v_mov_b32_e32 v37, v41
	;; [unrolled: 1-line block ×3, first 2 shown]
	s_waitcnt lgkmcnt(0)
	v_mov_b32_e32 v36, v43
.LBB33_162:
	s_or_b32 exec_lo, exec_lo, s5
	v_cmp_lt_i32_e64 s5, 0x7f, v40
	s_waitcnt lgkmcnt(0)
	v_cmp_lt_i32_e64 s6, v36, v41
	v_cmp_gt_i32_e64 s7, 0x100, v37
	v_cndmask_b32_e32 v12, v12, v16, vcc_lo
	v_cndmask_b32_e64 v19, v19, v20, s0
	v_cndmask_b32_e64 v23, v23, v24, s1
	s_or_b32 s5, s5, s6
	v_cndmask_b32_e64 v27, v27, v28, s2
	s_and_b32 s5, s7, s5
	v_cndmask_b32_e64 v33, v33, v34, s4
	v_cndmask_b32_e64 v31, v31, v32, s3
	;; [unrolled: 1-line block ×3, first 2 shown]
	; wave barrier
	ds_write2_b32 v1, v4, v5 offset1:1
	ds_write2_b32 v1, v6, v7 offset0:2 offset1:3
	ds_write2_b32 v1, v8, v9 offset0:4 offset1:5
	;; [unrolled: 1-line block ×3, first 2 shown]
	v_lshl_add_u32 v1, v12, 2, v2
	v_lshl_add_u32 v4, v19, 2, v2
	;; [unrolled: 1-line block ×7, first 2 shown]
	; wave barrier
	v_lshl_add_u32 v2, v20, 2, v2
	ds_read_b32 v1, v1
	ds_read_b32 v4, v4
	;; [unrolled: 1-line block ×8, first 2 shown]
	v_cndmask_b32_e32 v2, v3, v13, vcc_lo
	v_cndmask_b32_e64 v3, v14, v15, s0
	v_cndmask_b32_e64 v12, v17, v18, s1
	;; [unrolled: 1-line block ×6, first 2 shown]
	v_lshlrev_b32_e32 v0, 2, v0
	s_add_u32 s0, s22, s24
	s_addc_u32 s1, s23, s25
	s_waitcnt lgkmcnt(7)
	v_add_nc_u32_e32 v1, v1, v2
	s_waitcnt lgkmcnt(6)
	v_add_nc_u32_e32 v2, v4, v3
	;; [unrolled: 2-line block ×8, first 2 shown]
	global_store_dwordx4 v0, v[1:4], s[0:1]
	global_store_dwordx4 v0, v[5:8], s[0:1] offset:16
	s_endpgm
	.section	.rodata,"a",@progbits
	.p2align	6, 0x0
	.amdhsa_kernel _Z10sort_pairsILj256ELj32ELj8EiN10test_utils4lessEEvPKT2_PS2_T3_
		.amdhsa_group_segment_fixed_size 8224
		.amdhsa_private_segment_fixed_size 0
		.amdhsa_kernarg_size 20
		.amdhsa_user_sgpr_count 6
		.amdhsa_user_sgpr_private_segment_buffer 1
		.amdhsa_user_sgpr_dispatch_ptr 0
		.amdhsa_user_sgpr_queue_ptr 0
		.amdhsa_user_sgpr_kernarg_segment_ptr 1
		.amdhsa_user_sgpr_dispatch_id 0
		.amdhsa_user_sgpr_flat_scratch_init 0
		.amdhsa_user_sgpr_private_segment_size 0
		.amdhsa_wavefront_size32 1
		.amdhsa_uses_dynamic_stack 0
		.amdhsa_system_sgpr_private_segment_wavefront_offset 0
		.amdhsa_system_sgpr_workgroup_id_x 1
		.amdhsa_system_sgpr_workgroup_id_y 0
		.amdhsa_system_sgpr_workgroup_id_z 0
		.amdhsa_system_sgpr_workgroup_info 0
		.amdhsa_system_vgpr_workitem_id 0
		.amdhsa_next_free_vgpr 52
		.amdhsa_next_free_sgpr 26
		.amdhsa_reserve_vcc 1
		.amdhsa_reserve_flat_scratch 0
		.amdhsa_float_round_mode_32 0
		.amdhsa_float_round_mode_16_64 0
		.amdhsa_float_denorm_mode_32 3
		.amdhsa_float_denorm_mode_16_64 3
		.amdhsa_dx10_clamp 1
		.amdhsa_ieee_mode 1
		.amdhsa_fp16_overflow 0
		.amdhsa_workgroup_processor_mode 1
		.amdhsa_memory_ordered 1
		.amdhsa_forward_progress 1
		.amdhsa_shared_vgpr_count 0
		.amdhsa_exception_fp_ieee_invalid_op 0
		.amdhsa_exception_fp_denorm_src 0
		.amdhsa_exception_fp_ieee_div_zero 0
		.amdhsa_exception_fp_ieee_overflow 0
		.amdhsa_exception_fp_ieee_underflow 0
		.amdhsa_exception_fp_ieee_inexact 0
		.amdhsa_exception_int_div_zero 0
	.end_amdhsa_kernel
	.section	.text._Z10sort_pairsILj256ELj32ELj8EiN10test_utils4lessEEvPKT2_PS2_T3_,"axG",@progbits,_Z10sort_pairsILj256ELj32ELj8EiN10test_utils4lessEEvPKT2_PS2_T3_,comdat
.Lfunc_end33:
	.size	_Z10sort_pairsILj256ELj32ELj8EiN10test_utils4lessEEvPKT2_PS2_T3_, .Lfunc_end33-_Z10sort_pairsILj256ELj32ELj8EiN10test_utils4lessEEvPKT2_PS2_T3_
                                        ; -- End function
	.set _Z10sort_pairsILj256ELj32ELj8EiN10test_utils4lessEEvPKT2_PS2_T3_.num_vgpr, 52
	.set _Z10sort_pairsILj256ELj32ELj8EiN10test_utils4lessEEvPKT2_PS2_T3_.num_agpr, 0
	.set _Z10sort_pairsILj256ELj32ELj8EiN10test_utils4lessEEvPKT2_PS2_T3_.numbered_sgpr, 26
	.set _Z10sort_pairsILj256ELj32ELj8EiN10test_utils4lessEEvPKT2_PS2_T3_.num_named_barrier, 0
	.set _Z10sort_pairsILj256ELj32ELj8EiN10test_utils4lessEEvPKT2_PS2_T3_.private_seg_size, 0
	.set _Z10sort_pairsILj256ELj32ELj8EiN10test_utils4lessEEvPKT2_PS2_T3_.uses_vcc, 1
	.set _Z10sort_pairsILj256ELj32ELj8EiN10test_utils4lessEEvPKT2_PS2_T3_.uses_flat_scratch, 0
	.set _Z10sort_pairsILj256ELj32ELj8EiN10test_utils4lessEEvPKT2_PS2_T3_.has_dyn_sized_stack, 0
	.set _Z10sort_pairsILj256ELj32ELj8EiN10test_utils4lessEEvPKT2_PS2_T3_.has_recursion, 0
	.set _Z10sort_pairsILj256ELj32ELj8EiN10test_utils4lessEEvPKT2_PS2_T3_.has_indirect_call, 0
	.section	.AMDGPU.csdata,"",@progbits
; Kernel info:
; codeLenInByte = 8796
; TotalNumSgprs: 28
; NumVgprs: 52
; ScratchSize: 0
; MemoryBound: 0
; FloatMode: 240
; IeeeMode: 1
; LDSByteSize: 8224 bytes/workgroup (compile time only)
; SGPRBlocks: 0
; VGPRBlocks: 6
; NumSGPRsForWavesPerEU: 28
; NumVGPRsForWavesPerEU: 52
; Occupancy: 16
; WaveLimiterHint : 0
; COMPUTE_PGM_RSRC2:SCRATCH_EN: 0
; COMPUTE_PGM_RSRC2:USER_SGPR: 6
; COMPUTE_PGM_RSRC2:TRAP_HANDLER: 0
; COMPUTE_PGM_RSRC2:TGID_X_EN: 1
; COMPUTE_PGM_RSRC2:TGID_Y_EN: 0
; COMPUTE_PGM_RSRC2:TGID_Z_EN: 0
; COMPUTE_PGM_RSRC2:TIDIG_COMP_CNT: 0
	.section	.text._Z19sort_keys_segmentedILj256ELj32ELj8EiN10test_utils4lessEEvPKT2_PS2_PKjT3_,"axG",@progbits,_Z19sort_keys_segmentedILj256ELj32ELj8EiN10test_utils4lessEEvPKT2_PS2_PKjT3_,comdat
	.protected	_Z19sort_keys_segmentedILj256ELj32ELj8EiN10test_utils4lessEEvPKT2_PS2_PKjT3_ ; -- Begin function _Z19sort_keys_segmentedILj256ELj32ELj8EiN10test_utils4lessEEvPKT2_PS2_PKjT3_
	.globl	_Z19sort_keys_segmentedILj256ELj32ELj8EiN10test_utils4lessEEvPKT2_PS2_PKjT3_
	.p2align	8
	.type	_Z19sort_keys_segmentedILj256ELj32ELj8EiN10test_utils4lessEEvPKT2_PS2_PKjT3_,@function
_Z19sort_keys_segmentedILj256ELj32ELj8EiN10test_utils4lessEEvPKT2_PS2_PKjT3_: ; @_Z19sort_keys_segmentedILj256ELj32ELj8EiN10test_utils4lessEEvPKT2_PS2_PKjT3_
; %bb.0:
	s_clause 0x1
	s_load_dwordx2 s[0:1], s[4:5], 0x10
	s_load_dwordx4 s[16:19], s[4:5], 0x0
	v_lshrrev_b32_e32 v8, 5, v0
	v_mov_b32_e32 v2, 0
	v_mbcnt_lo_u32_b32 v0, -1, 0
	v_lshl_or_b32 v1, s6, 3, v8
	v_mov_b32_e32 v10, v2
	v_lshlrev_b32_e32 v6, 3, v0
	v_mov_b32_e32 v16, v2
	v_mov_b32_e32 v17, v2
	v_lshlrev_b64 v[3:4], 2, v[1:2]
	v_lshlrev_b32_e32 v1, 8, v1
	v_mov_b32_e32 v15, v2
	v_mov_b32_e32 v12, v2
	v_mov_b32_e32 v13, v2
	v_mov_b32_e32 v14, v2
	s_waitcnt lgkmcnt(0)
	v_add_co_u32 v3, vcc_lo, s0, v3
	v_add_co_ci_u32_e64 v4, null, s1, v4, vcc_lo
	global_load_dword v5, v[3:4], off
	v_lshlrev_b32_e32 v3, 5, v0
	v_lshlrev_b64 v[0:1], 2, v[1:2]
	v_add_co_u32 v4, vcc_lo, s16, v0
	v_add_co_ci_u32_e64 v7, null, s17, v1, vcc_lo
	v_add_co_u32 v3, vcc_lo, v4, v3
	v_add_co_ci_u32_e64 v4, null, 0, v7, vcc_lo
	s_waitcnt vmcnt(0)
	v_cmp_lt_u32_e32 vcc_lo, v6, v5
	s_and_saveexec_b32 s0, vcc_lo
	s_cbranch_execz .LBB34_2
; %bb.1:
	global_load_dword v10, v[3:4], off
	v_mov_b32_e32 v16, v2
	v_mov_b32_e32 v17, v2
	;; [unrolled: 1-line block ×6, first 2 shown]
.LBB34_2:
	s_or_b32 exec_lo, exec_lo, s0
	v_or_b32_e32 v7, 1, v6
	v_cmp_lt_u32_e64 s0, v7, v5
	s_and_saveexec_b32 s1, s0
	s_cbranch_execz .LBB34_4
; %bb.3:
	global_load_dword v2, v[3:4], off offset:4
.LBB34_4:
	s_or_b32 exec_lo, exec_lo, s1
	v_or_b32_e32 v9, 2, v6
	v_cmp_lt_u32_e64 s1, v9, v5
	s_and_saveexec_b32 s2, s1
	s_cbranch_execz .LBB34_6
; %bb.5:
	global_load_dword v16, v[3:4], off offset:8
.LBB34_6:
	;; [unrolled: 8-line block ×7, first 2 shown]
	s_or_b32 exec_lo, exec_lo, s7
	v_cmp_lt_i32_e64 s8, v20, v5
	v_cmp_lt_i32_e64 s9, v21, v5
	;; [unrolled: 1-line block ×6, first 2 shown]
	s_or_b32 s8, s9, s8
	s_waitcnt vmcnt(0)
	v_cndmask_b32_e64 v13, 0x7fffffff, v13, s9
	v_cndmask_b32_e64 v12, 0x7fffffff, v12, s8
	s_or_b32 s8, s8, s11
	s_mov_b32 s9, exec_lo
	v_cndmask_b32_e64 v15, 0x7fffffff, v15, s8
	s_or_b32 s8, s8, s12
	v_cndmask_b32_e64 v17, 0x7fffffff, v17, s8
	s_or_b32 s8, s8, s10
	s_brev_b32 s10, -2
	s_or_b32 s7, s8, s7
	v_cndmask_b32_e64 v16, 0x7fffffff, v16, s8
	v_cndmask_b32_e64 v2, 0x7fffffff, v2, s7
	v_cmp_lt_i32_e64 s8, v19, v5
	v_cmpx_ge_i32_e64 v19, v5
; %bb.17:
	v_cmp_lt_i32_e64 s7, v6, v5
	v_mov_b32_e32 v14, s10
	s_andn2_b32 s8, s8, exec_lo
	s_and_b32 s7, s7, exec_lo
	s_or_b32 s8, s8, s7
; %bb.18:
	s_or_b32 exec_lo, exec_lo, s9
	s_and_saveexec_b32 s10, s8
	s_cbranch_execz .LBB34_22
; %bb.19:
	v_cmp_lt_i32_e64 s7, v2, v10
	v_min_i32_e32 v4, v2, v10
	v_cmp_lt_i32_e64 s8, v17, v16
	v_max_i32_e32 v7, v2, v10
	v_max_i32_e32 v11, v17, v16
	v_cndmask_b32_e64 v3, v10, v2, s7
	v_cndmask_b32_e64 v2, v2, v10, s7
	v_cmp_lt_i32_e64 s7, v12, v15
	v_cndmask_b32_e64 v9, v17, v16, s8
	v_cndmask_b32_e64 v10, v16, v17, s8
	v_min_i32_e32 v16, v17, v16
	v_max_i32_e32 v19, v12, v15
	v_cndmask_b32_e64 v17, v12, v15, s7
	v_cndmask_b32_e64 v18, v15, v12, s7
	v_cmp_lt_i32_e64 s7, v14, v13
	v_min_i32_e32 v12, v12, v15
	v_cmp_lt_i32_e64 s8, v16, v7
	v_max_i32_e32 v21, v14, v13
	v_cndmask_b32_e64 v15, v14, v13, s7
	v_cndmask_b32_e64 v20, v13, v14, s7
	v_min_i32_e32 v13, v14, v13
	v_cndmask_b32_e64 v10, v10, v7, s8
	v_cndmask_b32_e64 v2, v2, v16, s8
	v_cmp_lt_i32_e64 s7, v12, v11
	v_max_i32_e32 v14, v16, v7
	v_cmp_lt_i32_e64 s8, v13, v19
	v_min_i32_e32 v7, v16, v7
	v_max_i32_e32 v22, v12, v11
	v_cndmask_b32_e64 v18, v18, v11, s7
	v_cndmask_b32_e64 v9, v9, v12, s7
	v_min_i32_e32 v11, v12, v11
	v_cndmask_b32_e64 v17, v17, v13, s8
	v_cmp_lt_i32_e64 s7, v16, v4
	v_max_i32_e32 v16, v13, v19
	v_min_i32_e32 v13, v13, v19
	v_cndmask_b32_e64 v12, v20, v19, s8
	v_cmp_lt_i32_e64 s8, v11, v14
	v_cndmask_b32_e64 v3, v3, v7, s7
	v_cndmask_b32_e64 v2, v2, v4, s7
	v_cndmask_b32_e64 v20, v4, v7, s7
	v_cndmask_b32_e64 v4, v7, v4, s7
	v_cmp_lt_i32_e64 s7, v13, v22
	v_cndmask_b32_e64 v7, v9, v14, s8
	v_cndmask_b32_e64 v9, v10, v11, s8
	v_max_i32_e32 v10, v11, v14
	v_min_i32_e32 v11, v11, v14
	v_cndmask_b32_e64 v14, v17, v22, s7
	v_cmp_gt_i32_e64 s8, v19, v21
	v_cndmask_b32_e64 v17, v18, v13, s7
	v_max_i32_e32 v18, v13, v22
	v_min_i32_e32 v13, v13, v22
	v_cmp_lt_i32_e64 s7, v11, v4
	v_cndmask_b32_e64 v15, v15, v16, s8
	v_cndmask_b32_e64 v12, v12, v21, s8
	;; [unrolled: 1-line block ×4, first 2 shown]
	v_cmp_lt_i32_e64 s8, v13, v10
	v_cndmask_b32_e64 v9, v9, v4, s7
	v_cndmask_b32_e64 v2, v2, v11, s7
	v_max_i32_e32 v21, v11, v4
	v_min_i32_e32 v4, v11, v4
	v_cndmask_b32_e64 v11, v17, v10, s8
	v_cmp_lt_i32_e64 s7, v16, v18
	v_max_i32_e32 v17, v13, v10
	v_min_i32_e32 v10, v13, v10
	v_cndmask_b32_e64 v7, v7, v13, s8
	v_cmp_lt_i32_e64 s8, v4, v20
	v_cndmask_b32_e64 v12, v12, v18, s7
	v_cndmask_b32_e64 v13, v14, v16, s7
	v_max_i32_e32 v14, v16, v18
	v_min_i32_e32 v16, v16, v18
	v_cmp_lt_i32_e64 s7, v10, v21
	v_cndmask_b32_e64 v3, v3, v4, s8
	v_cndmask_b32_e64 v2, v2, v20, s8
	v_min_i32_e32 v18, v4, v20
	v_max_i32_e32 v4, v4, v20
	v_cndmask_b32_e64 v7, v7, v21, s7
	v_cmp_lt_i32_e64 s8, v16, v17
	v_cndmask_b32_e64 v9, v9, v10, s7
	v_max_i32_e32 v20, v10, v21
	v_min_i32_e32 v10, v10, v21
	v_cmp_lt_i32_e64 s7, v19, v14
	v_cndmask_b32_e64 v13, v13, v17, s8
	v_cndmask_b32_e64 v11, v11, v16, s8
	v_max_i32_e32 v21, v16, v17
	v_min_i32_e32 v16, v16, v17
	v_cndmask_b32_e64 v15, v15, v14, s7
	v_cmp_lt_i32_e64 s8, v10, v4
	v_max_i32_e32 v17, v19, v14
	v_min_i32_e32 v14, v19, v14
	v_cndmask_b32_e64 v12, v12, v19, s7
	v_cmp_lt_i32_e64 s7, v16, v20
	v_cndmask_b32_e64 v2, v2, v10, s8
	v_cndmask_b32_e64 v9, v9, v4, s8
	v_cmp_lt_i32_e64 s8, v14, v21
	v_max_i32_e32 v19, v10, v4
	v_min_i32_e32 v4, v10, v4
	v_cndmask_b32_e64 v11, v11, v20, s7
	v_cndmask_b32_e64 v7, v7, v16, s7
	v_max_i32_e32 v22, v16, v20
	v_min_i32_e32 v16, v16, v20
	v_cndmask_b32_e64 v20, v12, v21, s8
	v_cndmask_b32_e64 v12, v13, v14, s8
	v_cmp_lt_i32_e64 s7, v10, v18
	v_min_i32_e32 v13, v14, v21
	v_cmp_lt_i32_e64 s8, v16, v19
	v_max_i32_e32 v23, v14, v21
	v_max_i32_e32 v24, v16, v19
	v_cndmask_b32_e64 v10, v3, v4, s7
	v_cndmask_b32_e64 v2, v2, v18, s7
	;; [unrolled: 1-line block ×3, first 2 shown]
	v_cmp_lt_i32_e64 s7, v13, v22
	v_cndmask_b32_e64 v7, v7, v19, s8
	v_min_i32_e32 v19, v16, v19
	v_cndmask_b32_e64 v9, v9, v16, s8
	v_max_i32_e32 v3, v13, v22
	v_cndmask_b32_e64 v12, v12, v22, s7
	v_cndmask_b32_e64 v11, v11, v13, s7
	v_cmp_gt_i32_e64 s7, v21, v17
	v_min_i32_e32 v21, v13, v22
	v_cmp_lt_i32_e64 s8, v19, v18
	v_cndmask_b32_e64 v14, v15, v23, s7
	v_cmp_lt_i32_e64 s9, v21, v24
	v_cndmask_b32_e64 v13, v20, v17, s7
	v_cndmask_b32_e64 v4, v23, v17, s7
	;; [unrolled: 1-line block ×6, first 2 shown]
	s_mov_b32 s8, exec_lo
	v_cmpx_lt_i32_e64 v4, v3
; %bb.20:
	v_mov_b32_e32 v12, v4
	v_mov_b32_e32 v13, v3
; %bb.21:
	s_or_b32 exec_lo, exec_lo, s8
.LBB34_22:
	s_or_b32 exec_lo, exec_lo, s10
	v_and_b32_e32 v3, 0xf0, v6
	v_and_b32_e32 v4, 8, v6
	; wave barrier
	s_mov_b32 s9, 0
	v_min_i32_e32 v18, v5, v3
	v_min_i32_e32 v19, v5, v4
	v_mul_u32_u24_e32 v4, 0x404, v8
	s_mov_b32 s8, exec_lo
	v_add_nc_u32_e32 v3, 8, v18
	v_lshlrev_b32_e32 v23, 2, v18
	v_min_i32_e32 v11, v5, v3
	v_add_nc_u32_e32 v3, 8, v11
	v_sub_nc_u32_e32 v22, v11, v18
	v_min_i32_e32 v9, v5, v3
	v_lshlrev_b32_e32 v3, 2, v6
	v_sub_nc_u32_e32 v20, v9, v11
	v_mad_u32_u24 v7, 0x404, v8, v3
	ds_write2_b32 v7, v10, v2 offset1:1
	ds_write2_b32 v7, v16, v17 offset0:2 offset1:3
	ds_write2_b32 v7, v15, v12 offset0:4 offset1:5
	v_sub_nc_u32_e32 v21, v19, v20
	v_cmp_ge_i32_e64 s7, v19, v20
	v_mad_u32_u24 v2, 0x404, v8, v23
	ds_write2_b32 v7, v13, v14 offset0:6 offset1:7
	; wave barrier
	v_cndmask_b32_e64 v20, 0, v21, s7
	v_min_i32_e32 v21, v19, v22
	v_cmpx_lt_i32_e64 v20, v21
	s_cbranch_execz .LBB34_26
; %bb.23:
	v_lshlrev_b32_e32 v8, 2, v11
	v_lshlrev_b32_e32 v10, 2, v19
	v_add3_u32 v8, v4, v8, v10
	.p2align	6
.LBB34_24:                              ; =>This Inner Loop Header: Depth=1
	v_sub_nc_u32_e32 v10, v21, v20
	v_lshrrev_b32_e32 v10, 1, v10
	v_add_nc_u32_e32 v10, v10, v20
	v_not_b32_e32 v12, v10
	v_lshl_add_u32 v13, v10, 2, v2
	v_add_nc_u32_e32 v14, 1, v10
	v_lshl_add_u32 v12, v12, 2, v8
	ds_read_b32 v13, v13
	ds_read_b32 v12, v12
	s_waitcnt lgkmcnt(0)
	v_cmp_lt_i32_e64 s7, v12, v13
	v_cndmask_b32_e64 v21, v21, v10, s7
	v_cndmask_b32_e64 v20, v14, v20, s7
	v_cmp_ge_i32_e64 s7, v20, v21
	s_or_b32 s9, s7, s9
	s_andn2_b32 exec_lo, exec_lo, s9
	s_cbranch_execnz .LBB34_24
; %bb.25:
	s_or_b32 exec_lo, exec_lo, s9
.LBB34_26:
	s_or_b32 exec_lo, exec_lo, s8
	v_add_nc_u32_e32 v8, v11, v19
	v_lshl_add_u32 v13, v20, 2, v2
	v_add_nc_u32_e32 v2, v20, v18
                                        ; implicit-def: $vgpr12
	v_sub_nc_u32_e32 v14, v8, v20
	v_cmp_le_i32_e64 s7, v11, v2
	v_lshl_add_u32 v15, v14, 2, v4
	v_cmp_gt_i32_e64 s9, v9, v14
	ds_read_b32 v8, v13
	ds_read_b32 v10, v15
	s_waitcnt lgkmcnt(0)
	v_cmp_lt_i32_e64 s8, v10, v8
	s_or_b32 s7, s7, s8
	s_and_b32 s7, s9, s7
	s_xor_b32 s8, s7, -1
	s_and_saveexec_b32 s9, s8
	s_xor_b32 s8, exec_lo, s9
; %bb.27:
	ds_read_b32 v12, v13 offset:4
                                        ; implicit-def: $vgpr15
; %bb.28:
	s_or_saveexec_b32 s8, s8
	v_mov_b32_e32 v13, v10
	s_xor_b32 exec_lo, exec_lo, s8
	s_cbranch_execz .LBB34_30
; %bb.29:
	ds_read_b32 v13, v15 offset:4
	s_waitcnt lgkmcnt(1)
	v_mov_b32_e32 v12, v8
.LBB34_30:
	s_or_b32 exec_lo, exec_lo, s8
	v_add_nc_u32_e32 v15, 1, v2
	v_add_nc_u32_e32 v17, 1, v14
	s_waitcnt lgkmcnt(0)
	v_cmp_lt_i32_e64 s9, v13, v12
	v_cndmask_b32_e64 v16, v15, v2, s7
	v_cndmask_b32_e64 v2, v14, v17, s7
                                        ; implicit-def: $vgpr14
	v_cmp_ge_i32_e64 s8, v16, v11
	v_cmp_lt_i32_e64 s10, v2, v9
	s_or_b32 s8, s8, s9
	s_and_b32 s8, s10, s8
	s_xor_b32 s9, s8, -1
	s_and_saveexec_b32 s10, s9
	s_xor_b32 s9, exec_lo, s10
; %bb.31:
	v_lshl_add_u32 v14, v16, 2, v4
	ds_read_b32 v14, v14 offset:4
; %bb.32:
	s_or_saveexec_b32 s9, s9
	v_mov_b32_e32 v15, v13
	s_xor_b32 exec_lo, exec_lo, s9
	s_cbranch_execz .LBB34_34
; %bb.33:
	s_waitcnt lgkmcnt(0)
	v_lshl_add_u32 v14, v2, 2, v4
	ds_read_b32 v15, v14 offset:4
	v_mov_b32_e32 v14, v12
.LBB34_34:
	s_or_b32 exec_lo, exec_lo, s9
	v_add_nc_u32_e32 v17, 1, v16
	v_add_nc_u32_e32 v19, 1, v2
	s_waitcnt lgkmcnt(0)
	v_cmp_lt_i32_e64 s10, v15, v14
	v_cndmask_b32_e64 v18, v17, v16, s8
	v_cndmask_b32_e64 v2, v2, v19, s8
                                        ; implicit-def: $vgpr16
	v_cmp_ge_i32_e64 s9, v18, v11
	v_cmp_lt_i32_e64 s11, v2, v9
	s_or_b32 s9, s9, s10
	s_and_b32 s9, s11, s9
	s_xor_b32 s10, s9, -1
	s_and_saveexec_b32 s11, s10
	s_xor_b32 s10, exec_lo, s11
; %bb.35:
	v_lshl_add_u32 v16, v18, 2, v4
	ds_read_b32 v16, v16 offset:4
; %bb.36:
	s_or_saveexec_b32 s10, s10
	v_mov_b32_e32 v17, v15
	s_xor_b32 exec_lo, exec_lo, s10
	s_cbranch_execz .LBB34_38
; %bb.37:
	s_waitcnt lgkmcnt(0)
	v_lshl_add_u32 v16, v2, 2, v4
	ds_read_b32 v17, v16 offset:4
	v_mov_b32_e32 v16, v14
.LBB34_38:
	s_or_b32 exec_lo, exec_lo, s10
	v_add_nc_u32_e32 v19, 1, v18
	v_add_nc_u32_e32 v21, 1, v2
	s_waitcnt lgkmcnt(0)
	v_cmp_lt_i32_e64 s11, v17, v16
	v_cndmask_b32_e64 v20, v19, v18, s9
	v_cndmask_b32_e64 v2, v2, v21, s9
                                        ; implicit-def: $vgpr18
	v_cmp_ge_i32_e64 s10, v20, v11
	v_cmp_lt_i32_e64 s12, v2, v9
	s_or_b32 s10, s10, s11
	s_and_b32 s10, s12, s10
	s_xor_b32 s11, s10, -1
	s_and_saveexec_b32 s12, s11
	s_xor_b32 s11, exec_lo, s12
; %bb.39:
	v_lshl_add_u32 v18, v20, 2, v4
	ds_read_b32 v18, v18 offset:4
; %bb.40:
	s_or_saveexec_b32 s11, s11
	v_mov_b32_e32 v19, v17
	s_xor_b32 exec_lo, exec_lo, s11
	s_cbranch_execz .LBB34_42
; %bb.41:
	s_waitcnt lgkmcnt(0)
	v_lshl_add_u32 v18, v2, 2, v4
	ds_read_b32 v19, v18 offset:4
	v_mov_b32_e32 v18, v16
.LBB34_42:
	s_or_b32 exec_lo, exec_lo, s11
	v_add_nc_u32_e32 v21, 1, v20
	v_add_nc_u32_e32 v23, 1, v2
	s_waitcnt lgkmcnt(0)
	v_cmp_lt_i32_e64 s12, v19, v18
	v_cndmask_b32_e64 v22, v21, v20, s10
	v_cndmask_b32_e64 v2, v2, v23, s10
                                        ; implicit-def: $vgpr20
	v_cmp_ge_i32_e64 s11, v22, v11
	v_cmp_lt_i32_e64 s13, v2, v9
	s_or_b32 s11, s11, s12
	s_and_b32 s11, s13, s11
	s_xor_b32 s12, s11, -1
	s_and_saveexec_b32 s13, s12
	s_xor_b32 s12, exec_lo, s13
; %bb.43:
	v_lshl_add_u32 v20, v22, 2, v4
	ds_read_b32 v20, v20 offset:4
; %bb.44:
	s_or_saveexec_b32 s12, s12
	v_mov_b32_e32 v21, v19
	s_xor_b32 exec_lo, exec_lo, s12
	s_cbranch_execz .LBB34_46
; %bb.45:
	s_waitcnt lgkmcnt(0)
	v_lshl_add_u32 v20, v2, 2, v4
	ds_read_b32 v21, v20 offset:4
	v_mov_b32_e32 v20, v18
.LBB34_46:
	s_or_b32 exec_lo, exec_lo, s12
	v_add_nc_u32_e32 v23, 1, v22
	v_add_nc_u32_e32 v25, 1, v2
	s_waitcnt lgkmcnt(0)
	v_cmp_lt_i32_e64 s13, v21, v20
	v_cndmask_b32_e64 v24, v23, v22, s11
	v_cndmask_b32_e64 v22, v2, v25, s11
                                        ; implicit-def: $vgpr2
	v_cmp_ge_i32_e64 s12, v24, v11
	v_cmp_lt_i32_e64 s14, v22, v9
	s_or_b32 s12, s12, s13
	s_and_b32 s12, s14, s12
	s_xor_b32 s13, s12, -1
	s_and_saveexec_b32 s14, s13
	s_xor_b32 s13, exec_lo, s14
; %bb.47:
	v_lshl_add_u32 v2, v24, 2, v4
	ds_read_b32 v2, v2 offset:4
; %bb.48:
	s_or_saveexec_b32 s13, s13
	v_mov_b32_e32 v23, v21
	s_xor_b32 exec_lo, exec_lo, s13
	s_cbranch_execz .LBB34_50
; %bb.49:
	s_waitcnt lgkmcnt(0)
	v_lshl_add_u32 v2, v22, 2, v4
	ds_read_b32 v23, v2 offset:4
	v_mov_b32_e32 v2, v20
.LBB34_50:
	s_or_b32 exec_lo, exec_lo, s13
	v_add_nc_u32_e32 v25, 1, v24
	v_add_nc_u32_e32 v27, 1, v22
	s_waitcnt lgkmcnt(0)
	v_cmp_lt_i32_e64 s14, v23, v2
	v_cndmask_b32_e64 v26, v25, v24, s12
	v_cndmask_b32_e64 v25, v22, v27, s12
                                        ; implicit-def: $vgpr24
	v_cmp_ge_i32_e64 s13, v26, v11
	v_cmp_lt_i32_e64 s15, v25, v9
	s_or_b32 s13, s13, s14
	s_and_b32 s13, s15, s13
	s_xor_b32 s14, s13, -1
	s_and_saveexec_b32 s15, s14
	s_xor_b32 s14, exec_lo, s15
; %bb.51:
	v_lshl_add_u32 v22, v26, 2, v4
	ds_read_b32 v24, v22 offset:4
; %bb.52:
	s_or_saveexec_b32 s14, s14
	v_mov_b32_e32 v27, v23
	s_xor_b32 exec_lo, exec_lo, s14
	s_cbranch_execz .LBB34_54
; %bb.53:
	v_lshl_add_u32 v22, v25, 2, v4
	s_waitcnt lgkmcnt(0)
	v_mov_b32_e32 v24, v2
	ds_read_b32 v27, v22 offset:4
.LBB34_54:
	s_or_b32 exec_lo, exec_lo, s14
	v_and_b32_e32 v22, 0xe0, v6
	v_cndmask_b32_e64 v23, v2, v23, s13
	v_add_nc_u32_e32 v30, 1, v26
	v_add_nc_u32_e32 v29, 1, v25
	v_cndmask_b32_e64 v14, v14, v15, s9
	v_min_i32_e32 v22, v5, v22
	v_cndmask_b32_e64 v13, v12, v13, s8
	v_cndmask_b32_e64 v12, v30, v26, s13
	;; [unrolled: 1-line block ×4, first 2 shown]
	v_add_nc_u32_e32 v28, 16, v22
	v_and_b32_e32 v8, 24, v6
	s_waitcnt lgkmcnt(0)
	v_cmp_lt_i32_e64 s7, v27, v24
	v_cmp_ge_i32_e64 s8, v12, v11
	v_cndmask_b32_e64 v18, v18, v19, s11
	v_min_i32_e32 v2, v5, v28
	v_min_i32_e32 v8, v5, v8
	v_cndmask_b32_e64 v20, v20, v21, s12
	s_or_b32 s7, s8, s7
	s_mov_b32 s8, exec_lo
	v_add_nc_u32_e32 v15, 16, v2
	; wave barrier
	ds_write2_b32 v7, v17, v13 offset1:1
	ds_write2_b32 v7, v14, v16 offset0:2 offset1:3
	ds_write2_b32 v7, v18, v20 offset0:4 offset1:5
	v_min_i32_e32 v10, v5, v15
	v_cndmask_b32_e64 v15, v25, v29, s13
	v_sub_nc_u32_e32 v11, v10, v2
	v_cmp_lt_i32_e64 s9, v15, v9
	v_sub_nc_u32_e32 v15, v2, v22
	v_sub_nc_u32_e32 v9, v8, v11
	s_and_b32 s7, s9, s7
	s_mov_b32 s9, 0
	v_cndmask_b32_e64 v19, v24, v27, s7
	v_cmp_ge_i32_e64 s7, v8, v11
	v_min_i32_e32 v11, v8, v15
	ds_write2_b32 v7, v23, v19 offset0:6 offset1:7
	v_cndmask_b32_e64 v12, 0, v9, s7
	v_lshl_add_u32 v9, v22, 2, v4
	; wave barrier
	v_cmpx_lt_i32_e64 v12, v11
	s_cbranch_execz .LBB34_58
; %bb.55:
	v_lshlrev_b32_e32 v13, 2, v2
	v_lshlrev_b32_e32 v14, 2, v8
	v_add3_u32 v13, v4, v13, v14
	.p2align	6
.LBB34_56:                              ; =>This Inner Loop Header: Depth=1
	v_sub_nc_u32_e32 v14, v11, v12
	v_lshrrev_b32_e32 v14, 1, v14
	v_add_nc_u32_e32 v14, v14, v12
	v_not_b32_e32 v15, v14
	v_lshl_add_u32 v16, v14, 2, v9
	v_add_nc_u32_e32 v17, 1, v14
	v_lshl_add_u32 v15, v15, 2, v13
	ds_read_b32 v16, v16
	ds_read_b32 v15, v15
	s_waitcnt lgkmcnt(0)
	v_cmp_lt_i32_e64 s7, v15, v16
	v_cndmask_b32_e64 v11, v11, v14, s7
	v_cndmask_b32_e64 v12, v17, v12, s7
	v_cmp_ge_i32_e64 s7, v12, v11
	s_or_b32 s9, s7, s9
	s_andn2_b32 exec_lo, exec_lo, s9
	s_cbranch_execnz .LBB34_56
; %bb.57:
	s_or_b32 exec_lo, exec_lo, s9
.LBB34_58:
	s_or_b32 exec_lo, exec_lo, s8
	v_add_nc_u32_e32 v8, v2, v8
	v_lshl_add_u32 v13, v12, 2, v9
	v_add_nc_u32_e32 v14, v12, v22
	v_sub_nc_u32_e32 v8, v8, v12
                                        ; implicit-def: $vgpr12
	v_cmp_le_i32_e64 s7, v2, v14
	v_lshl_add_u32 v15, v8, 2, v4
	v_cmp_gt_i32_e64 s9, v10, v8
	ds_read_b32 v9, v13
	ds_read_b32 v11, v15
	s_waitcnt lgkmcnt(0)
	v_cmp_lt_i32_e64 s8, v11, v9
	s_or_b32 s7, s7, s8
	s_and_b32 s7, s9, s7
	s_xor_b32 s8, s7, -1
	s_and_saveexec_b32 s9, s8
	s_xor_b32 s8, exec_lo, s9
; %bb.59:
	ds_read_b32 v12, v13 offset:4
                                        ; implicit-def: $vgpr15
; %bb.60:
	s_or_saveexec_b32 s8, s8
	v_mov_b32_e32 v13, v11
	s_xor_b32 exec_lo, exec_lo, s8
	s_cbranch_execz .LBB34_62
; %bb.61:
	ds_read_b32 v13, v15 offset:4
	s_waitcnt lgkmcnt(1)
	v_mov_b32_e32 v12, v9
.LBB34_62:
	s_or_b32 exec_lo, exec_lo, s8
	v_add_nc_u32_e32 v15, 1, v14
	v_add_nc_u32_e32 v17, 1, v8
	s_waitcnt lgkmcnt(0)
	v_cmp_lt_i32_e64 s9, v13, v12
	v_cndmask_b32_e64 v16, v15, v14, s7
	v_cndmask_b32_e64 v8, v8, v17, s7
                                        ; implicit-def: $vgpr14
	v_cmp_ge_i32_e64 s8, v16, v2
	v_cmp_lt_i32_e64 s10, v8, v10
	s_or_b32 s8, s8, s9
	s_and_b32 s8, s10, s8
	s_xor_b32 s9, s8, -1
	s_and_saveexec_b32 s10, s9
	s_xor_b32 s9, exec_lo, s10
; %bb.63:
	v_lshl_add_u32 v14, v16, 2, v4
	ds_read_b32 v14, v14 offset:4
; %bb.64:
	s_or_saveexec_b32 s9, s9
	v_mov_b32_e32 v15, v13
	s_xor_b32 exec_lo, exec_lo, s9
	s_cbranch_execz .LBB34_66
; %bb.65:
	s_waitcnt lgkmcnt(0)
	v_lshl_add_u32 v14, v8, 2, v4
	ds_read_b32 v15, v14 offset:4
	v_mov_b32_e32 v14, v12
.LBB34_66:
	s_or_b32 exec_lo, exec_lo, s9
	v_add_nc_u32_e32 v17, 1, v16
	v_add_nc_u32_e32 v19, 1, v8
	s_waitcnt lgkmcnt(0)
	v_cmp_lt_i32_e64 s10, v15, v14
	v_cndmask_b32_e64 v18, v17, v16, s8
	v_cndmask_b32_e64 v8, v8, v19, s8
                                        ; implicit-def: $vgpr16
	v_cmp_ge_i32_e64 s9, v18, v2
	v_cmp_lt_i32_e64 s11, v8, v10
	s_or_b32 s9, s9, s10
	s_and_b32 s9, s11, s9
	s_xor_b32 s10, s9, -1
	s_and_saveexec_b32 s11, s10
	s_xor_b32 s10, exec_lo, s11
; %bb.67:
	v_lshl_add_u32 v16, v18, 2, v4
	ds_read_b32 v16, v16 offset:4
; %bb.68:
	s_or_saveexec_b32 s10, s10
	v_mov_b32_e32 v17, v15
	s_xor_b32 exec_lo, exec_lo, s10
	s_cbranch_execz .LBB34_70
; %bb.69:
	s_waitcnt lgkmcnt(0)
	v_lshl_add_u32 v16, v8, 2, v4
	ds_read_b32 v17, v16 offset:4
	v_mov_b32_e32 v16, v14
.LBB34_70:
	s_or_b32 exec_lo, exec_lo, s10
	v_add_nc_u32_e32 v19, 1, v18
	v_add_nc_u32_e32 v21, 1, v8
	s_waitcnt lgkmcnt(0)
	v_cmp_lt_i32_e64 s11, v17, v16
	v_cndmask_b32_e64 v20, v19, v18, s9
	v_cndmask_b32_e64 v8, v8, v21, s9
                                        ; implicit-def: $vgpr18
	v_cmp_ge_i32_e64 s10, v20, v2
	v_cmp_lt_i32_e64 s12, v8, v10
	s_or_b32 s10, s10, s11
	s_and_b32 s10, s12, s10
	s_xor_b32 s11, s10, -1
	s_and_saveexec_b32 s12, s11
	s_xor_b32 s11, exec_lo, s12
; %bb.71:
	v_lshl_add_u32 v18, v20, 2, v4
	ds_read_b32 v18, v18 offset:4
; %bb.72:
	s_or_saveexec_b32 s11, s11
	v_mov_b32_e32 v19, v17
	s_xor_b32 exec_lo, exec_lo, s11
	s_cbranch_execz .LBB34_74
; %bb.73:
	s_waitcnt lgkmcnt(0)
	v_lshl_add_u32 v18, v8, 2, v4
	ds_read_b32 v19, v18 offset:4
	v_mov_b32_e32 v18, v16
.LBB34_74:
	s_or_b32 exec_lo, exec_lo, s11
	v_add_nc_u32_e32 v21, 1, v20
	v_add_nc_u32_e32 v23, 1, v8
	s_waitcnt lgkmcnt(0)
	v_cmp_lt_i32_e64 s12, v19, v18
	v_cndmask_b32_e64 v22, v21, v20, s10
	v_cndmask_b32_e64 v8, v8, v23, s10
                                        ; implicit-def: $vgpr20
	v_cmp_ge_i32_e64 s11, v22, v2
	v_cmp_lt_i32_e64 s13, v8, v10
	s_or_b32 s11, s11, s12
	s_and_b32 s11, s13, s11
	s_xor_b32 s12, s11, -1
	s_and_saveexec_b32 s13, s12
	s_xor_b32 s12, exec_lo, s13
; %bb.75:
	v_lshl_add_u32 v20, v22, 2, v4
	ds_read_b32 v20, v20 offset:4
; %bb.76:
	s_or_saveexec_b32 s12, s12
	v_mov_b32_e32 v21, v19
	s_xor_b32 exec_lo, exec_lo, s12
	s_cbranch_execz .LBB34_78
; %bb.77:
	s_waitcnt lgkmcnt(0)
	v_lshl_add_u32 v20, v8, 2, v4
	ds_read_b32 v21, v20 offset:4
	v_mov_b32_e32 v20, v18
.LBB34_78:
	s_or_b32 exec_lo, exec_lo, s12
	v_add_nc_u32_e32 v23, 1, v22
	v_add_nc_u32_e32 v25, 1, v8
	s_waitcnt lgkmcnt(0)
	v_cmp_lt_i32_e64 s13, v21, v20
	v_cndmask_b32_e64 v24, v23, v22, s11
	v_cndmask_b32_e64 v22, v8, v25, s11
                                        ; implicit-def: $vgpr8
	v_cmp_ge_i32_e64 s12, v24, v2
	v_cmp_lt_i32_e64 s14, v22, v10
	s_or_b32 s12, s12, s13
	s_and_b32 s12, s14, s12
	s_xor_b32 s13, s12, -1
	s_and_saveexec_b32 s14, s13
	s_xor_b32 s13, exec_lo, s14
; %bb.79:
	v_lshl_add_u32 v8, v24, 2, v4
	ds_read_b32 v8, v8 offset:4
; %bb.80:
	s_or_saveexec_b32 s13, s13
	v_mov_b32_e32 v23, v21
	s_xor_b32 exec_lo, exec_lo, s13
	s_cbranch_execz .LBB34_82
; %bb.81:
	s_waitcnt lgkmcnt(0)
	v_lshl_add_u32 v8, v22, 2, v4
	ds_read_b32 v23, v8 offset:4
	v_mov_b32_e32 v8, v20
.LBB34_82:
	s_or_b32 exec_lo, exec_lo, s13
	v_add_nc_u32_e32 v25, 1, v24
	v_add_nc_u32_e32 v27, 1, v22
	s_waitcnt lgkmcnt(0)
	v_cmp_lt_i32_e64 s14, v23, v8
	v_cndmask_b32_e64 v26, v25, v24, s12
	v_cndmask_b32_e64 v25, v22, v27, s12
                                        ; implicit-def: $vgpr24
	v_cmp_ge_i32_e64 s13, v26, v2
	v_cmp_lt_i32_e64 s15, v25, v10
	s_or_b32 s13, s13, s14
	s_and_b32 s13, s15, s13
	s_xor_b32 s14, s13, -1
	s_and_saveexec_b32 s15, s14
	s_xor_b32 s14, exec_lo, s15
; %bb.83:
	v_lshl_add_u32 v22, v26, 2, v4
	ds_read_b32 v24, v22 offset:4
; %bb.84:
	s_or_saveexec_b32 s14, s14
	v_mov_b32_e32 v27, v23
	s_xor_b32 exec_lo, exec_lo, s14
	s_cbranch_execz .LBB34_86
; %bb.85:
	v_lshl_add_u32 v22, v25, 2, v4
	s_waitcnt lgkmcnt(0)
	v_mov_b32_e32 v24, v8
	ds_read_b32 v27, v22 offset:4
.LBB34_86:
	s_or_b32 exec_lo, exec_lo, s14
	v_and_b32_e32 v22, 0xc0, v6
	v_cndmask_b32_e64 v23, v8, v23, s13
	v_add_nc_u32_e32 v30, 1, v26
	v_add_nc_u32_e32 v29, 1, v25
	v_cndmask_b32_e64 v14, v14, v15, s9
	v_min_i32_e32 v22, v5, v22
	v_cndmask_b32_e64 v13, v12, v13, s8
	v_cndmask_b32_e64 v12, v30, v26, s13
	;; [unrolled: 1-line block ×4, first 2 shown]
	v_add_nc_u32_e32 v28, 32, v22
	v_and_b32_e32 v9, 56, v6
	s_waitcnt lgkmcnt(0)
	v_cmp_lt_i32_e64 s7, v27, v24
	v_cmp_ge_i32_e64 s8, v12, v2
	v_cndmask_b32_e64 v18, v18, v19, s11
	v_min_i32_e32 v8, v5, v28
	v_min_i32_e32 v9, v5, v9
	v_cndmask_b32_e64 v20, v20, v21, s12
	s_or_b32 s7, s8, s7
	s_mov_b32 s8, exec_lo
	v_add_nc_u32_e32 v15, 32, v8
	; wave barrier
	ds_write2_b32 v7, v17, v13 offset1:1
	ds_write2_b32 v7, v14, v16 offset0:2 offset1:3
	ds_write2_b32 v7, v18, v20 offset0:4 offset1:5
	v_min_i32_e32 v11, v5, v15
	v_cndmask_b32_e64 v15, v25, v29, s13
	v_sub_nc_u32_e32 v2, v11, v8
	v_cmp_lt_i32_e64 s9, v15, v10
	v_sub_nc_u32_e32 v15, v8, v22
	v_sub_nc_u32_e32 v10, v9, v2
	s_and_b32 s7, s9, s7
	s_mov_b32 s9, 0
	v_cndmask_b32_e64 v19, v24, v27, s7
	v_cmp_ge_i32_e64 s7, v9, v2
	v_lshl_add_u32 v2, v22, 2, v4
	ds_write2_b32 v7, v23, v19 offset0:6 offset1:7
	v_cndmask_b32_e64 v12, 0, v10, s7
	v_min_i32_e32 v10, v9, v15
	; wave barrier
	v_cmpx_lt_i32_e64 v12, v10
	s_cbranch_execz .LBB34_90
; %bb.87:
	v_lshlrev_b32_e32 v13, 2, v8
	v_lshlrev_b32_e32 v14, 2, v9
	v_add3_u32 v13, v4, v13, v14
	.p2align	6
.LBB34_88:                              ; =>This Inner Loop Header: Depth=1
	v_sub_nc_u32_e32 v14, v10, v12
	v_lshrrev_b32_e32 v14, 1, v14
	v_add_nc_u32_e32 v14, v14, v12
	v_not_b32_e32 v15, v14
	v_lshl_add_u32 v16, v14, 2, v2
	v_add_nc_u32_e32 v17, 1, v14
	v_lshl_add_u32 v15, v15, 2, v13
	ds_read_b32 v16, v16
	ds_read_b32 v15, v15
	s_waitcnt lgkmcnt(0)
	v_cmp_lt_i32_e64 s7, v15, v16
	v_cndmask_b32_e64 v10, v10, v14, s7
	v_cndmask_b32_e64 v12, v17, v12, s7
	v_cmp_ge_i32_e64 s7, v12, v10
	s_or_b32 s9, s7, s9
	s_andn2_b32 exec_lo, exec_lo, s9
	s_cbranch_execnz .LBB34_88
; %bb.89:
	s_or_b32 exec_lo, exec_lo, s9
.LBB34_90:
	s_or_b32 exec_lo, exec_lo, s8
	v_add_nc_u32_e32 v9, v8, v9
	v_lshl_add_u32 v13, v12, 2, v2
	v_add_nc_u32_e32 v14, v12, v22
	v_sub_nc_u32_e32 v9, v9, v12
                                        ; implicit-def: $vgpr12
	v_cmp_le_i32_e64 s7, v8, v14
	v_lshl_add_u32 v15, v9, 2, v4
	v_cmp_gt_i32_e64 s9, v11, v9
	ds_read_b32 v2, v13
	ds_read_b32 v10, v15
	s_waitcnt lgkmcnt(0)
	v_cmp_lt_i32_e64 s8, v10, v2
	s_or_b32 s7, s7, s8
	s_and_b32 s7, s9, s7
	s_xor_b32 s8, s7, -1
	s_and_saveexec_b32 s9, s8
	s_xor_b32 s8, exec_lo, s9
; %bb.91:
	ds_read_b32 v12, v13 offset:4
                                        ; implicit-def: $vgpr15
; %bb.92:
	s_or_saveexec_b32 s8, s8
	v_mov_b32_e32 v13, v10
	s_xor_b32 exec_lo, exec_lo, s8
	s_cbranch_execz .LBB34_94
; %bb.93:
	ds_read_b32 v13, v15 offset:4
	s_waitcnt lgkmcnt(1)
	v_mov_b32_e32 v12, v2
.LBB34_94:
	s_or_b32 exec_lo, exec_lo, s8
	v_add_nc_u32_e32 v15, 1, v14
	v_add_nc_u32_e32 v17, 1, v9
	s_waitcnt lgkmcnt(0)
	v_cmp_lt_i32_e64 s9, v13, v12
	v_cndmask_b32_e64 v16, v15, v14, s7
	v_cndmask_b32_e64 v9, v9, v17, s7
                                        ; implicit-def: $vgpr14
	v_cmp_ge_i32_e64 s8, v16, v8
	v_cmp_lt_i32_e64 s10, v9, v11
	s_or_b32 s8, s8, s9
	s_and_b32 s8, s10, s8
	s_xor_b32 s9, s8, -1
	s_and_saveexec_b32 s10, s9
	s_xor_b32 s9, exec_lo, s10
; %bb.95:
	v_lshl_add_u32 v14, v16, 2, v4
	ds_read_b32 v14, v14 offset:4
; %bb.96:
	s_or_saveexec_b32 s9, s9
	v_mov_b32_e32 v15, v13
	s_xor_b32 exec_lo, exec_lo, s9
	s_cbranch_execz .LBB34_98
; %bb.97:
	s_waitcnt lgkmcnt(0)
	v_lshl_add_u32 v14, v9, 2, v4
	ds_read_b32 v15, v14 offset:4
	v_mov_b32_e32 v14, v12
.LBB34_98:
	s_or_b32 exec_lo, exec_lo, s9
	v_add_nc_u32_e32 v17, 1, v16
	v_add_nc_u32_e32 v19, 1, v9
	s_waitcnt lgkmcnt(0)
	v_cmp_lt_i32_e64 s10, v15, v14
	v_cndmask_b32_e64 v18, v17, v16, s8
	v_cndmask_b32_e64 v9, v9, v19, s8
                                        ; implicit-def: $vgpr16
	v_cmp_ge_i32_e64 s9, v18, v8
	v_cmp_lt_i32_e64 s11, v9, v11
	s_or_b32 s9, s9, s10
	s_and_b32 s9, s11, s9
	s_xor_b32 s10, s9, -1
	s_and_saveexec_b32 s11, s10
	s_xor_b32 s10, exec_lo, s11
; %bb.99:
	v_lshl_add_u32 v16, v18, 2, v4
	ds_read_b32 v16, v16 offset:4
; %bb.100:
	s_or_saveexec_b32 s10, s10
	v_mov_b32_e32 v17, v15
	s_xor_b32 exec_lo, exec_lo, s10
	s_cbranch_execz .LBB34_102
; %bb.101:
	s_waitcnt lgkmcnt(0)
	v_lshl_add_u32 v16, v9, 2, v4
	ds_read_b32 v17, v16 offset:4
	v_mov_b32_e32 v16, v14
.LBB34_102:
	s_or_b32 exec_lo, exec_lo, s10
	v_add_nc_u32_e32 v19, 1, v18
	v_add_nc_u32_e32 v21, 1, v9
	s_waitcnt lgkmcnt(0)
	v_cmp_lt_i32_e64 s11, v17, v16
	v_cndmask_b32_e64 v20, v19, v18, s9
	v_cndmask_b32_e64 v9, v9, v21, s9
                                        ; implicit-def: $vgpr18
	v_cmp_ge_i32_e64 s10, v20, v8
	v_cmp_lt_i32_e64 s12, v9, v11
	s_or_b32 s10, s10, s11
	s_and_b32 s10, s12, s10
	s_xor_b32 s11, s10, -1
	s_and_saveexec_b32 s12, s11
	s_xor_b32 s11, exec_lo, s12
; %bb.103:
	v_lshl_add_u32 v18, v20, 2, v4
	ds_read_b32 v18, v18 offset:4
; %bb.104:
	s_or_saveexec_b32 s11, s11
	v_mov_b32_e32 v19, v17
	s_xor_b32 exec_lo, exec_lo, s11
	s_cbranch_execz .LBB34_106
; %bb.105:
	s_waitcnt lgkmcnt(0)
	v_lshl_add_u32 v18, v9, 2, v4
	ds_read_b32 v19, v18 offset:4
	v_mov_b32_e32 v18, v16
.LBB34_106:
	s_or_b32 exec_lo, exec_lo, s11
	v_add_nc_u32_e32 v21, 1, v20
	v_add_nc_u32_e32 v23, 1, v9
	s_waitcnt lgkmcnt(0)
	v_cmp_lt_i32_e64 s12, v19, v18
	v_cndmask_b32_e64 v22, v21, v20, s10
	v_cndmask_b32_e64 v9, v9, v23, s10
                                        ; implicit-def: $vgpr20
	v_cmp_ge_i32_e64 s11, v22, v8
	v_cmp_lt_i32_e64 s13, v9, v11
	s_or_b32 s11, s11, s12
	s_and_b32 s11, s13, s11
	s_xor_b32 s12, s11, -1
	s_and_saveexec_b32 s13, s12
	s_xor_b32 s12, exec_lo, s13
; %bb.107:
	v_lshl_add_u32 v20, v22, 2, v4
	ds_read_b32 v20, v20 offset:4
; %bb.108:
	s_or_saveexec_b32 s12, s12
	v_mov_b32_e32 v21, v19
	s_xor_b32 exec_lo, exec_lo, s12
	s_cbranch_execz .LBB34_110
; %bb.109:
	s_waitcnt lgkmcnt(0)
	v_lshl_add_u32 v20, v9, 2, v4
	ds_read_b32 v21, v20 offset:4
	v_mov_b32_e32 v20, v18
.LBB34_110:
	s_or_b32 exec_lo, exec_lo, s12
	v_add_nc_u32_e32 v23, 1, v22
	v_add_nc_u32_e32 v25, 1, v9
	s_waitcnt lgkmcnt(0)
	v_cmp_lt_i32_e64 s13, v21, v20
	v_cndmask_b32_e64 v24, v23, v22, s11
	v_cndmask_b32_e64 v22, v9, v25, s11
                                        ; implicit-def: $vgpr9
	v_cmp_ge_i32_e64 s12, v24, v8
	v_cmp_lt_i32_e64 s14, v22, v11
	s_or_b32 s12, s12, s13
	s_and_b32 s12, s14, s12
	s_xor_b32 s13, s12, -1
	s_and_saveexec_b32 s14, s13
	s_xor_b32 s13, exec_lo, s14
; %bb.111:
	v_lshl_add_u32 v9, v24, 2, v4
	ds_read_b32 v9, v9 offset:4
; %bb.112:
	s_or_saveexec_b32 s13, s13
	v_mov_b32_e32 v23, v21
	s_xor_b32 exec_lo, exec_lo, s13
	s_cbranch_execz .LBB34_114
; %bb.113:
	s_waitcnt lgkmcnt(0)
	v_lshl_add_u32 v9, v22, 2, v4
	ds_read_b32 v23, v9 offset:4
	v_mov_b32_e32 v9, v20
.LBB34_114:
	s_or_b32 exec_lo, exec_lo, s13
	v_add_nc_u32_e32 v25, 1, v24
	v_add_nc_u32_e32 v27, 1, v22
	s_waitcnt lgkmcnt(0)
	v_cmp_lt_i32_e64 s14, v23, v9
	v_cndmask_b32_e64 v26, v25, v24, s12
	v_cndmask_b32_e64 v25, v22, v27, s12
                                        ; implicit-def: $vgpr24
	v_cmp_ge_i32_e64 s13, v26, v8
	v_cmp_lt_i32_e64 s15, v25, v11
	s_or_b32 s13, s13, s14
	s_and_b32 s13, s15, s13
	s_xor_b32 s14, s13, -1
	s_and_saveexec_b32 s15, s14
	s_xor_b32 s14, exec_lo, s15
; %bb.115:
	v_lshl_add_u32 v22, v26, 2, v4
	ds_read_b32 v24, v22 offset:4
; %bb.116:
	s_or_saveexec_b32 s14, s14
	v_mov_b32_e32 v27, v23
	s_xor_b32 exec_lo, exec_lo, s14
	s_cbranch_execz .LBB34_118
; %bb.117:
	v_lshl_add_u32 v22, v25, 2, v4
	s_waitcnt lgkmcnt(0)
	v_mov_b32_e32 v24, v9
	ds_read_b32 v27, v22 offset:4
.LBB34_118:
	s_or_b32 exec_lo, exec_lo, s14
	v_and_b32_e32 v22, 0x80, v6
	v_cndmask_b32_e64 v23, v9, v23, s13
	v_add_nc_u32_e32 v30, 1, v26
	v_add_nc_u32_e32 v29, 1, v25
	v_cndmask_b32_e64 v14, v14, v15, s9
	v_min_i32_e32 v22, v5, v22
	v_cndmask_b32_e64 v13, v12, v13, s8
	v_cndmask_b32_e64 v12, v30, v26, s13
	;; [unrolled: 1-line block ×4, first 2 shown]
	v_add_nc_u32_e32 v28, 64, v22
	v_and_b32_e32 v2, 0x78, v6
	s_waitcnt lgkmcnt(0)
	v_cmp_lt_i32_e64 s7, v27, v24
	v_cmp_ge_i32_e64 s8, v12, v8
	v_cndmask_b32_e64 v18, v18, v19, s11
	v_min_i32_e32 v9, v5, v28
	v_min_i32_e32 v2, v5, v2
	v_cndmask_b32_e64 v20, v20, v21, s12
	s_or_b32 s7, s8, s7
	s_mov_b32 s8, exec_lo
	v_add_nc_u32_e32 v15, 64, v9
	; wave barrier
	ds_write2_b32 v7, v17, v13 offset1:1
	ds_write2_b32 v7, v14, v16 offset0:2 offset1:3
	ds_write2_b32 v7, v18, v20 offset0:4 offset1:5
	v_min_i32_e32 v10, v5, v15
	v_cndmask_b32_e64 v15, v25, v29, s13
	v_sub_nc_u32_e32 v8, v10, v9
	v_cmp_lt_i32_e64 s9, v15, v11
	v_sub_nc_u32_e32 v15, v9, v22
	v_sub_nc_u32_e32 v11, v2, v8
	s_and_b32 s7, s9, s7
	s_mov_b32 s9, 0
	v_cndmask_b32_e64 v19, v24, v27, s7
	v_cmp_ge_i32_e64 s7, v2, v8
	v_lshl_add_u32 v8, v22, 2, v4
	ds_write2_b32 v7, v23, v19 offset0:6 offset1:7
	v_cndmask_b32_e64 v12, 0, v11, s7
	v_min_i32_e32 v11, v2, v15
	; wave barrier
	v_cmpx_lt_i32_e64 v12, v11
	s_cbranch_execz .LBB34_122
; %bb.119:
	v_lshlrev_b32_e32 v13, 2, v9
	v_lshlrev_b32_e32 v14, 2, v2
	v_add3_u32 v13, v4, v13, v14
	.p2align	6
.LBB34_120:                             ; =>This Inner Loop Header: Depth=1
	v_sub_nc_u32_e32 v14, v11, v12
	v_lshrrev_b32_e32 v14, 1, v14
	v_add_nc_u32_e32 v14, v14, v12
	v_not_b32_e32 v15, v14
	v_lshl_add_u32 v16, v14, 2, v8
	v_add_nc_u32_e32 v17, 1, v14
	v_lshl_add_u32 v15, v15, 2, v13
	ds_read_b32 v16, v16
	ds_read_b32 v15, v15
	s_waitcnt lgkmcnt(0)
	v_cmp_lt_i32_e64 s7, v15, v16
	v_cndmask_b32_e64 v11, v11, v14, s7
	v_cndmask_b32_e64 v12, v17, v12, s7
	v_cmp_ge_i32_e64 s7, v12, v11
	s_or_b32 s9, s7, s9
	s_andn2_b32 exec_lo, exec_lo, s9
	s_cbranch_execnz .LBB34_120
; %bb.121:
	s_or_b32 exec_lo, exec_lo, s9
.LBB34_122:
	s_or_b32 exec_lo, exec_lo, s8
	v_add_nc_u32_e32 v2, v9, v2
	v_lshl_add_u32 v13, v12, 2, v8
	v_add_nc_u32_e32 v14, v12, v22
	v_sub_nc_u32_e32 v2, v2, v12
                                        ; implicit-def: $vgpr12
	v_cmp_le_i32_e64 s7, v9, v14
	v_lshl_add_u32 v15, v2, 2, v4
	v_cmp_gt_i32_e64 s9, v10, v2
	ds_read_b32 v8, v13
	ds_read_b32 v11, v15
	s_waitcnt lgkmcnt(0)
	v_cmp_lt_i32_e64 s8, v11, v8
	s_or_b32 s7, s7, s8
	s_and_b32 s7, s9, s7
	s_xor_b32 s8, s7, -1
	s_and_saveexec_b32 s9, s8
	s_xor_b32 s8, exec_lo, s9
; %bb.123:
	ds_read_b32 v12, v13 offset:4
                                        ; implicit-def: $vgpr15
; %bb.124:
	s_or_saveexec_b32 s8, s8
	v_mov_b32_e32 v13, v11
	s_xor_b32 exec_lo, exec_lo, s8
	s_cbranch_execz .LBB34_126
; %bb.125:
	ds_read_b32 v13, v15 offset:4
	s_waitcnt lgkmcnt(1)
	v_mov_b32_e32 v12, v8
.LBB34_126:
	s_or_b32 exec_lo, exec_lo, s8
	v_add_nc_u32_e32 v15, 1, v14
	v_add_nc_u32_e32 v17, 1, v2
	s_waitcnt lgkmcnt(0)
	v_cmp_lt_i32_e64 s9, v13, v12
	v_cndmask_b32_e64 v16, v15, v14, s7
	v_cndmask_b32_e64 v2, v2, v17, s7
                                        ; implicit-def: $vgpr14
	v_cmp_ge_i32_e64 s8, v16, v9
	v_cmp_lt_i32_e64 s10, v2, v10
	s_or_b32 s8, s8, s9
	s_and_b32 s8, s10, s8
	s_xor_b32 s9, s8, -1
	s_and_saveexec_b32 s10, s9
	s_xor_b32 s9, exec_lo, s10
; %bb.127:
	v_lshl_add_u32 v14, v16, 2, v4
	ds_read_b32 v14, v14 offset:4
; %bb.128:
	s_or_saveexec_b32 s9, s9
	v_mov_b32_e32 v15, v13
	s_xor_b32 exec_lo, exec_lo, s9
	s_cbranch_execz .LBB34_130
; %bb.129:
	s_waitcnt lgkmcnt(0)
	v_lshl_add_u32 v14, v2, 2, v4
	ds_read_b32 v15, v14 offset:4
	v_mov_b32_e32 v14, v12
.LBB34_130:
	s_or_b32 exec_lo, exec_lo, s9
	v_add_nc_u32_e32 v17, 1, v16
	v_add_nc_u32_e32 v19, 1, v2
	s_waitcnt lgkmcnt(0)
	v_cmp_lt_i32_e64 s10, v15, v14
	v_cndmask_b32_e64 v18, v17, v16, s8
	v_cndmask_b32_e64 v2, v2, v19, s8
                                        ; implicit-def: $vgpr16
	v_cmp_ge_i32_e64 s9, v18, v9
	v_cmp_lt_i32_e64 s11, v2, v10
	s_or_b32 s9, s9, s10
	s_and_b32 s9, s11, s9
	s_xor_b32 s10, s9, -1
	s_and_saveexec_b32 s11, s10
	s_xor_b32 s10, exec_lo, s11
; %bb.131:
	v_lshl_add_u32 v16, v18, 2, v4
	ds_read_b32 v16, v16 offset:4
; %bb.132:
	s_or_saveexec_b32 s10, s10
	v_mov_b32_e32 v17, v15
	s_xor_b32 exec_lo, exec_lo, s10
	s_cbranch_execz .LBB34_134
; %bb.133:
	s_waitcnt lgkmcnt(0)
	v_lshl_add_u32 v16, v2, 2, v4
	ds_read_b32 v17, v16 offset:4
	v_mov_b32_e32 v16, v14
.LBB34_134:
	s_or_b32 exec_lo, exec_lo, s10
	v_add_nc_u32_e32 v19, 1, v18
	v_add_nc_u32_e32 v21, 1, v2
	s_waitcnt lgkmcnt(0)
	v_cmp_lt_i32_e64 s11, v17, v16
	v_cndmask_b32_e64 v20, v19, v18, s9
	v_cndmask_b32_e64 v2, v2, v21, s9
                                        ; implicit-def: $vgpr18
	v_cmp_ge_i32_e64 s10, v20, v9
	v_cmp_lt_i32_e64 s12, v2, v10
	s_or_b32 s10, s10, s11
	s_and_b32 s10, s12, s10
	s_xor_b32 s11, s10, -1
	s_and_saveexec_b32 s12, s11
	s_xor_b32 s11, exec_lo, s12
; %bb.135:
	v_lshl_add_u32 v18, v20, 2, v4
	ds_read_b32 v18, v18 offset:4
; %bb.136:
	s_or_saveexec_b32 s11, s11
	v_mov_b32_e32 v19, v17
	s_xor_b32 exec_lo, exec_lo, s11
	s_cbranch_execz .LBB34_138
; %bb.137:
	s_waitcnt lgkmcnt(0)
	v_lshl_add_u32 v18, v2, 2, v4
	ds_read_b32 v19, v18 offset:4
	v_mov_b32_e32 v18, v16
.LBB34_138:
	s_or_b32 exec_lo, exec_lo, s11
	v_add_nc_u32_e32 v21, 1, v20
	v_add_nc_u32_e32 v23, 1, v2
	s_waitcnt lgkmcnt(0)
	v_cmp_lt_i32_e64 s12, v19, v18
	v_cndmask_b32_e64 v22, v21, v20, s10
	v_cndmask_b32_e64 v2, v2, v23, s10
                                        ; implicit-def: $vgpr20
	v_cmp_ge_i32_e64 s11, v22, v9
	v_cmp_lt_i32_e64 s13, v2, v10
	s_or_b32 s11, s11, s12
	s_and_b32 s11, s13, s11
	s_xor_b32 s12, s11, -1
	s_and_saveexec_b32 s13, s12
	s_xor_b32 s12, exec_lo, s13
; %bb.139:
	v_lshl_add_u32 v20, v22, 2, v4
	ds_read_b32 v20, v20 offset:4
; %bb.140:
	s_or_saveexec_b32 s12, s12
	v_mov_b32_e32 v21, v19
	s_xor_b32 exec_lo, exec_lo, s12
	s_cbranch_execz .LBB34_142
; %bb.141:
	s_waitcnt lgkmcnt(0)
	v_lshl_add_u32 v20, v2, 2, v4
	ds_read_b32 v21, v20 offset:4
	v_mov_b32_e32 v20, v18
.LBB34_142:
	s_or_b32 exec_lo, exec_lo, s12
	v_add_nc_u32_e32 v23, 1, v22
	v_add_nc_u32_e32 v25, 1, v2
	s_waitcnt lgkmcnt(0)
	v_cmp_lt_i32_e64 s13, v21, v20
	v_cndmask_b32_e64 v24, v23, v22, s11
	v_cndmask_b32_e64 v22, v2, v25, s11
                                        ; implicit-def: $vgpr2
	v_cmp_ge_i32_e64 s12, v24, v9
	v_cmp_lt_i32_e64 s14, v22, v10
	s_or_b32 s12, s12, s13
	s_and_b32 s12, s14, s12
	s_xor_b32 s13, s12, -1
	s_and_saveexec_b32 s14, s13
	s_xor_b32 s13, exec_lo, s14
; %bb.143:
	v_lshl_add_u32 v2, v24, 2, v4
	ds_read_b32 v2, v2 offset:4
; %bb.144:
	s_or_saveexec_b32 s13, s13
	v_mov_b32_e32 v23, v21
	s_xor_b32 exec_lo, exec_lo, s13
	s_cbranch_execz .LBB34_146
; %bb.145:
	s_waitcnt lgkmcnt(0)
	v_lshl_add_u32 v2, v22, 2, v4
	ds_read_b32 v23, v2 offset:4
	v_mov_b32_e32 v2, v20
.LBB34_146:
	s_or_b32 exec_lo, exec_lo, s13
	v_add_nc_u32_e32 v25, 1, v24
	v_add_nc_u32_e32 v27, 1, v22
	s_waitcnt lgkmcnt(0)
	v_cmp_lt_i32_e64 s14, v23, v2
	v_cndmask_b32_e64 v26, v25, v24, s12
	v_cndmask_b32_e64 v25, v22, v27, s12
                                        ; implicit-def: $vgpr24
	v_cmp_ge_i32_e64 s13, v26, v9
	v_cmp_lt_i32_e64 s15, v25, v10
	s_or_b32 s13, s13, s14
	s_and_b32 s13, s15, s13
	s_xor_b32 s14, s13, -1
	s_and_saveexec_b32 s15, s14
	s_xor_b32 s14, exec_lo, s15
; %bb.147:
	v_lshl_add_u32 v22, v26, 2, v4
	ds_read_b32 v24, v22 offset:4
; %bb.148:
	s_or_saveexec_b32 s14, s14
	v_mov_b32_e32 v27, v23
	s_xor_b32 exec_lo, exec_lo, s14
	s_cbranch_execz .LBB34_150
; %bb.149:
	v_lshl_add_u32 v22, v25, 2, v4
	s_waitcnt lgkmcnt(0)
	v_mov_b32_e32 v24, v2
	ds_read_b32 v27, v22 offset:4
.LBB34_150:
	s_or_b32 exec_lo, exec_lo, s14
	v_min_i32_e32 v22, 0, v5
	v_cndmask_b32_e64 v23, v2, v23, s13
	v_add_nc_u32_e32 v29, 1, v25
	v_cndmask_b32_e64 v16, v16, v17, s10
	v_cndmask_b32_e64 v12, v12, v13, s8
	v_add_nc_u32_e32 v28, 0x80, v22
	v_cndmask_b32_e64 v14, v14, v15, s9
	v_cndmask_b32_e64 v15, v25, v29, s13
	v_cndmask_b32_e64 v11, v8, v11, s7
	s_waitcnt lgkmcnt(0)
	v_cmp_lt_i32_e64 s7, v27, v24
	v_min_i32_e32 v2, v5, v28
	v_add_nc_u32_e32 v28, 1, v26
	v_cmp_lt_i32_e64 s9, v15, v10
	v_cndmask_b32_e64 v20, v20, v21, s12
	v_cndmask_b32_e64 v18, v18, v19, s11
	v_add_nc_u32_e32 v17, 0x80, v2
	v_cndmask_b32_e64 v13, v28, v26, s13
	v_sub_nc_u32_e32 v10, v2, v22
	; wave barrier
	v_min_i32_e32 v8, v5, v17
	v_cmp_ge_i32_e64 s8, v13, v9
	v_min_i32_e32 v5, v5, v6
	ds_write2_b32 v7, v11, v12 offset1:1
	ds_write2_b32 v7, v14, v16 offset0:2 offset1:3
	ds_write2_b32 v7, v18, v20 offset0:4 offset1:5
	v_sub_nc_u32_e32 v6, v8, v2
	s_or_b32 s7, s8, s7
	v_min_i32_e32 v10, v5, v10
	s_and_b32 s7, s9, s7
	s_mov_b32 s9, 0
	v_sub_nc_u32_e32 v9, v5, v6
	v_cndmask_b32_e64 v13, v24, v27, s7
	v_cmp_ge_i32_e64 s7, v5, v6
	v_lshl_add_u32 v6, v22, 2, v4
	s_mov_b32 s8, exec_lo
	ds_write2_b32 v7, v23, v13 offset0:6 offset1:7
	v_cndmask_b32_e64 v9, 0, v9, s7
	; wave barrier
	v_cmpx_lt_i32_e64 v9, v10
	s_cbranch_execz .LBB34_154
; %bb.151:
	v_lshlrev_b32_e32 v7, 2, v2
	v_lshlrev_b32_e32 v11, 2, v5
	v_add3_u32 v7, v4, v7, v11
	.p2align	6
.LBB34_152:                             ; =>This Inner Loop Header: Depth=1
	v_sub_nc_u32_e32 v11, v10, v9
	v_lshrrev_b32_e32 v11, 1, v11
	v_add_nc_u32_e32 v11, v11, v9
	v_not_b32_e32 v12, v11
	v_lshl_add_u32 v13, v11, 2, v6
	v_add_nc_u32_e32 v14, 1, v11
	v_lshl_add_u32 v12, v12, 2, v7
	ds_read_b32 v13, v13
	ds_read_b32 v12, v12
	s_waitcnt lgkmcnt(0)
	v_cmp_lt_i32_e64 s7, v12, v13
	v_cndmask_b32_e64 v10, v10, v11, s7
	v_cndmask_b32_e64 v9, v14, v9, s7
	v_cmp_ge_i32_e64 s7, v9, v10
	s_or_b32 s9, s7, s9
	s_andn2_b32 exec_lo, exec_lo, s9
	s_cbranch_execnz .LBB34_152
; %bb.153:
	s_or_b32 exec_lo, exec_lo, s9
.LBB34_154:
	s_or_b32 exec_lo, exec_lo, s8
	v_add_nc_u32_e32 v5, v2, v5
	v_lshl_add_u32 v13, v9, 2, v6
	v_add_nc_u32_e32 v11, v9, v22
                                        ; implicit-def: $vgpr7
	v_sub_nc_u32_e32 v10, v5, v9
	v_cmp_le_i32_e64 s7, v2, v11
	v_lshl_add_u32 v12, v10, 2, v4
	v_cmp_gt_i32_e64 s9, v8, v10
	ds_read_b32 v5, v13
	ds_read_b32 v6, v12
	s_waitcnt lgkmcnt(0)
	v_cmp_lt_i32_e64 s8, v6, v5
	s_or_b32 s7, s7, s8
	s_and_b32 s7, s9, s7
	s_xor_b32 s8, s7, -1
	s_and_saveexec_b32 s9, s8
	s_xor_b32 s8, exec_lo, s9
; %bb.155:
	ds_read_b32 v7, v13 offset:4
                                        ; implicit-def: $vgpr12
; %bb.156:
	s_or_saveexec_b32 s8, s8
	v_mov_b32_e32 v9, v6
	s_xor_b32 exec_lo, exec_lo, s8
	s_cbranch_execz .LBB34_158
; %bb.157:
	ds_read_b32 v9, v12 offset:4
	s_waitcnt lgkmcnt(1)
	v_mov_b32_e32 v7, v5
.LBB34_158:
	s_or_b32 exec_lo, exec_lo, s8
	v_add_nc_u32_e32 v12, 1, v11
	v_add_nc_u32_e32 v14, 1, v10
	s_waitcnt lgkmcnt(0)
	v_cmp_lt_i32_e64 s9, v9, v7
	v_cndmask_b32_e64 v13, v12, v11, s7
	v_cndmask_b32_e64 v12, v10, v14, s7
                                        ; implicit-def: $vgpr10
	v_cmp_ge_i32_e64 s8, v13, v2
	v_cmp_lt_i32_e64 s10, v12, v8
	s_or_b32 s8, s8, s9
	s_and_b32 s8, s10, s8
	s_xor_b32 s9, s8, -1
	s_and_saveexec_b32 s10, s9
	s_xor_b32 s9, exec_lo, s10
; %bb.159:
	v_lshl_add_u32 v10, v13, 2, v4
	ds_read_b32 v10, v10 offset:4
; %bb.160:
	s_or_saveexec_b32 s9, s9
	v_mov_b32_e32 v11, v9
	s_xor_b32 exec_lo, exec_lo, s9
	s_cbranch_execz .LBB34_162
; %bb.161:
	s_waitcnt lgkmcnt(0)
	v_lshl_add_u32 v10, v12, 2, v4
	ds_read_b32 v11, v10 offset:4
	v_mov_b32_e32 v10, v7
.LBB34_162:
	s_or_b32 exec_lo, exec_lo, s9
	v_add_nc_u32_e32 v14, 1, v13
	v_add_nc_u32_e32 v16, 1, v12
	s_waitcnt lgkmcnt(0)
	v_cmp_lt_i32_e64 s10, v11, v10
	v_cndmask_b32_e64 v15, v14, v13, s8
	v_cndmask_b32_e64 v14, v12, v16, s8
                                        ; implicit-def: $vgpr12
	v_cmp_ge_i32_e64 s9, v15, v2
	v_cmp_lt_i32_e64 s11, v14, v8
	s_or_b32 s9, s9, s10
	s_and_b32 s9, s11, s9
	s_xor_b32 s10, s9, -1
	s_and_saveexec_b32 s11, s10
	s_xor_b32 s10, exec_lo, s11
; %bb.163:
	v_lshl_add_u32 v12, v15, 2, v4
	ds_read_b32 v12, v12 offset:4
; %bb.164:
	s_or_saveexec_b32 s10, s10
	v_mov_b32_e32 v13, v11
	s_xor_b32 exec_lo, exec_lo, s10
	s_cbranch_execz .LBB34_166
; %bb.165:
	s_waitcnt lgkmcnt(0)
	v_lshl_add_u32 v12, v14, 2, v4
	ds_read_b32 v13, v12 offset:4
	v_mov_b32_e32 v12, v10
.LBB34_166:
	s_or_b32 exec_lo, exec_lo, s10
	v_add_nc_u32_e32 v16, 1, v15
	v_add_nc_u32_e32 v18, 1, v14
	s_waitcnt lgkmcnt(0)
	v_cmp_lt_i32_e64 s11, v13, v12
	v_cndmask_b32_e64 v17, v16, v15, s9
	v_cndmask_b32_e64 v16, v14, v18, s9
                                        ; implicit-def: $vgpr14
	v_cmp_ge_i32_e64 s10, v17, v2
	v_cmp_lt_i32_e64 s12, v16, v8
	s_or_b32 s10, s10, s11
	s_and_b32 s10, s12, s10
	s_xor_b32 s11, s10, -1
	s_and_saveexec_b32 s12, s11
	s_xor_b32 s11, exec_lo, s12
; %bb.167:
	v_lshl_add_u32 v14, v17, 2, v4
	ds_read_b32 v14, v14 offset:4
; %bb.168:
	s_or_saveexec_b32 s11, s11
	v_mov_b32_e32 v15, v13
	s_xor_b32 exec_lo, exec_lo, s11
	s_cbranch_execz .LBB34_170
; %bb.169:
	s_waitcnt lgkmcnt(0)
	v_lshl_add_u32 v14, v16, 2, v4
	ds_read_b32 v15, v14 offset:4
	v_mov_b32_e32 v14, v12
.LBB34_170:
	s_or_b32 exec_lo, exec_lo, s11
	v_add_nc_u32_e32 v18, 1, v17
	v_add_nc_u32_e32 v20, 1, v16
	s_waitcnt lgkmcnt(0)
	v_cmp_lt_i32_e64 s12, v15, v14
	v_cndmask_b32_e64 v19, v18, v17, s10
	v_cndmask_b32_e64 v18, v16, v20, s10
                                        ; implicit-def: $vgpr16
	v_cmp_ge_i32_e64 s11, v19, v2
	v_cmp_lt_i32_e64 s13, v18, v8
	s_or_b32 s11, s11, s12
	s_and_b32 s11, s13, s11
	s_xor_b32 s12, s11, -1
	s_and_saveexec_b32 s13, s12
	s_xor_b32 s12, exec_lo, s13
; %bb.171:
	v_lshl_add_u32 v16, v19, 2, v4
	ds_read_b32 v16, v16 offset:4
; %bb.172:
	s_or_saveexec_b32 s12, s12
	v_mov_b32_e32 v17, v15
	s_xor_b32 exec_lo, exec_lo, s12
	s_cbranch_execz .LBB34_174
; %bb.173:
	s_waitcnt lgkmcnt(0)
	v_lshl_add_u32 v16, v18, 2, v4
	ds_read_b32 v17, v16 offset:4
	v_mov_b32_e32 v16, v14
.LBB34_174:
	s_or_b32 exec_lo, exec_lo, s12
	v_add_nc_u32_e32 v20, 1, v19
	v_add_nc_u32_e32 v22, 1, v18
	s_waitcnt lgkmcnt(0)
	v_cmp_lt_i32_e64 s13, v17, v16
	v_cndmask_b32_e64 v21, v20, v19, s11
	v_cndmask_b32_e64 v20, v18, v22, s11
                                        ; implicit-def: $vgpr18
	v_cmp_ge_i32_e64 s12, v21, v2
	v_cmp_lt_i32_e64 s14, v20, v8
	s_or_b32 s12, s12, s13
	s_and_b32 s12, s14, s12
	s_xor_b32 s13, s12, -1
	s_and_saveexec_b32 s14, s13
	s_xor_b32 s13, exec_lo, s14
; %bb.175:
	v_lshl_add_u32 v18, v21, 2, v4
	ds_read_b32 v18, v18 offset:4
; %bb.176:
	s_or_saveexec_b32 s13, s13
	v_mov_b32_e32 v19, v17
	s_xor_b32 exec_lo, exec_lo, s13
	s_cbranch_execz .LBB34_178
; %bb.177:
	s_waitcnt lgkmcnt(0)
	v_lshl_add_u32 v18, v20, 2, v4
	ds_read_b32 v19, v18 offset:4
	v_mov_b32_e32 v18, v16
.LBB34_178:
	s_or_b32 exec_lo, exec_lo, s13
	v_add_nc_u32_e32 v22, 1, v21
	v_add_nc_u32_e32 v23, 1, v20
	s_waitcnt lgkmcnt(0)
	v_cmp_lt_i32_e64 s14, v19, v18
	v_cndmask_b32_e64 v24, v22, v21, s12
	v_cndmask_b32_e64 v20, v20, v23, s12
                                        ; implicit-def: $vgpr21
                                        ; implicit-def: $vgpr22
	v_cmp_ge_i32_e64 s13, v24, v2
	v_cmp_lt_i32_e64 s15, v20, v8
	s_or_b32 s13, s13, s14
	s_and_b32 s13, s15, s13
	s_xor_b32 s14, s13, -1
	s_and_saveexec_b32 s15, s14
	s_xor_b32 s14, exec_lo, s15
; %bb.179:
	v_lshl_add_u32 v4, v24, 2, v4
	v_add_nc_u32_e32 v22, 1, v24
                                        ; implicit-def: $vgpr24
	ds_read_b32 v21, v4 offset:4
                                        ; implicit-def: $vgpr4
; %bb.180:
	s_or_saveexec_b32 s14, s14
	v_mov_b32_e32 v23, v19
	s_xor_b32 exec_lo, exec_lo, s14
	s_cbranch_execz .LBB34_182
; %bb.181:
	v_lshl_add_u32 v4, v20, 2, v4
	v_add_nc_u32_e32 v20, 1, v20
	v_mov_b32_e32 v22, v24
	s_waitcnt lgkmcnt(0)
	v_mov_b32_e32 v21, v18
	ds_read_b32 v23, v4 offset:4
.LBB34_182:
	s_or_b32 exec_lo, exec_lo, s14
	v_add_co_u32 v0, s14, s18, v0
	v_add_co_ci_u32_e64 v1, null, s19, v1, s14
	v_add_co_u32 v0, s14, v0, v3
	v_add_co_ci_u32_e64 v1, null, 0, v1, s14
	s_and_saveexec_b32 s14, vcc_lo
	s_cbranch_execnz .LBB34_191
; %bb.183:
	s_or_b32 exec_lo, exec_lo, s14
	s_and_saveexec_b32 s7, s0
	s_cbranch_execnz .LBB34_192
.LBB34_184:
	s_or_b32 exec_lo, exec_lo, s7
	s_and_saveexec_b32 s0, s1
	s_cbranch_execnz .LBB34_193
.LBB34_185:
	s_or_b32 exec_lo, exec_lo, s0
	s_and_saveexec_b32 s0, s2
	s_cbranch_execnz .LBB34_194
.LBB34_186:
	s_or_b32 exec_lo, exec_lo, s0
	s_and_saveexec_b32 s0, s3
	s_cbranch_execnz .LBB34_195
.LBB34_187:
	s_or_b32 exec_lo, exec_lo, s0
	s_and_saveexec_b32 s0, s4
	s_cbranch_execnz .LBB34_196
.LBB34_188:
	s_or_b32 exec_lo, exec_lo, s0
	s_and_saveexec_b32 s0, s5
	s_cbranch_execnz .LBB34_197
.LBB34_189:
	s_or_b32 exec_lo, exec_lo, s0
	s_and_saveexec_b32 s0, s6
	s_cbranch_execnz .LBB34_198
.LBB34_190:
	s_endpgm
.LBB34_191:
	v_cndmask_b32_e64 v3, v5, v6, s7
	global_store_dword v[0:1], v3, off
	s_or_b32 exec_lo, exec_lo, s14
	s_and_saveexec_b32 s7, s0
	s_cbranch_execz .LBB34_184
.LBB34_192:
	v_cndmask_b32_e64 v3, v7, v9, s8
	global_store_dword v[0:1], v3, off offset:4
	s_or_b32 exec_lo, exec_lo, s7
	s_and_saveexec_b32 s0, s1
	s_cbranch_execz .LBB34_185
.LBB34_193:
	v_cndmask_b32_e64 v3, v10, v11, s9
	global_store_dword v[0:1], v3, off offset:8
	s_or_b32 exec_lo, exec_lo, s0
	s_and_saveexec_b32 s0, s2
	s_cbranch_execz .LBB34_186
.LBB34_194:
	v_cndmask_b32_e64 v3, v12, v13, s10
	global_store_dword v[0:1], v3, off offset:12
	s_or_b32 exec_lo, exec_lo, s0
	s_and_saveexec_b32 s0, s3
	s_cbranch_execz .LBB34_187
.LBB34_195:
	v_cndmask_b32_e64 v3, v14, v15, s11
	global_store_dword v[0:1], v3, off offset:16
	s_or_b32 exec_lo, exec_lo, s0
	s_and_saveexec_b32 s0, s4
	s_cbranch_execz .LBB34_188
.LBB34_196:
	v_cndmask_b32_e64 v3, v16, v17, s12
	global_store_dword v[0:1], v3, off offset:20
	s_or_b32 exec_lo, exec_lo, s0
	s_and_saveexec_b32 s0, s5
	s_cbranch_execz .LBB34_189
.LBB34_197:
	v_cndmask_b32_e64 v3, v18, v19, s13
	global_store_dword v[0:1], v3, off offset:24
	s_or_b32 exec_lo, exec_lo, s0
	s_and_saveexec_b32 s0, s6
	s_cbranch_execz .LBB34_190
.LBB34_198:
	v_cmp_ge_i32_e32 vcc_lo, v22, v2
	s_waitcnt lgkmcnt(0)
	v_cmp_lt_i32_e64 s0, v23, v21
	v_cmp_lt_i32_e64 s1, v20, v8
	s_or_b32 s0, vcc_lo, s0
	s_and_b32 vcc_lo, s1, s0
	v_cndmask_b32_e32 v2, v21, v23, vcc_lo
	global_store_dword v[0:1], v2, off offset:28
	s_endpgm
	.section	.rodata,"a",@progbits
	.p2align	6, 0x0
	.amdhsa_kernel _Z19sort_keys_segmentedILj256ELj32ELj8EiN10test_utils4lessEEvPKT2_PS2_PKjT3_
		.amdhsa_group_segment_fixed_size 8224
		.amdhsa_private_segment_fixed_size 0
		.amdhsa_kernarg_size 28
		.amdhsa_user_sgpr_count 6
		.amdhsa_user_sgpr_private_segment_buffer 1
		.amdhsa_user_sgpr_dispatch_ptr 0
		.amdhsa_user_sgpr_queue_ptr 0
		.amdhsa_user_sgpr_kernarg_segment_ptr 1
		.amdhsa_user_sgpr_dispatch_id 0
		.amdhsa_user_sgpr_flat_scratch_init 0
		.amdhsa_user_sgpr_private_segment_size 0
		.amdhsa_wavefront_size32 1
		.amdhsa_uses_dynamic_stack 0
		.amdhsa_system_sgpr_private_segment_wavefront_offset 0
		.amdhsa_system_sgpr_workgroup_id_x 1
		.amdhsa_system_sgpr_workgroup_id_y 0
		.amdhsa_system_sgpr_workgroup_id_z 0
		.amdhsa_system_sgpr_workgroup_info 0
		.amdhsa_system_vgpr_workitem_id 0
		.amdhsa_next_free_vgpr 31
		.amdhsa_next_free_sgpr 20
		.amdhsa_reserve_vcc 1
		.amdhsa_reserve_flat_scratch 0
		.amdhsa_float_round_mode_32 0
		.amdhsa_float_round_mode_16_64 0
		.amdhsa_float_denorm_mode_32 3
		.amdhsa_float_denorm_mode_16_64 3
		.amdhsa_dx10_clamp 1
		.amdhsa_ieee_mode 1
		.amdhsa_fp16_overflow 0
		.amdhsa_workgroup_processor_mode 1
		.amdhsa_memory_ordered 1
		.amdhsa_forward_progress 1
		.amdhsa_shared_vgpr_count 0
		.amdhsa_exception_fp_ieee_invalid_op 0
		.amdhsa_exception_fp_denorm_src 0
		.amdhsa_exception_fp_ieee_div_zero 0
		.amdhsa_exception_fp_ieee_overflow 0
		.amdhsa_exception_fp_ieee_underflow 0
		.amdhsa_exception_fp_ieee_inexact 0
		.amdhsa_exception_int_div_zero 0
	.end_amdhsa_kernel
	.section	.text._Z19sort_keys_segmentedILj256ELj32ELj8EiN10test_utils4lessEEvPKT2_PS2_PKjT3_,"axG",@progbits,_Z19sort_keys_segmentedILj256ELj32ELj8EiN10test_utils4lessEEvPKT2_PS2_PKjT3_,comdat
.Lfunc_end34:
	.size	_Z19sort_keys_segmentedILj256ELj32ELj8EiN10test_utils4lessEEvPKT2_PS2_PKjT3_, .Lfunc_end34-_Z19sort_keys_segmentedILj256ELj32ELj8EiN10test_utils4lessEEvPKT2_PS2_PKjT3_
                                        ; -- End function
	.set _Z19sort_keys_segmentedILj256ELj32ELj8EiN10test_utils4lessEEvPKT2_PS2_PKjT3_.num_vgpr, 31
	.set _Z19sort_keys_segmentedILj256ELj32ELj8EiN10test_utils4lessEEvPKT2_PS2_PKjT3_.num_agpr, 0
	.set _Z19sort_keys_segmentedILj256ELj32ELj8EiN10test_utils4lessEEvPKT2_PS2_PKjT3_.numbered_sgpr, 20
	.set _Z19sort_keys_segmentedILj256ELj32ELj8EiN10test_utils4lessEEvPKT2_PS2_PKjT3_.num_named_barrier, 0
	.set _Z19sort_keys_segmentedILj256ELj32ELj8EiN10test_utils4lessEEvPKT2_PS2_PKjT3_.private_seg_size, 0
	.set _Z19sort_keys_segmentedILj256ELj32ELj8EiN10test_utils4lessEEvPKT2_PS2_PKjT3_.uses_vcc, 1
	.set _Z19sort_keys_segmentedILj256ELj32ELj8EiN10test_utils4lessEEvPKT2_PS2_PKjT3_.uses_flat_scratch, 0
	.set _Z19sort_keys_segmentedILj256ELj32ELj8EiN10test_utils4lessEEvPKT2_PS2_PKjT3_.has_dyn_sized_stack, 0
	.set _Z19sort_keys_segmentedILj256ELj32ELj8EiN10test_utils4lessEEvPKT2_PS2_PKjT3_.has_recursion, 0
	.set _Z19sort_keys_segmentedILj256ELj32ELj8EiN10test_utils4lessEEvPKT2_PS2_PKjT3_.has_indirect_call, 0
	.section	.AMDGPU.csdata,"",@progbits
; Kernel info:
; codeLenInByte = 8524
; TotalNumSgprs: 22
; NumVgprs: 31
; ScratchSize: 0
; MemoryBound: 0
; FloatMode: 240
; IeeeMode: 1
; LDSByteSize: 8224 bytes/workgroup (compile time only)
; SGPRBlocks: 0
; VGPRBlocks: 3
; NumSGPRsForWavesPerEU: 22
; NumVGPRsForWavesPerEU: 31
; Occupancy: 16
; WaveLimiterHint : 0
; COMPUTE_PGM_RSRC2:SCRATCH_EN: 0
; COMPUTE_PGM_RSRC2:USER_SGPR: 6
; COMPUTE_PGM_RSRC2:TRAP_HANDLER: 0
; COMPUTE_PGM_RSRC2:TGID_X_EN: 1
; COMPUTE_PGM_RSRC2:TGID_Y_EN: 0
; COMPUTE_PGM_RSRC2:TGID_Z_EN: 0
; COMPUTE_PGM_RSRC2:TIDIG_COMP_CNT: 0
	.section	.text._Z20sort_pairs_segmentedILj256ELj32ELj8EiN10test_utils4lessEEvPKT2_PS2_PKjT3_,"axG",@progbits,_Z20sort_pairs_segmentedILj256ELj32ELj8EiN10test_utils4lessEEvPKT2_PS2_PKjT3_,comdat
	.protected	_Z20sort_pairs_segmentedILj256ELj32ELj8EiN10test_utils4lessEEvPKT2_PS2_PKjT3_ ; -- Begin function _Z20sort_pairs_segmentedILj256ELj32ELj8EiN10test_utils4lessEEvPKT2_PS2_PKjT3_
	.globl	_Z20sort_pairs_segmentedILj256ELj32ELj8EiN10test_utils4lessEEvPKT2_PS2_PKjT3_
	.p2align	8
	.type	_Z20sort_pairs_segmentedILj256ELj32ELj8EiN10test_utils4lessEEvPKT2_PS2_PKjT3_,@function
_Z20sort_pairs_segmentedILj256ELj32ELj8EiN10test_utils4lessEEvPKT2_PS2_PKjT3_: ; @_Z20sort_pairs_segmentedILj256ELj32ELj8EiN10test_utils4lessEEvPKT2_PS2_PKjT3_
; %bb.0:
	s_clause 0x1
	s_load_dwordx2 s[0:1], s[4:5], 0x10
	s_load_dwordx4 s[16:19], s[4:5], 0x0
	v_lshrrev_b32_e32 v7, 5, v0
	v_mov_b32_e32 v2, 0
	v_mbcnt_lo_u32_b32 v0, -1, 0
	v_lshl_or_b32 v1, s6, 3, v7
	v_mov_b32_e32 v8, v2
	v_lshlrev_b32_e32 v6, 3, v0
	v_mov_b32_e32 v9, v2
	v_mov_b32_e32 v10, v2
	v_lshlrev_b64 v[3:4], 2, v[1:2]
	v_lshlrev_b32_e32 v1, 8, v1
	v_mov_b32_e32 v11, v2
	v_mov_b32_e32 v16, v2
	;; [unrolled: 1-line block ×4, first 2 shown]
	s_waitcnt lgkmcnt(0)
	v_add_co_u32 v3, vcc_lo, s0, v3
	v_add_co_ci_u32_e64 v4, null, s1, v4, vcc_lo
	global_load_dword v5, v[3:4], off
	v_lshlrev_b32_e32 v3, 5, v0
	v_lshlrev_b64 v[0:1], 2, v[1:2]
	v_add_co_u32 v4, vcc_lo, s16, v0
	v_add_co_ci_u32_e64 v12, null, s17, v1, vcc_lo
	v_add_co_u32 v3, vcc_lo, v4, v3
	v_add_co_ci_u32_e64 v4, null, 0, v12, vcc_lo
	s_waitcnt vmcnt(0)
	v_cmp_lt_u32_e32 vcc_lo, v6, v5
	s_and_saveexec_b32 s0, vcc_lo
	s_cbranch_execz .LBB35_2
; %bb.1:
	global_load_dword v8, v[3:4], off
	v_mov_b32_e32 v9, v2
	v_mov_b32_e32 v10, v2
	;; [unrolled: 1-line block ×6, first 2 shown]
.LBB35_2:
	s_or_b32 exec_lo, exec_lo, s0
	v_or_b32_e32 v12, 1, v6
	v_cmp_lt_u32_e64 s0, v12, v5
	s_and_saveexec_b32 s1, s0
	s_cbranch_execz .LBB35_4
; %bb.3:
	global_load_dword v2, v[3:4], off offset:4
.LBB35_4:
	s_or_b32 exec_lo, exec_lo, s1
	v_or_b32_e32 v13, 2, v6
	v_cmp_lt_u32_e64 s1, v13, v5
	s_and_saveexec_b32 s2, s1
	s_cbranch_execz .LBB35_6
; %bb.5:
	global_load_dword v9, v[3:4], off offset:8
.LBB35_6:
	;; [unrolled: 8-line block ×7, first 2 shown]
	s_or_b32 exec_lo, exec_lo, s7
	v_cmp_lt_i32_e64 s8, v17, v5
	v_cmp_lt_i32_e64 s9, v19, v5
	;; [unrolled: 1-line block ×6, first 2 shown]
	s_or_b32 s8, s9, s8
	s_waitcnt vmcnt(0)
	v_cndmask_b32_e64 v17, 0x7fffffff, v18, s9
	v_cndmask_b32_e64 v19, 0x7fffffff, v16, s8
	s_or_b32 s8, s8, s11
	v_mov_b32_e32 v4, v8
	v_cndmask_b32_e64 v20, 0x7fffffff, v11, s8
	s_or_b32 s8, s8, s12
	v_mov_b32_e32 v3, v24
	v_cndmask_b32_e64 v22, 0x7fffffff, v10, s8
	s_or_b32 s8, s8, s10
	s_brev_b32 s10, -2
	s_or_b32 s7, s8, s7
	v_cndmask_b32_e64 v21, 0x7fffffff, v9, s8
	v_cndmask_b32_e64 v23, 0x7fffffff, v2, s7
	v_cmp_ge_i32_e64 s7, v25, v5
	v_mov_b32_e32 v25, v8
	s_mov_b32 s8, 0
	s_and_saveexec_b32 s9, s7
	s_xor_b32 s9, exec_lo, s9
; %bb.17:
	v_cmp_lt_i32_e64 s7, v6, v5
	v_mov_b32_e32 v3, s10
	v_mov_b32_e32 v25, v4
	s_and_b32 s8, s7, exec_lo
; %bb.18:
	s_andn2_saveexec_b32 s7, s9
; %bb.19:
	s_or_b32 s8, s8, exec_lo
; %bb.20:
	s_or_b32 exec_lo, exec_lo, s7
	v_add_nc_u32_e32 v14, 1, v8
	v_add_nc_u32_e32 v15, 1, v2
	;; [unrolled: 1-line block ×8, first 2 shown]
	v_bfrev_b32_e32 v24, -2
	s_and_saveexec_b32 s12, s8
	s_cbranch_execz .LBB35_24
; %bb.21:
	v_cmp_lt_i32_e64 s7, v23, v25
	v_cmp_lt_i32_e64 s8, v22, v21
	s_mov_b32 s13, exec_lo
	v_cndmask_b32_e64 v2, v15, v14, s7
	v_cndmask_b32_e64 v14, v14, v15, s7
	;; [unrolled: 1-line block ×5, first 2 shown]
	v_cmp_lt_i32_e64 s7, v19, v20
	v_cndmask_b32_e64 v12, v12, v13, s8
	v_cndmask_b32_e64 v13, v22, v21, s8
	;; [unrolled: 1-line block ×3, first 2 shown]
	v_cmp_lt_i32_e64 s8, v3, v17
	v_cndmask_b32_e64 v21, v9, v11, s7
	v_cndmask_b32_e64 v9, v11, v9, s7
	;; [unrolled: 1-line block ×5, first 2 shown]
	v_cmp_lt_i32_e64 s7, v18, v4
	v_cndmask_b32_e64 v8, v8, v10, s8
	v_cndmask_b32_e64 v10, v3, v17, s8
	;; [unrolled: 1-line block ×3, first 2 shown]
	v_cmp_lt_i32_e64 s8, v19, v13
	v_cndmask_b32_e64 v17, v12, v2, s7
	v_cndmask_b32_e64 v2, v2, v12, s7
	;; [unrolled: 1-line block ×4, first 2 shown]
	v_cmp_lt_i32_e64 s7, v3, v11
	v_cndmask_b32_e64 v18, v9, v16, s8
	v_cndmask_b32_e64 v9, v16, v9, s8
	;; [unrolled: 1-line block ×6, first 2 shown]
	v_cmp_lt_i32_e64 s8, v4, v15
	v_cndmask_b32_e64 v21, v3, v11, s7
	v_cndmask_b32_e64 v3, v11, v3, s7
	v_cmp_lt_i32_e64 s7, v13, v12
	v_cndmask_b32_e64 v11, v2, v14, s8
	v_cndmask_b32_e64 v2, v14, v2, s8
	;; [unrolled: 1-line block ×4, first 2 shown]
	v_cmp_lt_i32_e64 s8, v3, v16
	v_cndmask_b32_e64 v15, v9, v17, s7
	v_cndmask_b32_e64 v9, v17, v9, s7
	v_cndmask_b32_e64 v17, v13, v12, s7
	v_cndmask_b32_e64 v12, v12, v13, s7
	v_cndmask_b32_e64 v13, v8, v18, s8
	v_cmp_lt_i32_e64 s7, v10, v21
	v_cndmask_b32_e64 v8, v18, v8, s8
	v_cndmask_b32_e64 v18, v3, v16, s8
	;; [unrolled: 1-line block ×3, first 2 shown]
	v_cmp_lt_i32_e64 s8, v12, v4
	v_cndmask_b32_e64 v16, v20, v19, s7
	v_cndmask_b32_e64 v19, v19, v20, s7
	;; [unrolled: 1-line block ×4, first 2 shown]
	v_cmp_lt_i32_e64 s7, v3, v17
	v_cndmask_b32_e64 v21, v9, v11, s8
	v_cndmask_b32_e64 v9, v11, v9, s8
	;; [unrolled: 1-line block ×6, first 2 shown]
	v_cmp_lt_i32_e64 s8, v10, v18
	v_cndmask_b32_e64 v15, v3, v17, s7
	v_cndmask_b32_e64 v3, v17, v3, s7
	v_cmp_lt_i32_e64 s7, v4, v14
	v_cndmask_b32_e64 v17, v19, v13, s8
	v_cndmask_b32_e64 v13, v13, v19, s8
	;; [unrolled: 1-line block ×4, first 2 shown]
	v_cmp_lt_i32_e64 s8, v3, v11
	v_cndmask_b32_e64 v18, v9, v2, s7
	v_cndmask_b32_e64 v2, v2, v9, s7
	;; [unrolled: 1-line block ×5, first 2 shown]
	v_cmp_lt_i32_e64 s7, v10, v15
	v_cndmask_b32_e64 v4, v21, v8, s8
	v_cndmask_b32_e64 v8, v3, v11, s8
	;; [unrolled: 1-line block ×3, first 2 shown]
	v_cmp_lt_i32_e64 s8, v20, v19
	v_cndmask_b32_e64 v21, v13, v12, s7
	v_cndmask_b32_e64 v12, v12, v13, s7
	;; [unrolled: 1-line block ×7, first 2 shown]
	v_cmp_lt_i32_e64 s7, v11, v14
	v_cndmask_b32_e64 v17, v20, v19, s8
	v_cmp_lt_i32_e64 s8, v10, v8
	v_cmp_lt_i32_e64 s9, v16, v13
	v_cndmask_b32_e64 v19, v4, v18, s7
	v_cndmask_b32_e64 v4, v18, v4, s7
	;; [unrolled: 1-line block ×11, first 2 shown]
	v_cmp_lt_i32_e64 s7, v14, v9
	v_cndmask_b32_e64 v23, v16, v13, s9
	v_cmp_lt_i32_e64 s8, v8, v18
	v_cmp_lt_i32_e64 s9, v24, v22
	v_cndmask_b32_e64 v25, v9, v14, s7
	v_cndmask_b32_e64 v9, v14, v9, s7
	;; [unrolled: 1-line block ×9, first 2 shown]
	v_cmp_lt_i32_e64 s8, v17, v23
	v_cndmask_b32_e64 v19, v24, v22, s9
	v_cmp_lt_i32_e64 s9, v18, v9
	v_cmp_lt_i32_e64 s10, v26, v14
	v_cndmask_b32_e64 v11, v4, v2, s7
	v_cndmask_b32_e64 v8, v10, v3, s8
	;; [unrolled: 1-line block ×8, first 2 shown]
	v_mov_b32_e32 v9, v12
	v_cmpx_lt_i32_e64 v17, v19
; %bb.22:
	v_mov_b32_e32 v14, v17
	v_swap_b32 v17, v19
	v_mov_b32_e32 v9, v8
	v_mov_b32_e32 v8, v12
; %bb.23:
	s_or_b32 exec_lo, exec_lo, s13
	v_cndmask_b32_e64 v14, v2, v4, s7
	v_cndmask_b32_e64 v10, v3, v10, s8
	v_cndmask_b32_e64 v12, v15, v11, s9
	v_cndmask_b32_e64 v15, v11, v15, s9
	v_cndmask_b32_e64 v11, v16, v13, s10
	v_cndmask_b32_e64 v13, v13, v16, s10
.LBB35_24:
	s_or_b32 exec_lo, exec_lo, s12
	v_and_b32_e32 v2, 0xf0, v6
	v_and_b32_e32 v3, 8, v6
	; wave barrier
	s_mov_b32 s9, 0
	v_min_i32_e32 v26, v5, v2
	v_min_i32_e32 v27, v5, v3
	v_mul_u32_u24_e32 v3, 0x404, v7
	s_mov_b32 s8, exec_lo
	v_add_nc_u32_e32 v2, 8, v26
	v_lshlrev_b32_e32 v31, 2, v26
	v_min_i32_e32 v18, v5, v2
	v_add_nc_u32_e32 v2, 8, v18
	v_sub_nc_u32_e32 v30, v18, v26
	v_min_i32_e32 v16, v5, v2
	v_lshlrev_b32_e32 v2, 2, v6
	v_sub_nc_u32_e32 v28, v16, v18
	v_mad_u32_u24 v4, 0x404, v7, v2
	ds_write2_b32 v4, v25, v23 offset1:1
	ds_write2_b32 v4, v21, v22 offset0:2 offset1:3
	ds_write2_b32 v4, v20, v19 offset0:4 offset1:5
	v_sub_nc_u32_e32 v29, v27, v28
	v_cmp_ge_i32_e64 s7, v27, v28
	v_mad_u32_u24 v19, 0x404, v7, v31
	ds_write2_b32 v4, v17, v24 offset0:6 offset1:7
	; wave barrier
	v_cndmask_b32_e64 v28, 0, v29, s7
	v_min_i32_e32 v29, v27, v30
	v_cmpx_lt_i32_e64 v28, v29
	s_cbranch_execz .LBB35_28
; %bb.25:
	v_lshlrev_b32_e32 v7, 2, v18
	v_lshlrev_b32_e32 v17, 2, v27
	v_add3_u32 v7, v3, v7, v17
	.p2align	6
.LBB35_26:                              ; =>This Inner Loop Header: Depth=1
	v_sub_nc_u32_e32 v17, v29, v28
	v_lshrrev_b32_e32 v17, 1, v17
	v_add_nc_u32_e32 v17, v17, v28
	v_not_b32_e32 v20, v17
	v_lshl_add_u32 v21, v17, 2, v19
	v_add_nc_u32_e32 v22, 1, v17
	v_lshl_add_u32 v20, v20, 2, v7
	ds_read_b32 v21, v21
	ds_read_b32 v20, v20
	s_waitcnt lgkmcnt(0)
	v_cmp_lt_i32_e64 s7, v20, v21
	v_cndmask_b32_e64 v29, v29, v17, s7
	v_cndmask_b32_e64 v28, v22, v28, s7
	v_cmp_ge_i32_e64 s7, v28, v29
	s_or_b32 s9, s7, s9
	s_andn2_b32 exec_lo, exec_lo, s9
	s_cbranch_execnz .LBB35_26
; %bb.27:
	s_or_b32 exec_lo, exec_lo, s9
.LBB35_28:
	s_or_b32 exec_lo, exec_lo, s8
	v_add_nc_u32_e32 v7, v18, v27
	v_lshl_add_u32 v21, v28, 2, v19
	v_add_nc_u32_e32 v22, v28, v26
                                        ; implicit-def: $vgpr20
	v_sub_nc_u32_e32 v7, v7, v28
	v_cmp_le_i32_e64 s7, v18, v22
	v_lshl_add_u32 v23, v7, 2, v3
	v_cmp_gt_i32_e64 s9, v16, v7
	ds_read_b32 v17, v21
	ds_read_b32 v19, v23
	s_waitcnt lgkmcnt(0)
	v_cmp_lt_i32_e64 s8, v19, v17
	s_or_b32 s7, s7, s8
	s_and_b32 s7, s9, s7
	s_xor_b32 s8, s7, -1
	s_and_saveexec_b32 s9, s8
	s_xor_b32 s8, exec_lo, s9
; %bb.29:
	ds_read_b32 v20, v21 offset:4
                                        ; implicit-def: $vgpr23
; %bb.30:
	s_or_saveexec_b32 s8, s8
	v_mov_b32_e32 v21, v19
	s_xor_b32 exec_lo, exec_lo, s8
	s_cbranch_execz .LBB35_32
; %bb.31:
	ds_read_b32 v21, v23 offset:4
	s_waitcnt lgkmcnt(1)
	v_mov_b32_e32 v20, v17
.LBB35_32:
	s_or_b32 exec_lo, exec_lo, s8
	v_add_nc_u32_e32 v23, 1, v22
	v_add_nc_u32_e32 v24, 1, v7
	s_waitcnt lgkmcnt(0)
	v_cmp_lt_i32_e64 s9, v21, v20
	v_cndmask_b32_e64 v25, v23, v22, s7
	v_cndmask_b32_e64 v26, v7, v24, s7
                                        ; implicit-def: $vgpr23
	v_cmp_ge_i32_e64 s8, v25, v18
	v_cmp_lt_i32_e64 s10, v26, v16
	s_or_b32 s8, s8, s9
	s_and_b32 s8, s10, s8
	s_xor_b32 s9, s8, -1
	s_and_saveexec_b32 s10, s9
	s_xor_b32 s9, exec_lo, s10
; %bb.33:
	v_lshl_add_u32 v23, v25, 2, v3
	ds_read_b32 v23, v23 offset:4
; %bb.34:
	s_or_saveexec_b32 s9, s9
	v_mov_b32_e32 v24, v21
	s_xor_b32 exec_lo, exec_lo, s9
	s_cbranch_execz .LBB35_36
; %bb.35:
	s_waitcnt lgkmcnt(0)
	v_lshl_add_u32 v23, v26, 2, v3
	ds_read_b32 v24, v23 offset:4
	v_mov_b32_e32 v23, v20
.LBB35_36:
	s_or_b32 exec_lo, exec_lo, s9
	v_add_nc_u32_e32 v27, 1, v25
	v_add_nc_u32_e32 v28, 1, v26
	s_waitcnt lgkmcnt(0)
	v_cmp_lt_i32_e64 s10, v24, v23
                                        ; implicit-def: $vgpr29
	v_cndmask_b32_e64 v27, v27, v25, s8
	v_cndmask_b32_e64 v28, v26, v28, s8
	v_cmp_ge_i32_e64 s9, v27, v18
	v_cmp_lt_i32_e64 s11, v28, v16
	s_or_b32 s9, s9, s10
	s_and_b32 s9, s11, s9
	s_xor_b32 s10, s9, -1
	s_and_saveexec_b32 s11, s10
	s_xor_b32 s10, exec_lo, s11
; %bb.37:
	v_lshl_add_u32 v29, v27, 2, v3
	ds_read_b32 v29, v29 offset:4
; %bb.38:
	s_or_saveexec_b32 s10, s10
	v_mov_b32_e32 v30, v24
	s_xor_b32 exec_lo, exec_lo, s10
	s_cbranch_execz .LBB35_40
; %bb.39:
	s_waitcnt lgkmcnt(0)
	v_lshl_add_u32 v29, v28, 2, v3
	ds_read_b32 v30, v29 offset:4
	v_mov_b32_e32 v29, v23
.LBB35_40:
	s_or_b32 exec_lo, exec_lo, s10
	v_add_nc_u32_e32 v31, 1, v27
	v_add_nc_u32_e32 v32, 1, v28
	s_waitcnt lgkmcnt(0)
	v_cmp_lt_i32_e64 s11, v30, v29
                                        ; implicit-def: $vgpr33
	v_cndmask_b32_e64 v31, v31, v27, s9
	v_cndmask_b32_e64 v32, v28, v32, s9
	v_cmp_ge_i32_e64 s10, v31, v18
	v_cmp_lt_i32_e64 s12, v32, v16
	s_or_b32 s10, s10, s11
	s_and_b32 s10, s12, s10
	s_xor_b32 s11, s10, -1
	s_and_saveexec_b32 s12, s11
	s_xor_b32 s11, exec_lo, s12
; %bb.41:
	v_lshl_add_u32 v33, v31, 2, v3
	ds_read_b32 v33, v33 offset:4
; %bb.42:
	s_or_saveexec_b32 s11, s11
	v_mov_b32_e32 v34, v30
	s_xor_b32 exec_lo, exec_lo, s11
	s_cbranch_execz .LBB35_44
; %bb.43:
	s_waitcnt lgkmcnt(0)
	v_lshl_add_u32 v33, v32, 2, v3
	ds_read_b32 v34, v33 offset:4
	v_mov_b32_e32 v33, v29
.LBB35_44:
	s_or_b32 exec_lo, exec_lo, s11
	v_add_nc_u32_e32 v35, 1, v31
	v_add_nc_u32_e32 v36, 1, v32
	s_waitcnt lgkmcnt(0)
	v_cmp_lt_i32_e64 s12, v34, v33
                                        ; implicit-def: $vgpr37
	v_cndmask_b32_e64 v35, v35, v31, s10
	v_cndmask_b32_e64 v36, v32, v36, s10
	v_cmp_ge_i32_e64 s11, v35, v18
	v_cmp_lt_i32_e64 s13, v36, v16
	s_or_b32 s11, s11, s12
	s_and_b32 s11, s13, s11
	s_xor_b32 s12, s11, -1
	s_and_saveexec_b32 s13, s12
	s_xor_b32 s12, exec_lo, s13
; %bb.45:
	v_lshl_add_u32 v37, v35, 2, v3
	ds_read_b32 v37, v37 offset:4
; %bb.46:
	s_or_saveexec_b32 s12, s12
	v_mov_b32_e32 v38, v34
	s_xor_b32 exec_lo, exec_lo, s12
	s_cbranch_execz .LBB35_48
; %bb.47:
	s_waitcnt lgkmcnt(0)
	v_lshl_add_u32 v37, v36, 2, v3
	ds_read_b32 v38, v37 offset:4
	v_mov_b32_e32 v37, v33
.LBB35_48:
	s_or_b32 exec_lo, exec_lo, s12
	v_add_nc_u32_e32 v39, 1, v35
	v_add_nc_u32_e32 v41, 1, v36
	s_waitcnt lgkmcnt(0)
	v_cmp_lt_i32_e64 s13, v38, v37
                                        ; implicit-def: $vgpr43
	v_cndmask_b32_e64 v40, v39, v35, s11
	v_cndmask_b32_e64 v41, v36, v41, s11
	v_cmp_ge_i32_e64 s12, v40, v18
	v_cmp_lt_i32_e64 s14, v41, v16
	s_or_b32 s12, s12, s13
	s_and_b32 s12, s14, s12
	s_xor_b32 s13, s12, -1
	s_and_saveexec_b32 s14, s13
	s_xor_b32 s13, exec_lo, s14
; %bb.49:
	v_lshl_add_u32 v39, v40, 2, v3
	ds_read_b32 v43, v39 offset:4
; %bb.50:
	s_or_saveexec_b32 s13, s13
	v_mov_b32_e32 v44, v38
	s_xor_b32 exec_lo, exec_lo, s13
	s_cbranch_execz .LBB35_52
; %bb.51:
	v_lshl_add_u32 v39, v41, 2, v3
	s_waitcnt lgkmcnt(0)
	v_mov_b32_e32 v43, v37
	ds_read_b32 v44, v39 offset:4
.LBB35_52:
	s_or_b32 exec_lo, exec_lo, s13
	v_add_nc_u32_e32 v39, 1, v40
	v_add_nc_u32_e32 v42, 1, v41
	s_waitcnt lgkmcnt(0)
	v_cmp_lt_i32_e64 s14, v44, v43
	v_cndmask_b32_e64 v45, v39, v40, s12
	v_cndmask_b32_e64 v46, v41, v42, s12
                                        ; implicit-def: $vgpr39
	v_cmp_ge_i32_e64 s13, v45, v18
	v_cmp_lt_i32_e64 s15, v46, v16
	s_or_b32 s13, s13, s14
	s_and_b32 s13, s15, s13
	s_xor_b32 s14, s13, -1
	s_and_saveexec_b32 s15, s14
	s_xor_b32 s14, exec_lo, s15
; %bb.53:
	v_lshl_add_u32 v39, v45, 2, v3
	ds_read_b32 v39, v39 offset:4
; %bb.54:
	s_or_saveexec_b32 s14, s14
	v_mov_b32_e32 v42, v44
	s_xor_b32 exec_lo, exec_lo, s14
	s_cbranch_execz .LBB35_56
; %bb.55:
	s_waitcnt lgkmcnt(0)
	v_lshl_add_u32 v39, v46, 2, v3
	ds_read_b32 v42, v39 offset:4
	v_mov_b32_e32 v39, v43
.LBB35_56:
	s_or_b32 exec_lo, exec_lo, s14
	v_add_nc_u32_e32 v48, 1, v45
	v_cndmask_b32_e64 v43, v43, v44, s13
	v_cndmask_b32_e64 v44, v45, v46, s13
	v_add_nc_u32_e32 v47, 1, v46
	v_cndmask_b32_e64 v29, v29, v30, s10
	v_cndmask_b32_e64 v45, v48, v45, s13
	;; [unrolled: 1-line block ×6, first 2 shown]
	v_cmp_ge_i32_e64 s10, v45, v18
	v_and_b32_e32 v18, 0xe0, v6
	v_cndmask_b32_e64 v38, v40, v41, s12
	v_cmp_lt_i32_e64 s12, v46, v16
	v_cndmask_b32_e64 v33, v33, v34, s11
	v_cndmask_b32_e64 v34, v35, v36, s11
	v_min_i32_e32 v22, v5, v18
	s_waitcnt lgkmcnt(0)
	v_cmp_lt_i32_e64 s11, v42, v39
	v_cndmask_b32_e64 v25, v25, v26, s8
	v_cndmask_b32_e64 v27, v27, v28, s9
	v_add_nc_u32_e32 v16, 16, v22
	s_or_b32 s10, s10, s11
	; wave barrier
	s_and_b32 s10, s12, s10
	ds_write2_b32 v4, v14, v15 offset1:1
	ds_write2_b32 v4, v12, v13 offset0:2 offset1:3
	ds_write2_b32 v4, v11, v9 offset0:4 offset1:5
	;; [unrolled: 1-line block ×3, first 2 shown]
	v_min_i32_e32 v16, v5, v16
	v_cndmask_b32_e64 v18, v45, v46, s10
	v_lshl_add_u32 v7, v7, 2, v3
	v_and_b32_e32 v13, 24, v6
	v_lshl_add_u32 v8, v25, 2, v3
	v_add_nc_u32_e32 v9, 16, v16
	v_lshl_add_u32 v10, v27, 2, v3
	v_lshl_add_u32 v11, v30, 2, v3
	;; [unrolled: 1-line block ×4, first 2 shown]
	; wave barrier
	v_min_i32_e32 v15, v5, v9
	v_lshl_add_u32 v25, v44, 2, v3
	v_lshl_add_u32 v27, v18, 2, v3
	v_min_i32_e32 v18, v5, v13
	ds_read_b32 v7, v7
	ds_read_b32 v8, v8
	;; [unrolled: 1-line block ×8, first 2 shown]
	v_sub_nc_u32_e32 v28, v15, v16
	v_cndmask_b32_e64 v21, v20, v21, s8
	v_cndmask_b32_e64 v17, v17, v19, s7
	v_sub_nc_u32_e32 v20, v16, v22
	v_cndmask_b32_e64 v23, v23, v24, s9
	v_sub_nc_u32_e32 v19, v18, v28
	v_cmp_ge_i32_e64 s7, v18, v28
	v_cndmask_b32_e64 v26, v39, v42, s10
	; wave barrier
	v_min_i32_e32 v20, v18, v20
	v_cndmask_b32_e64 v19, 0, v19, s7
	ds_write2_b32 v4, v17, v21 offset1:1
	ds_write2_b32 v4, v23, v29 offset0:2 offset1:3
	ds_write2_b32 v4, v33, v37 offset0:4 offset1:5
	v_lshl_add_u32 v17, v22, 2, v3
	s_mov_b32 s9, 0
	s_mov_b32 s8, exec_lo
	ds_write2_b32 v4, v43, v26 offset0:6 offset1:7
	; wave barrier
	v_cmpx_lt_i32_e64 v19, v20
	s_cbranch_execz .LBB35_60
; %bb.57:
	v_lshlrev_b32_e32 v21, 2, v16
	v_lshlrev_b32_e32 v23, 2, v18
	v_add3_u32 v21, v3, v21, v23
	.p2align	6
.LBB35_58:                              ; =>This Inner Loop Header: Depth=1
	v_sub_nc_u32_e32 v23, v20, v19
	v_lshrrev_b32_e32 v23, 1, v23
	v_add_nc_u32_e32 v23, v23, v19
	v_not_b32_e32 v24, v23
	v_lshl_add_u32 v25, v23, 2, v17
	v_add_nc_u32_e32 v26, 1, v23
	v_lshl_add_u32 v24, v24, 2, v21
	ds_read_b32 v25, v25
	ds_read_b32 v24, v24
	s_waitcnt lgkmcnt(0)
	v_cmp_lt_i32_e64 s7, v24, v25
	v_cndmask_b32_e64 v20, v20, v23, s7
	v_cndmask_b32_e64 v19, v26, v19, s7
	v_cmp_ge_i32_e64 s7, v19, v20
	s_or_b32 s9, s7, s9
	s_andn2_b32 exec_lo, exec_lo, s9
	s_cbranch_execnz .LBB35_58
; %bb.59:
	s_or_b32 exec_lo, exec_lo, s9
.LBB35_60:
	s_or_b32 exec_lo, exec_lo, s8
	v_add_nc_u32_e32 v18, v16, v18
	v_lshl_add_u32 v20, v19, 2, v17
	v_add_nc_u32_e32 v22, v19, v22
	v_sub_nc_u32_e32 v21, v18, v19
                                        ; implicit-def: $vgpr19
	v_cmp_le_i32_e64 s7, v16, v22
	v_lshl_add_u32 v23, v21, 2, v3
	v_cmp_gt_i32_e64 s9, v15, v21
	ds_read_b32 v17, v20
	ds_read_b32 v18, v23
	s_waitcnt lgkmcnt(0)
	v_cmp_lt_i32_e64 s8, v18, v17
	s_or_b32 s7, s7, s8
	s_and_b32 s7, s9, s7
	s_xor_b32 s8, s7, -1
	s_and_saveexec_b32 s9, s8
	s_xor_b32 s8, exec_lo, s9
; %bb.61:
	ds_read_b32 v19, v20 offset:4
                                        ; implicit-def: $vgpr23
; %bb.62:
	s_or_saveexec_b32 s8, s8
	v_mov_b32_e32 v20, v18
	s_xor_b32 exec_lo, exec_lo, s8
	s_cbranch_execz .LBB35_64
; %bb.63:
	ds_read_b32 v20, v23 offset:4
	s_waitcnt lgkmcnt(1)
	v_mov_b32_e32 v19, v17
.LBB35_64:
	s_or_b32 exec_lo, exec_lo, s8
	v_add_nc_u32_e32 v23, 1, v22
	v_add_nc_u32_e32 v24, 1, v21
	s_waitcnt lgkmcnt(0)
	v_cmp_lt_i32_e64 s9, v20, v19
	v_cndmask_b32_e64 v25, v23, v22, s7
	v_cndmask_b32_e64 v26, v21, v24, s7
                                        ; implicit-def: $vgpr23
	v_cmp_ge_i32_e64 s8, v25, v16
	v_cmp_lt_i32_e64 s10, v26, v15
	s_or_b32 s8, s8, s9
	s_and_b32 s8, s10, s8
	s_xor_b32 s9, s8, -1
	s_and_saveexec_b32 s10, s9
	s_xor_b32 s9, exec_lo, s10
; %bb.65:
	v_lshl_add_u32 v23, v25, 2, v3
	ds_read_b32 v23, v23 offset:4
; %bb.66:
	s_or_saveexec_b32 s9, s9
	v_mov_b32_e32 v24, v20
	s_xor_b32 exec_lo, exec_lo, s9
	s_cbranch_execz .LBB35_68
; %bb.67:
	s_waitcnt lgkmcnt(0)
	v_lshl_add_u32 v23, v26, 2, v3
	ds_read_b32 v24, v23 offset:4
	v_mov_b32_e32 v23, v19
.LBB35_68:
	s_or_b32 exec_lo, exec_lo, s9
	v_add_nc_u32_e32 v27, 1, v25
	v_add_nc_u32_e32 v28, 1, v26
	s_waitcnt lgkmcnt(0)
	v_cmp_lt_i32_e64 s10, v24, v23
                                        ; implicit-def: $vgpr29
	v_cndmask_b32_e64 v27, v27, v25, s8
	v_cndmask_b32_e64 v28, v26, v28, s8
	v_cmp_ge_i32_e64 s9, v27, v16
	v_cmp_lt_i32_e64 s11, v28, v15
	s_or_b32 s9, s9, s10
	s_and_b32 s9, s11, s9
	s_xor_b32 s10, s9, -1
	s_and_saveexec_b32 s11, s10
	s_xor_b32 s10, exec_lo, s11
; %bb.69:
	v_lshl_add_u32 v29, v27, 2, v3
	ds_read_b32 v29, v29 offset:4
; %bb.70:
	s_or_saveexec_b32 s10, s10
	v_mov_b32_e32 v30, v24
	s_xor_b32 exec_lo, exec_lo, s10
	s_cbranch_execz .LBB35_72
; %bb.71:
	s_waitcnt lgkmcnt(0)
	v_lshl_add_u32 v29, v28, 2, v3
	ds_read_b32 v30, v29 offset:4
	v_mov_b32_e32 v29, v23
.LBB35_72:
	s_or_b32 exec_lo, exec_lo, s10
	v_add_nc_u32_e32 v31, 1, v27
	v_add_nc_u32_e32 v32, 1, v28
	s_waitcnt lgkmcnt(0)
	v_cmp_lt_i32_e64 s11, v30, v29
                                        ; implicit-def: $vgpr33
	v_cndmask_b32_e64 v31, v31, v27, s9
	v_cndmask_b32_e64 v32, v28, v32, s9
	v_cmp_ge_i32_e64 s10, v31, v16
	v_cmp_lt_i32_e64 s12, v32, v15
	s_or_b32 s10, s10, s11
	s_and_b32 s10, s12, s10
	s_xor_b32 s11, s10, -1
	s_and_saveexec_b32 s12, s11
	s_xor_b32 s11, exec_lo, s12
; %bb.73:
	v_lshl_add_u32 v33, v31, 2, v3
	ds_read_b32 v33, v33 offset:4
; %bb.74:
	s_or_saveexec_b32 s11, s11
	v_mov_b32_e32 v34, v30
	s_xor_b32 exec_lo, exec_lo, s11
	s_cbranch_execz .LBB35_76
; %bb.75:
	s_waitcnt lgkmcnt(0)
	v_lshl_add_u32 v33, v32, 2, v3
	ds_read_b32 v34, v33 offset:4
	v_mov_b32_e32 v33, v29
.LBB35_76:
	s_or_b32 exec_lo, exec_lo, s11
	v_add_nc_u32_e32 v35, 1, v31
	v_add_nc_u32_e32 v36, 1, v32
	s_waitcnt lgkmcnt(0)
	v_cmp_lt_i32_e64 s12, v34, v33
                                        ; implicit-def: $vgpr37
	v_cndmask_b32_e64 v35, v35, v31, s10
	v_cndmask_b32_e64 v36, v32, v36, s10
	v_cmp_ge_i32_e64 s11, v35, v16
	v_cmp_lt_i32_e64 s13, v36, v15
	s_or_b32 s11, s11, s12
	s_and_b32 s11, s13, s11
	s_xor_b32 s12, s11, -1
	s_and_saveexec_b32 s13, s12
	s_xor_b32 s12, exec_lo, s13
; %bb.77:
	v_lshl_add_u32 v37, v35, 2, v3
	ds_read_b32 v37, v37 offset:4
; %bb.78:
	s_or_saveexec_b32 s12, s12
	v_mov_b32_e32 v38, v34
	s_xor_b32 exec_lo, exec_lo, s12
	s_cbranch_execz .LBB35_80
; %bb.79:
	s_waitcnt lgkmcnt(0)
	v_lshl_add_u32 v37, v36, 2, v3
	ds_read_b32 v38, v37 offset:4
	v_mov_b32_e32 v37, v33
.LBB35_80:
	s_or_b32 exec_lo, exec_lo, s12
	v_add_nc_u32_e32 v39, 1, v35
	v_add_nc_u32_e32 v41, 1, v36
	s_waitcnt lgkmcnt(0)
	v_cmp_lt_i32_e64 s13, v38, v37
                                        ; implicit-def: $vgpr43
	v_cndmask_b32_e64 v40, v39, v35, s11
	v_cndmask_b32_e64 v41, v36, v41, s11
	v_cmp_ge_i32_e64 s12, v40, v16
	v_cmp_lt_i32_e64 s14, v41, v15
	s_or_b32 s12, s12, s13
	s_and_b32 s12, s14, s12
	s_xor_b32 s13, s12, -1
	s_and_saveexec_b32 s14, s13
	s_xor_b32 s13, exec_lo, s14
; %bb.81:
	v_lshl_add_u32 v39, v40, 2, v3
	ds_read_b32 v43, v39 offset:4
; %bb.82:
	s_or_saveexec_b32 s13, s13
	v_mov_b32_e32 v44, v38
	s_xor_b32 exec_lo, exec_lo, s13
	s_cbranch_execz .LBB35_84
; %bb.83:
	v_lshl_add_u32 v39, v41, 2, v3
	s_waitcnt lgkmcnt(0)
	v_mov_b32_e32 v43, v37
	ds_read_b32 v44, v39 offset:4
.LBB35_84:
	s_or_b32 exec_lo, exec_lo, s13
	v_add_nc_u32_e32 v39, 1, v40
	v_add_nc_u32_e32 v42, 1, v41
	s_waitcnt lgkmcnt(0)
	v_cmp_lt_i32_e64 s14, v44, v43
	v_cndmask_b32_e64 v45, v39, v40, s12
	v_cndmask_b32_e64 v46, v41, v42, s12
                                        ; implicit-def: $vgpr39
	v_cmp_ge_i32_e64 s13, v45, v16
	v_cmp_lt_i32_e64 s15, v46, v15
	s_or_b32 s13, s13, s14
	s_and_b32 s13, s15, s13
	s_xor_b32 s14, s13, -1
	s_and_saveexec_b32 s15, s14
	s_xor_b32 s14, exec_lo, s15
; %bb.85:
	v_lshl_add_u32 v39, v45, 2, v3
	ds_read_b32 v39, v39 offset:4
; %bb.86:
	s_or_saveexec_b32 s14, s14
	v_mov_b32_e32 v42, v44
	s_xor_b32 exec_lo, exec_lo, s14
	s_cbranch_execz .LBB35_88
; %bb.87:
	s_waitcnt lgkmcnt(0)
	v_lshl_add_u32 v39, v46, 2, v3
	ds_read_b32 v42, v39 offset:4
	v_mov_b32_e32 v39, v43
.LBB35_88:
	s_or_b32 exec_lo, exec_lo, s14
	v_add_nc_u32_e32 v48, 1, v45
	v_cndmask_b32_e64 v43, v43, v44, s13
	v_cndmask_b32_e64 v44, v45, v46, s13
	;; [unrolled: 1-line block ×5, first 2 shown]
	v_add_nc_u32_e32 v47, 1, v46
	v_cndmask_b32_e64 v21, v22, v21, s7
	v_cndmask_b32_e64 v33, v33, v34, s11
	;; [unrolled: 1-line block ×3, first 2 shown]
	v_cmp_ge_i32_e64 s10, v45, v16
	v_and_b32_e32 v16, 0xc0, v6
	v_cndmask_b32_e64 v46, v46, v47, s13
	s_waitcnt lgkmcnt(0)
	v_cmp_lt_i32_e64 s11, v42, v39
	v_cndmask_b32_e64 v37, v37, v38, s12
	v_cndmask_b32_e64 v38, v40, v41, s12
	v_min_i32_e32 v22, v5, v16
	v_cmp_lt_i32_e64 s12, v46, v15
	v_cndmask_b32_e64 v15, v25, v26, s8
	s_or_b32 s10, s10, s11
	v_cndmask_b32_e64 v27, v27, v28, s9
	v_add_nc_u32_e32 v16, 32, v22
	s_and_b32 s10, s12, s10
	v_cndmask_b32_e64 v26, v45, v46, s10
	; wave barrier
	v_min_i32_e32 v16, v5, v16
	ds_write2_b32 v4, v7, v8 offset1:1
	ds_write2_b32 v4, v9, v10 offset0:2 offset1:3
	ds_write2_b32 v4, v11, v12 offset0:4 offset1:5
	;; [unrolled: 1-line block ×3, first 2 shown]
	v_lshl_add_u32 v7, v21, 2, v3
	v_and_b32_e32 v13, 56, v6
	v_lshl_add_u32 v8, v15, 2, v3
	v_add_nc_u32_e32 v9, 32, v16
	v_lshl_add_u32 v10, v27, 2, v3
	v_lshl_add_u32 v11, v30, 2, v3
	;; [unrolled: 1-line block ×4, first 2 shown]
	; wave barrier
	v_min_i32_e32 v15, v5, v9
	v_lshl_add_u32 v27, v44, 2, v3
	v_lshl_add_u32 v26, v26, 2, v3
	v_min_i32_e32 v21, v5, v13
	ds_read_b32 v7, v7
	ds_read_b32 v8, v8
	;; [unrolled: 1-line block ×8, first 2 shown]
	v_sub_nc_u32_e32 v28, v15, v16
	v_cndmask_b32_e64 v23, v23, v24, s9
	v_cndmask_b32_e64 v20, v19, v20, s8
	v_cndmask_b32_e64 v17, v17, v18, s7
	v_sub_nc_u32_e32 v24, v16, v22
	v_sub_nc_u32_e32 v18, v21, v28
	v_cmp_ge_i32_e64 s7, v21, v28
	v_cndmask_b32_e64 v25, v39, v42, s10
	; wave barrier
	ds_write2_b32 v4, v17, v20 offset1:1
	ds_write2_b32 v4, v23, v29 offset0:2 offset1:3
	ds_write2_b32 v4, v33, v37 offset0:4 offset1:5
	v_cndmask_b32_e64 v19, 0, v18, s7
	v_min_i32_e32 v18, v21, v24
	v_lshl_add_u32 v17, v22, 2, v3
	s_mov_b32 s9, 0
	s_mov_b32 s8, exec_lo
	ds_write2_b32 v4, v43, v25 offset0:6 offset1:7
	; wave barrier
	v_cmpx_lt_i32_e64 v19, v18
	s_cbranch_execz .LBB35_92
; %bb.89:
	v_lshlrev_b32_e32 v20, 2, v16
	v_lshlrev_b32_e32 v23, 2, v21
	v_add3_u32 v20, v3, v20, v23
	.p2align	6
.LBB35_90:                              ; =>This Inner Loop Header: Depth=1
	v_sub_nc_u32_e32 v23, v18, v19
	v_lshrrev_b32_e32 v23, 1, v23
	v_add_nc_u32_e32 v23, v23, v19
	v_not_b32_e32 v24, v23
	v_lshl_add_u32 v25, v23, 2, v17
	v_add_nc_u32_e32 v26, 1, v23
	v_lshl_add_u32 v24, v24, 2, v20
	ds_read_b32 v25, v25
	ds_read_b32 v24, v24
	s_waitcnt lgkmcnt(0)
	v_cmp_lt_i32_e64 s7, v24, v25
	v_cndmask_b32_e64 v18, v18, v23, s7
	v_cndmask_b32_e64 v19, v26, v19, s7
	v_cmp_ge_i32_e64 s7, v19, v18
	s_or_b32 s9, s7, s9
	s_andn2_b32 exec_lo, exec_lo, s9
	s_cbranch_execnz .LBB35_90
; %bb.91:
	s_or_b32 exec_lo, exec_lo, s9
.LBB35_92:
	s_or_b32 exec_lo, exec_lo, s8
	v_add_nc_u32_e32 v18, v16, v21
	v_lshl_add_u32 v20, v19, 2, v17
	v_add_nc_u32_e32 v22, v19, v22
	v_sub_nc_u32_e32 v21, v18, v19
                                        ; implicit-def: $vgpr19
	v_cmp_le_i32_e64 s7, v16, v22
	v_lshl_add_u32 v23, v21, 2, v3
	v_cmp_gt_i32_e64 s9, v15, v21
	ds_read_b32 v17, v20
	ds_read_b32 v18, v23
	s_waitcnt lgkmcnt(0)
	v_cmp_lt_i32_e64 s8, v18, v17
	s_or_b32 s7, s7, s8
	s_and_b32 s7, s9, s7
	s_xor_b32 s8, s7, -1
	s_and_saveexec_b32 s9, s8
	s_xor_b32 s8, exec_lo, s9
; %bb.93:
	ds_read_b32 v19, v20 offset:4
                                        ; implicit-def: $vgpr23
; %bb.94:
	s_or_saveexec_b32 s8, s8
	v_mov_b32_e32 v20, v18
	s_xor_b32 exec_lo, exec_lo, s8
	s_cbranch_execz .LBB35_96
; %bb.95:
	ds_read_b32 v20, v23 offset:4
	s_waitcnt lgkmcnt(1)
	v_mov_b32_e32 v19, v17
.LBB35_96:
	s_or_b32 exec_lo, exec_lo, s8
	v_add_nc_u32_e32 v23, 1, v22
	v_add_nc_u32_e32 v24, 1, v21
	s_waitcnt lgkmcnt(0)
	v_cmp_lt_i32_e64 s9, v20, v19
	v_cndmask_b32_e64 v25, v23, v22, s7
	v_cndmask_b32_e64 v26, v21, v24, s7
                                        ; implicit-def: $vgpr23
	v_cmp_ge_i32_e64 s8, v25, v16
	v_cmp_lt_i32_e64 s10, v26, v15
	s_or_b32 s8, s8, s9
	s_and_b32 s8, s10, s8
	s_xor_b32 s9, s8, -1
	s_and_saveexec_b32 s10, s9
	s_xor_b32 s9, exec_lo, s10
; %bb.97:
	v_lshl_add_u32 v23, v25, 2, v3
	ds_read_b32 v23, v23 offset:4
; %bb.98:
	s_or_saveexec_b32 s9, s9
	v_mov_b32_e32 v24, v20
	s_xor_b32 exec_lo, exec_lo, s9
	s_cbranch_execz .LBB35_100
; %bb.99:
	s_waitcnt lgkmcnt(0)
	v_lshl_add_u32 v23, v26, 2, v3
	ds_read_b32 v24, v23 offset:4
	v_mov_b32_e32 v23, v19
.LBB35_100:
	s_or_b32 exec_lo, exec_lo, s9
	v_add_nc_u32_e32 v27, 1, v25
	v_add_nc_u32_e32 v28, 1, v26
	s_waitcnt lgkmcnt(0)
	v_cmp_lt_i32_e64 s10, v24, v23
                                        ; implicit-def: $vgpr29
	v_cndmask_b32_e64 v27, v27, v25, s8
	v_cndmask_b32_e64 v28, v26, v28, s8
	v_cmp_ge_i32_e64 s9, v27, v16
	v_cmp_lt_i32_e64 s11, v28, v15
	s_or_b32 s9, s9, s10
	s_and_b32 s9, s11, s9
	s_xor_b32 s10, s9, -1
	s_and_saveexec_b32 s11, s10
	s_xor_b32 s10, exec_lo, s11
; %bb.101:
	v_lshl_add_u32 v29, v27, 2, v3
	ds_read_b32 v29, v29 offset:4
; %bb.102:
	s_or_saveexec_b32 s10, s10
	v_mov_b32_e32 v30, v24
	s_xor_b32 exec_lo, exec_lo, s10
	s_cbranch_execz .LBB35_104
; %bb.103:
	s_waitcnt lgkmcnt(0)
	v_lshl_add_u32 v29, v28, 2, v3
	ds_read_b32 v30, v29 offset:4
	v_mov_b32_e32 v29, v23
.LBB35_104:
	s_or_b32 exec_lo, exec_lo, s10
	v_add_nc_u32_e32 v31, 1, v27
	v_add_nc_u32_e32 v32, 1, v28
	s_waitcnt lgkmcnt(0)
	v_cmp_lt_i32_e64 s11, v30, v29
                                        ; implicit-def: $vgpr33
	v_cndmask_b32_e64 v31, v31, v27, s9
	v_cndmask_b32_e64 v32, v28, v32, s9
	v_cmp_ge_i32_e64 s10, v31, v16
	v_cmp_lt_i32_e64 s12, v32, v15
	s_or_b32 s10, s10, s11
	s_and_b32 s10, s12, s10
	s_xor_b32 s11, s10, -1
	s_and_saveexec_b32 s12, s11
	s_xor_b32 s11, exec_lo, s12
; %bb.105:
	v_lshl_add_u32 v33, v31, 2, v3
	ds_read_b32 v33, v33 offset:4
; %bb.106:
	s_or_saveexec_b32 s11, s11
	v_mov_b32_e32 v34, v30
	s_xor_b32 exec_lo, exec_lo, s11
	s_cbranch_execz .LBB35_108
; %bb.107:
	s_waitcnt lgkmcnt(0)
	v_lshl_add_u32 v33, v32, 2, v3
	ds_read_b32 v34, v33 offset:4
	v_mov_b32_e32 v33, v29
.LBB35_108:
	s_or_b32 exec_lo, exec_lo, s11
	v_add_nc_u32_e32 v35, 1, v31
	v_add_nc_u32_e32 v36, 1, v32
	s_waitcnt lgkmcnt(0)
	v_cmp_lt_i32_e64 s12, v34, v33
                                        ; implicit-def: $vgpr37
	v_cndmask_b32_e64 v35, v35, v31, s10
	v_cndmask_b32_e64 v36, v32, v36, s10
	v_cmp_ge_i32_e64 s11, v35, v16
	v_cmp_lt_i32_e64 s13, v36, v15
	s_or_b32 s11, s11, s12
	s_and_b32 s11, s13, s11
	s_xor_b32 s12, s11, -1
	s_and_saveexec_b32 s13, s12
	s_xor_b32 s12, exec_lo, s13
; %bb.109:
	v_lshl_add_u32 v37, v35, 2, v3
	ds_read_b32 v37, v37 offset:4
; %bb.110:
	s_or_saveexec_b32 s12, s12
	v_mov_b32_e32 v38, v34
	s_xor_b32 exec_lo, exec_lo, s12
	s_cbranch_execz .LBB35_112
; %bb.111:
	s_waitcnt lgkmcnt(0)
	v_lshl_add_u32 v37, v36, 2, v3
	ds_read_b32 v38, v37 offset:4
	v_mov_b32_e32 v37, v33
.LBB35_112:
	s_or_b32 exec_lo, exec_lo, s12
	v_add_nc_u32_e32 v39, 1, v35
	v_add_nc_u32_e32 v41, 1, v36
	s_waitcnt lgkmcnt(0)
	v_cmp_lt_i32_e64 s13, v38, v37
                                        ; implicit-def: $vgpr43
	v_cndmask_b32_e64 v40, v39, v35, s11
	v_cndmask_b32_e64 v41, v36, v41, s11
	v_cmp_ge_i32_e64 s12, v40, v16
	v_cmp_lt_i32_e64 s14, v41, v15
	s_or_b32 s12, s12, s13
	s_and_b32 s12, s14, s12
	s_xor_b32 s13, s12, -1
	s_and_saveexec_b32 s14, s13
	s_xor_b32 s13, exec_lo, s14
; %bb.113:
	v_lshl_add_u32 v39, v40, 2, v3
	ds_read_b32 v43, v39 offset:4
; %bb.114:
	s_or_saveexec_b32 s13, s13
	v_mov_b32_e32 v44, v38
	s_xor_b32 exec_lo, exec_lo, s13
	s_cbranch_execz .LBB35_116
; %bb.115:
	v_lshl_add_u32 v39, v41, 2, v3
	s_waitcnt lgkmcnt(0)
	v_mov_b32_e32 v43, v37
	ds_read_b32 v44, v39 offset:4
.LBB35_116:
	s_or_b32 exec_lo, exec_lo, s13
	v_add_nc_u32_e32 v39, 1, v40
	v_add_nc_u32_e32 v42, 1, v41
	s_waitcnt lgkmcnt(0)
	v_cmp_lt_i32_e64 s14, v44, v43
	v_cndmask_b32_e64 v45, v39, v40, s12
	v_cndmask_b32_e64 v46, v41, v42, s12
                                        ; implicit-def: $vgpr39
	v_cmp_ge_i32_e64 s13, v45, v16
	v_cmp_lt_i32_e64 s15, v46, v15
	s_or_b32 s13, s13, s14
	s_and_b32 s13, s15, s13
	s_xor_b32 s14, s13, -1
	s_and_saveexec_b32 s15, s14
	s_xor_b32 s14, exec_lo, s15
; %bb.117:
	v_lshl_add_u32 v39, v45, 2, v3
	ds_read_b32 v39, v39 offset:4
; %bb.118:
	s_or_saveexec_b32 s14, s14
	v_mov_b32_e32 v42, v44
	s_xor_b32 exec_lo, exec_lo, s14
	s_cbranch_execz .LBB35_120
; %bb.119:
	s_waitcnt lgkmcnt(0)
	v_lshl_add_u32 v39, v46, 2, v3
	ds_read_b32 v42, v39 offset:4
	v_mov_b32_e32 v39, v43
.LBB35_120:
	s_or_b32 exec_lo, exec_lo, s14
	v_add_nc_u32_e32 v48, 1, v45
	v_cndmask_b32_e64 v43, v43, v44, s13
	v_cndmask_b32_e64 v44, v45, v46, s13
	v_add_nc_u32_e32 v47, 1, v46
	v_cndmask_b32_e64 v29, v29, v30, s10
	v_cndmask_b32_e64 v45, v48, v45, s13
	;; [unrolled: 1-line block ×6, first 2 shown]
	v_cmp_ge_i32_e64 s10, v45, v16
	v_and_b32_e32 v16, 0x80, v6
	v_cndmask_b32_e64 v38, v40, v41, s12
	v_cmp_lt_i32_e64 s12, v46, v15
	v_cndmask_b32_e64 v33, v33, v34, s11
	v_cndmask_b32_e64 v34, v35, v36, s11
	v_min_i32_e32 v21, v5, v16
	s_waitcnt lgkmcnt(0)
	v_cmp_lt_i32_e64 s11, v42, v39
	v_cndmask_b32_e64 v25, v25, v26, s8
	v_cndmask_b32_e64 v27, v27, v28, s9
	v_add_nc_u32_e32 v15, 64, v21
	s_or_b32 s10, s10, s11
	; wave barrier
	s_and_b32 s10, s12, s10
	ds_write2_b32 v4, v7, v8 offset1:1
	ds_write2_b32 v4, v9, v10 offset0:2 offset1:3
	ds_write2_b32 v4, v11, v12 offset0:4 offset1:5
	;; [unrolled: 1-line block ×3, first 2 shown]
	v_min_i32_e32 v15, v5, v15
	v_cndmask_b32_e64 v28, v45, v46, s10
	v_lshl_add_u32 v7, v22, 2, v3
	v_and_b32_e32 v13, 0x78, v6
	v_lshl_add_u32 v8, v25, 2, v3
	v_add_nc_u32_e32 v9, 64, v15
	v_lshl_add_u32 v10, v27, 2, v3
	v_lshl_add_u32 v11, v30, 2, v3
	;; [unrolled: 1-line block ×4, first 2 shown]
	; wave barrier
	v_min_i32_e32 v16, v5, v9
	v_lshl_add_u32 v25, v44, 2, v3
	v_lshl_add_u32 v27, v28, 2, v3
	v_min_i32_e32 v22, v5, v13
	ds_read_b32 v7, v7
	ds_read_b32 v8, v8
	;; [unrolled: 1-line block ×8, first 2 shown]
	v_sub_nc_u32_e32 v28, v16, v15
	v_cndmask_b32_e64 v23, v23, v24, s9
	v_cndmask_b32_e64 v20, v19, v20, s8
	;; [unrolled: 1-line block ×3, first 2 shown]
	v_sub_nc_u32_e32 v24, v15, v21
	v_sub_nc_u32_e32 v18, v22, v28
	v_cmp_ge_i32_e64 s7, v22, v28
	v_cndmask_b32_e64 v26, v39, v42, s10
	; wave barrier
	ds_write2_b32 v4, v17, v20 offset1:1
	ds_write2_b32 v4, v23, v29 offset0:2 offset1:3
	ds_write2_b32 v4, v33, v37 offset0:4 offset1:5
	v_cndmask_b32_e64 v19, 0, v18, s7
	v_min_i32_e32 v18, v22, v24
	v_lshl_add_u32 v17, v21, 2, v3
	s_mov_b32 s9, 0
	s_mov_b32 s8, exec_lo
	ds_write2_b32 v4, v43, v26 offset0:6 offset1:7
	; wave barrier
	v_cmpx_lt_i32_e64 v19, v18
	s_cbranch_execz .LBB35_124
; %bb.121:
	v_lshlrev_b32_e32 v20, 2, v15
	v_lshlrev_b32_e32 v23, 2, v22
	v_add3_u32 v20, v3, v20, v23
	.p2align	6
.LBB35_122:                             ; =>This Inner Loop Header: Depth=1
	v_sub_nc_u32_e32 v23, v18, v19
	v_lshrrev_b32_e32 v23, 1, v23
	v_add_nc_u32_e32 v23, v23, v19
	v_not_b32_e32 v24, v23
	v_lshl_add_u32 v25, v23, 2, v17
	v_add_nc_u32_e32 v26, 1, v23
	v_lshl_add_u32 v24, v24, 2, v20
	ds_read_b32 v25, v25
	ds_read_b32 v24, v24
	s_waitcnt lgkmcnt(0)
	v_cmp_lt_i32_e64 s7, v24, v25
	v_cndmask_b32_e64 v18, v18, v23, s7
	v_cndmask_b32_e64 v19, v26, v19, s7
	v_cmp_ge_i32_e64 s7, v19, v18
	s_or_b32 s9, s7, s9
	s_andn2_b32 exec_lo, exec_lo, s9
	s_cbranch_execnz .LBB35_122
; %bb.123:
	s_or_b32 exec_lo, exec_lo, s9
.LBB35_124:
	s_or_b32 exec_lo, exec_lo, s8
	v_add_nc_u32_e32 v18, v15, v22
	v_lshl_add_u32 v20, v19, 2, v17
	v_add_nc_u32_e32 v24, v19, v21
	v_sub_nc_u32_e32 v23, v18, v19
                                        ; implicit-def: $vgpr19
	v_cmp_le_i32_e64 s7, v15, v24
	v_lshl_add_u32 v22, v23, 2, v3
	v_cmp_gt_i32_e64 s9, v16, v23
	ds_read_b32 v17, v20
	ds_read_b32 v18, v22
	s_waitcnt lgkmcnt(0)
	v_cmp_lt_i32_e64 s8, v18, v17
	s_or_b32 s7, s7, s8
	s_and_b32 s7, s9, s7
	s_xor_b32 s8, s7, -1
	s_and_saveexec_b32 s9, s8
	s_xor_b32 s8, exec_lo, s9
; %bb.125:
	ds_read_b32 v19, v20 offset:4
                                        ; implicit-def: $vgpr22
; %bb.126:
	s_or_saveexec_b32 s8, s8
	v_mov_b32_e32 v20, v18
	s_xor_b32 exec_lo, exec_lo, s8
	s_cbranch_execz .LBB35_128
; %bb.127:
	ds_read_b32 v20, v22 offset:4
	s_waitcnt lgkmcnt(1)
	v_mov_b32_e32 v19, v17
.LBB35_128:
	s_or_b32 exec_lo, exec_lo, s8
	v_add_nc_u32_e32 v21, 1, v24
	v_add_nc_u32_e32 v22, 1, v23
	s_waitcnt lgkmcnt(0)
	v_cmp_lt_i32_e64 s9, v20, v19
	v_cndmask_b32_e64 v25, v21, v24, s7
	v_cndmask_b32_e64 v26, v23, v22, s7
                                        ; implicit-def: $vgpr21
	v_cmp_ge_i32_e64 s8, v25, v15
	v_cmp_lt_i32_e64 s10, v26, v16
	s_or_b32 s8, s8, s9
	s_and_b32 s8, s10, s8
	s_xor_b32 s9, s8, -1
	s_and_saveexec_b32 s10, s9
	s_xor_b32 s9, exec_lo, s10
; %bb.129:
	v_lshl_add_u32 v21, v25, 2, v3
	ds_read_b32 v21, v21 offset:4
; %bb.130:
	s_or_saveexec_b32 s9, s9
	v_mov_b32_e32 v22, v20
	s_xor_b32 exec_lo, exec_lo, s9
	s_cbranch_execz .LBB35_132
; %bb.131:
	s_waitcnt lgkmcnt(0)
	v_lshl_add_u32 v21, v26, 2, v3
	ds_read_b32 v22, v21 offset:4
	v_mov_b32_e32 v21, v19
.LBB35_132:
	s_or_b32 exec_lo, exec_lo, s9
	v_add_nc_u32_e32 v27, 1, v25
	v_add_nc_u32_e32 v28, 1, v26
	s_waitcnt lgkmcnt(0)
	v_cmp_lt_i32_e64 s10, v22, v21
                                        ; implicit-def: $vgpr29
	v_cndmask_b32_e64 v27, v27, v25, s8
	v_cndmask_b32_e64 v28, v26, v28, s8
	v_cmp_ge_i32_e64 s9, v27, v15
	v_cmp_lt_i32_e64 s11, v28, v16
	s_or_b32 s9, s9, s10
	s_and_b32 s9, s11, s9
	s_xor_b32 s10, s9, -1
	s_and_saveexec_b32 s11, s10
	s_xor_b32 s10, exec_lo, s11
; %bb.133:
	v_lshl_add_u32 v29, v27, 2, v3
	ds_read_b32 v29, v29 offset:4
; %bb.134:
	s_or_saveexec_b32 s10, s10
	v_mov_b32_e32 v30, v22
	s_xor_b32 exec_lo, exec_lo, s10
	s_cbranch_execz .LBB35_136
; %bb.135:
	s_waitcnt lgkmcnt(0)
	v_lshl_add_u32 v29, v28, 2, v3
	ds_read_b32 v30, v29 offset:4
	v_mov_b32_e32 v29, v21
.LBB35_136:
	s_or_b32 exec_lo, exec_lo, s10
	v_add_nc_u32_e32 v31, 1, v27
	v_add_nc_u32_e32 v32, 1, v28
	s_waitcnt lgkmcnt(0)
	v_cmp_lt_i32_e64 s11, v30, v29
                                        ; implicit-def: $vgpr33
	v_cndmask_b32_e64 v31, v31, v27, s9
	v_cndmask_b32_e64 v32, v28, v32, s9
	v_cmp_ge_i32_e64 s10, v31, v15
	v_cmp_lt_i32_e64 s12, v32, v16
	s_or_b32 s10, s10, s11
	s_and_b32 s10, s12, s10
	s_xor_b32 s11, s10, -1
	s_and_saveexec_b32 s12, s11
	s_xor_b32 s11, exec_lo, s12
; %bb.137:
	v_lshl_add_u32 v33, v31, 2, v3
	ds_read_b32 v33, v33 offset:4
; %bb.138:
	s_or_saveexec_b32 s11, s11
	v_mov_b32_e32 v34, v30
	s_xor_b32 exec_lo, exec_lo, s11
	s_cbranch_execz .LBB35_140
; %bb.139:
	s_waitcnt lgkmcnt(0)
	v_lshl_add_u32 v33, v32, 2, v3
	ds_read_b32 v34, v33 offset:4
	v_mov_b32_e32 v33, v29
.LBB35_140:
	s_or_b32 exec_lo, exec_lo, s11
	v_add_nc_u32_e32 v35, 1, v31
	v_add_nc_u32_e32 v36, 1, v32
	s_waitcnt lgkmcnt(0)
	v_cmp_lt_i32_e64 s12, v34, v33
                                        ; implicit-def: $vgpr37
	v_cndmask_b32_e64 v35, v35, v31, s10
	v_cndmask_b32_e64 v36, v32, v36, s10
	v_cmp_ge_i32_e64 s11, v35, v15
	v_cmp_lt_i32_e64 s13, v36, v16
	s_or_b32 s11, s11, s12
	s_and_b32 s11, s13, s11
	s_xor_b32 s12, s11, -1
	s_and_saveexec_b32 s13, s12
	s_xor_b32 s12, exec_lo, s13
; %bb.141:
	v_lshl_add_u32 v37, v35, 2, v3
	ds_read_b32 v37, v37 offset:4
; %bb.142:
	s_or_saveexec_b32 s12, s12
	v_mov_b32_e32 v38, v34
	s_xor_b32 exec_lo, exec_lo, s12
	s_cbranch_execz .LBB35_144
; %bb.143:
	s_waitcnt lgkmcnt(0)
	v_lshl_add_u32 v37, v36, 2, v3
	ds_read_b32 v38, v37 offset:4
	v_mov_b32_e32 v37, v33
.LBB35_144:
	s_or_b32 exec_lo, exec_lo, s12
	v_add_nc_u32_e32 v39, 1, v35
	v_add_nc_u32_e32 v41, 1, v36
	s_waitcnt lgkmcnt(0)
	v_cmp_lt_i32_e64 s13, v38, v37
                                        ; implicit-def: $vgpr43
	v_cndmask_b32_e64 v40, v39, v35, s11
	v_cndmask_b32_e64 v41, v36, v41, s11
	v_cmp_ge_i32_e64 s12, v40, v15
	v_cmp_lt_i32_e64 s14, v41, v16
	s_or_b32 s12, s12, s13
	s_and_b32 s12, s14, s12
	s_xor_b32 s13, s12, -1
	s_and_saveexec_b32 s14, s13
	s_xor_b32 s13, exec_lo, s14
; %bb.145:
	v_lshl_add_u32 v39, v40, 2, v3
	ds_read_b32 v43, v39 offset:4
; %bb.146:
	s_or_saveexec_b32 s13, s13
	v_mov_b32_e32 v44, v38
	s_xor_b32 exec_lo, exec_lo, s13
	s_cbranch_execz .LBB35_148
; %bb.147:
	v_lshl_add_u32 v39, v41, 2, v3
	s_waitcnt lgkmcnt(0)
	v_mov_b32_e32 v43, v37
	ds_read_b32 v44, v39 offset:4
.LBB35_148:
	s_or_b32 exec_lo, exec_lo, s13
	v_add_nc_u32_e32 v39, 1, v40
	v_add_nc_u32_e32 v42, 1, v41
	s_waitcnt lgkmcnt(0)
	v_cmp_lt_i32_e64 s14, v44, v43
	v_cndmask_b32_e64 v45, v39, v40, s12
	v_cndmask_b32_e64 v46, v41, v42, s12
                                        ; implicit-def: $vgpr39
	v_cmp_ge_i32_e64 s13, v45, v15
	v_cmp_lt_i32_e64 s15, v46, v16
	s_or_b32 s13, s13, s14
	s_and_b32 s13, s15, s13
	s_xor_b32 s14, s13, -1
	s_and_saveexec_b32 s15, s14
	s_xor_b32 s14, exec_lo, s15
; %bb.149:
	v_lshl_add_u32 v39, v45, 2, v3
	ds_read_b32 v39, v39 offset:4
; %bb.150:
	s_or_saveexec_b32 s14, s14
	v_mov_b32_e32 v42, v44
	s_xor_b32 exec_lo, exec_lo, s14
	s_cbranch_execz .LBB35_152
; %bb.151:
	s_waitcnt lgkmcnt(0)
	v_lshl_add_u32 v39, v46, 2, v3
	ds_read_b32 v42, v39 offset:4
	v_mov_b32_e32 v39, v43
.LBB35_152:
	s_or_b32 exec_lo, exec_lo, s14
	v_add_nc_u32_e32 v47, 1, v46
	v_add_nc_u32_e32 v48, 1, v45
	v_cndmask_b32_e64 v43, v43, v44, s13
	v_cndmask_b32_e64 v44, v45, v46, s13
	;; [unrolled: 1-line block ×8, first 2 shown]
	v_cmp_lt_i32_e64 s12, v46, v16
	v_min_i32_e32 v16, 0, v5
	v_cmp_ge_i32_e64 s10, v45, v15
	v_cndmask_b32_e64 v15, v27, v28, s9
	v_cndmask_b32_e64 v33, v33, v34, s11
	v_cndmask_b32_e64 v34, v35, v36, s11
	v_add_nc_u32_e32 v27, 0x80, v16
	s_waitcnt lgkmcnt(0)
	v_cmp_lt_i32_e64 s11, v42, v39
	v_cndmask_b32_e64 v23, v24, v23, s7
	; wave barrier
	ds_write2_b32 v4, v7, v8 offset1:1
	ds_write2_b32 v4, v9, v10 offset0:2 offset1:3
	ds_write2_b32 v4, v11, v13 offset0:4 offset1:5
	v_min_i32_e32 v13, v5, v27
	v_cndmask_b32_e64 v25, v25, v26, s8
	s_or_b32 s10, s10, s11
	v_lshl_add_u32 v7, v23, 2, v3
	s_and_b32 s10, s12, s10
	v_add_nc_u32_e32 v8, 0x80, v13
	v_cndmask_b32_e64 v26, v45, v46, s10
	v_lshl_add_u32 v9, v25, 2, v3
	v_lshl_add_u32 v10, v15, 2, v3
	;; [unrolled: 1-line block ×3, first 2 shown]
	ds_write2_b32 v4, v12, v14 offset0:6 offset1:7
	v_lshl_add_u32 v12, v34, 2, v3
	; wave barrier
	v_min_i32_e32 v14, v5, v8
	v_lshl_add_u32 v23, v38, 2, v3
	v_lshl_add_u32 v25, v44, 2, v3
	;; [unrolled: 1-line block ×3, first 2 shown]
	v_min_i32_e32 v15, v5, v6
	ds_read_b32 v5, v7
	ds_read_b32 v6, v9
	;; [unrolled: 1-line block ×8, first 2 shown]
	v_sub_nc_u32_e32 v27, v14, v13
	v_cndmask_b32_e64 v21, v21, v22, s9
	v_cndmask_b32_e64 v20, v19, v20, s8
	;; [unrolled: 1-line block ×3, first 2 shown]
	v_sub_nc_u32_e32 v22, v13, v16
	v_sub_nc_u32_e32 v18, v15, v27
	v_cmp_ge_i32_e64 s7, v15, v27
	v_cndmask_b32_e64 v24, v39, v42, s10
	; wave barrier
	ds_write2_b32 v4, v17, v20 offset1:1
	ds_write2_b32 v4, v21, v29 offset0:2 offset1:3
	ds_write2_b32 v4, v33, v37 offset0:4 offset1:5
	v_cndmask_b32_e64 v19, 0, v18, s7
	v_min_i32_e32 v18, v15, v22
	v_lshl_add_u32 v17, v16, 2, v3
	s_mov_b32 s9, 0
	s_mov_b32 s8, exec_lo
	ds_write2_b32 v4, v43, v24 offset0:6 offset1:7
	; wave barrier
	v_cmpx_lt_i32_e64 v19, v18
	s_cbranch_execz .LBB35_156
; %bb.153:
	v_lshlrev_b32_e32 v20, 2, v13
	v_lshlrev_b32_e32 v21, 2, v15
	v_add3_u32 v20, v3, v20, v21
	.p2align	6
.LBB35_154:                             ; =>This Inner Loop Header: Depth=1
	v_sub_nc_u32_e32 v21, v18, v19
	v_lshrrev_b32_e32 v21, 1, v21
	v_add_nc_u32_e32 v21, v21, v19
	v_not_b32_e32 v22, v21
	v_lshl_add_u32 v23, v21, 2, v17
	v_add_nc_u32_e32 v24, 1, v21
	v_lshl_add_u32 v22, v22, 2, v20
	ds_read_b32 v23, v23
	ds_read_b32 v22, v22
	s_waitcnt lgkmcnt(0)
	v_cmp_lt_i32_e64 s7, v22, v23
	v_cndmask_b32_e64 v18, v18, v21, s7
	v_cndmask_b32_e64 v19, v24, v19, s7
	v_cmp_ge_i32_e64 s7, v19, v18
	s_or_b32 s9, s7, s9
	s_andn2_b32 exec_lo, exec_lo, s9
	s_cbranch_execnz .LBB35_154
; %bb.155:
	s_or_b32 exec_lo, exec_lo, s9
.LBB35_156:
	s_or_b32 exec_lo, exec_lo, s8
	v_add_nc_u32_e32 v15, v13, v15
	v_lshl_add_u32 v20, v19, 2, v17
	v_add_nc_u32_e32 v16, v19, v16
	v_sub_nc_u32_e32 v15, v15, v19
                                        ; implicit-def: $vgpr19
	v_cmp_le_i32_e64 s7, v13, v16
	v_lshl_add_u32 v21, v15, 2, v3
	v_cmp_gt_i32_e64 s9, v14, v15
	ds_read_b32 v17, v20
	ds_read_b32 v18, v21
	s_waitcnt lgkmcnt(0)
	v_cmp_lt_i32_e64 s8, v18, v17
	s_or_b32 s7, s7, s8
	s_and_b32 s7, s9, s7
	s_xor_b32 s8, s7, -1
	s_and_saveexec_b32 s9, s8
	s_xor_b32 s8, exec_lo, s9
; %bb.157:
	ds_read_b32 v19, v20 offset:4
                                        ; implicit-def: $vgpr21
; %bb.158:
	s_or_saveexec_b32 s8, s8
	v_mov_b32_e32 v20, v18
	s_xor_b32 exec_lo, exec_lo, s8
	s_cbranch_execz .LBB35_160
; %bb.159:
	ds_read_b32 v20, v21 offset:4
	s_waitcnt lgkmcnt(1)
	v_mov_b32_e32 v19, v17
.LBB35_160:
	s_or_b32 exec_lo, exec_lo, s8
	v_add_nc_u32_e32 v21, 1, v16
	v_add_nc_u32_e32 v22, 1, v15
	s_waitcnt lgkmcnt(0)
	v_cmp_lt_i32_e64 s9, v20, v19
	v_cndmask_b32_e64 v23, v21, v16, s7
	v_cndmask_b32_e64 v24, v15, v22, s7
                                        ; implicit-def: $vgpr21
	v_cmp_ge_i32_e64 s8, v23, v13
	v_cmp_lt_i32_e64 s10, v24, v14
	s_or_b32 s8, s8, s9
	s_and_b32 s8, s10, s8
	s_xor_b32 s9, s8, -1
	s_and_saveexec_b32 s10, s9
	s_xor_b32 s9, exec_lo, s10
; %bb.161:
	v_lshl_add_u32 v21, v23, 2, v3
	ds_read_b32 v21, v21 offset:4
; %bb.162:
	s_or_saveexec_b32 s9, s9
	v_mov_b32_e32 v22, v20
	s_xor_b32 exec_lo, exec_lo, s9
	s_cbranch_execz .LBB35_164
; %bb.163:
	s_waitcnt lgkmcnt(0)
	v_lshl_add_u32 v21, v24, 2, v3
	ds_read_b32 v22, v21 offset:4
	v_mov_b32_e32 v21, v19
.LBB35_164:
	s_or_b32 exec_lo, exec_lo, s9
	v_add_nc_u32_e32 v25, 1, v23
	v_add_nc_u32_e32 v26, 1, v24
	s_waitcnt lgkmcnt(0)
	v_cmp_lt_i32_e64 s10, v22, v21
	v_cndmask_b32_e64 v27, v25, v23, s8
	v_cndmask_b32_e64 v28, v24, v26, s8
                                        ; implicit-def: $vgpr25
	v_cmp_ge_i32_e64 s9, v27, v13
	v_cmp_lt_i32_e64 s11, v28, v14
	s_or_b32 s9, s9, s10
	s_and_b32 s9, s11, s9
	s_xor_b32 s10, s9, -1
	s_and_saveexec_b32 s11, s10
	s_xor_b32 s10, exec_lo, s11
; %bb.165:
	v_lshl_add_u32 v25, v27, 2, v3
	ds_read_b32 v25, v25 offset:4
; %bb.166:
	s_or_saveexec_b32 s10, s10
	v_mov_b32_e32 v26, v22
	s_xor_b32 exec_lo, exec_lo, s10
	s_cbranch_execz .LBB35_168
; %bb.167:
	s_waitcnt lgkmcnt(0)
	v_lshl_add_u32 v25, v28, 2, v3
	ds_read_b32 v26, v25 offset:4
	v_mov_b32_e32 v25, v21
.LBB35_168:
	s_or_b32 exec_lo, exec_lo, s10
	v_add_nc_u32_e32 v29, 1, v27
	v_add_nc_u32_e32 v30, 1, v28
	s_waitcnt lgkmcnt(0)
	v_cmp_lt_i32_e64 s11, v26, v25
	v_cndmask_b32_e64 v31, v29, v27, s9
	v_cndmask_b32_e64 v32, v28, v30, s9
                                        ; implicit-def: $vgpr29
	v_cmp_ge_i32_e64 s10, v31, v13
	v_cmp_lt_i32_e64 s12, v32, v14
	s_or_b32 s10, s10, s11
	s_and_b32 s10, s12, s10
	s_xor_b32 s11, s10, -1
	s_and_saveexec_b32 s12, s11
	s_xor_b32 s11, exec_lo, s12
; %bb.169:
	v_lshl_add_u32 v29, v31, 2, v3
	ds_read_b32 v29, v29 offset:4
; %bb.170:
	s_or_saveexec_b32 s11, s11
	v_mov_b32_e32 v30, v26
	s_xor_b32 exec_lo, exec_lo, s11
	s_cbranch_execz .LBB35_172
; %bb.171:
	s_waitcnt lgkmcnt(0)
	v_lshl_add_u32 v29, v32, 2, v3
	ds_read_b32 v30, v29 offset:4
	v_mov_b32_e32 v29, v25
.LBB35_172:
	s_or_b32 exec_lo, exec_lo, s11
	v_add_nc_u32_e32 v33, 1, v31
	v_add_nc_u32_e32 v34, 1, v32
	s_waitcnt lgkmcnt(0)
	v_cmp_lt_i32_e64 s12, v30, v29
	v_cndmask_b32_e64 v35, v33, v31, s10
	v_cndmask_b32_e64 v36, v32, v34, s10
                                        ; implicit-def: $vgpr33
	v_cmp_ge_i32_e64 s11, v35, v13
	v_cmp_lt_i32_e64 s13, v36, v14
	s_or_b32 s11, s11, s12
	s_and_b32 s11, s13, s11
	s_xor_b32 s12, s11, -1
	s_and_saveexec_b32 s13, s12
	s_xor_b32 s12, exec_lo, s13
; %bb.173:
	v_lshl_add_u32 v33, v35, 2, v3
	ds_read_b32 v33, v33 offset:4
; %bb.174:
	s_or_saveexec_b32 s12, s12
	v_mov_b32_e32 v34, v30
	s_xor_b32 exec_lo, exec_lo, s12
	s_cbranch_execz .LBB35_176
; %bb.175:
	s_waitcnt lgkmcnt(0)
	v_lshl_add_u32 v33, v36, 2, v3
	ds_read_b32 v34, v33 offset:4
	v_mov_b32_e32 v33, v29
.LBB35_176:
	s_or_b32 exec_lo, exec_lo, s12
	v_add_nc_u32_e32 v37, 1, v35
	v_add_nc_u32_e32 v38, 1, v36
	s_waitcnt lgkmcnt(0)
	v_cmp_lt_i32_e64 s13, v34, v33
	v_cndmask_b32_e64 v39, v37, v35, s11
	v_cndmask_b32_e64 v40, v36, v38, s11
                                        ; implicit-def: $vgpr37
	v_cmp_ge_i32_e64 s12, v39, v13
	v_cmp_lt_i32_e64 s14, v40, v14
	s_or_b32 s12, s12, s13
	s_and_b32 s12, s14, s12
	s_xor_b32 s13, s12, -1
	s_and_saveexec_b32 s14, s13
	s_xor_b32 s13, exec_lo, s14
; %bb.177:
	v_lshl_add_u32 v37, v39, 2, v3
	ds_read_b32 v37, v37 offset:4
; %bb.178:
	s_or_saveexec_b32 s13, s13
	v_mov_b32_e32 v38, v34
	s_xor_b32 exec_lo, exec_lo, s13
	s_cbranch_execz .LBB35_180
; %bb.179:
	s_waitcnt lgkmcnt(0)
	v_lshl_add_u32 v37, v40, 2, v3
	ds_read_b32 v38, v37 offset:4
	v_mov_b32_e32 v37, v33
.LBB35_180:
	s_or_b32 exec_lo, exec_lo, s13
	v_add_nc_u32_e32 v41, 1, v39
	v_add_nc_u32_e32 v42, 1, v40
	s_waitcnt lgkmcnt(0)
	v_cmp_lt_i32_e64 s14, v38, v37
                                        ; implicit-def: $vgpr44
                                        ; implicit-def: $vgpr43
	v_cndmask_b32_e64 v45, v41, v39, s12
	v_cndmask_b32_e64 v41, v40, v42, s12
	v_cmp_ge_i32_e64 s13, v45, v13
	v_cmp_lt_i32_e64 s15, v41, v14
	s_or_b32 s13, s13, s14
	s_and_b32 s13, s15, s13
	s_xor_b32 s14, s13, -1
	s_and_saveexec_b32 s15, s14
	s_xor_b32 s14, exec_lo, s15
; %bb.181:
	v_lshl_add_u32 v42, v45, 2, v3
	v_add_nc_u32_e32 v43, 1, v45
	ds_read_b32 v44, v42 offset:4
; %bb.182:
	s_or_saveexec_b32 s14, s14
	v_mov_b32_e32 v42, v45
	v_mov_b32_e32 v46, v38
	s_xor_b32 exec_lo, exec_lo, s14
	s_cbranch_execz .LBB35_184
; %bb.183:
	v_lshl_add_u32 v42, v41, 2, v3
	s_waitcnt lgkmcnt(0)
	v_add_nc_u32_e32 v44, 1, v41
	v_mov_b32_e32 v43, v45
	ds_read_b32 v46, v42 offset:4
	v_mov_b32_e32 v42, v41
	v_mov_b32_e32 v41, v44
	;; [unrolled: 1-line block ×3, first 2 shown]
.LBB35_184:
	s_or_b32 exec_lo, exec_lo, s14
	v_cmp_ge_i32_e64 s14, v43, v13
	s_waitcnt lgkmcnt(0)
	v_cmp_lt_i32_e64 s15, v46, v44
	v_cmp_lt_i32_e64 s16, v41, v14
	v_cndmask_b32_e64 v23, v23, v24, s8
	v_cndmask_b32_e64 v27, v27, v28, s9
	;; [unrolled: 1-line block ×3, first 2 shown]
	s_or_b32 s14, s14, s15
	v_cndmask_b32_e64 v35, v35, v36, s11
	s_and_b32 s14, s16, s14
	v_cndmask_b32_e64 v39, v39, v40, s12
	v_cndmask_b32_e64 v24, v43, v41, s14
	; wave barrier
	ds_write2_b32 v4, v5, v6 offset1:1
	ds_write2_b32 v4, v7, v8 offset0:2 offset1:3
	ds_write2_b32 v4, v9, v10 offset0:4 offset1:5
	;; [unrolled: 1-line block ×3, first 2 shown]
	v_lshl_add_u32 v4, v23, 2, v3
	v_lshl_add_u32 v5, v27, 2, v3
	;; [unrolled: 1-line block ×6, first 2 shown]
	; wave barrier
	v_lshl_add_u32 v11, v24, 2, v3
	ds_read_b32 v24, v4
	ds_read_b32 v23, v5
	;; [unrolled: 1-line block ×7, first 2 shown]
	v_cndmask_b32_e64 v13, v44, v46, s14
	v_cndmask_b32_e64 v6, v17, v18, s7
	;; [unrolled: 1-line block ×8, first 2 shown]
	s_and_saveexec_b32 s8, vcc_lo
	s_cbranch_execz .LBB35_186
; %bb.185:
	v_cndmask_b32_e64 v15, v16, v15, s7
	v_lshl_add_u32 v3, v15, 2, v3
	ds_read_b32 v3, v3
	s_waitcnt lgkmcnt(0)
	v_add_nc_u32_e32 v6, v3, v6
.LBB35_186:
	s_or_b32 exec_lo, exec_lo, s8
	s_waitcnt lgkmcnt(6)
	v_add_nc_u32_e32 v3, v18, v24
	v_add_co_u32 v0, s7, s18, v0
	s_waitcnt lgkmcnt(5)
	v_add_nc_u32_e32 v16, v8, v23
	s_waitcnt lgkmcnt(4)
	v_add_nc_u32_e32 v19, v11, v10
	v_cndmask_b32_e64 v15, v18, v3, s0
	s_waitcnt lgkmcnt(1)
	v_add_nc_u32_e32 v3, v17, v4
	v_add_nc_u32_e32 v7, v12, v7
	;; [unrolled: 1-line block ×3, first 2 shown]
	v_add_co_ci_u32_e64 v1, null, s19, v1, s7
	v_cndmask_b32_e64 v4, v17, v3, s5
	s_waitcnt lgkmcnt(0)
	v_add_nc_u32_e32 v3, v13, v9
	v_add_co_u32 v0, s7, v0, v2
	v_cndmask_b32_e64 v10, v8, v16, s1
	v_cndmask_b32_e64 v8, v11, v19, s2
	;; [unrolled: 1-line block ×5, first 2 shown]
	v_add_co_ci_u32_e64 v1, null, 0, v1, s7
	s_and_saveexec_b32 s7, vcc_lo
	s_xor_b32 s7, exec_lo, s7
	s_cbranch_execnz .LBB35_195
; %bb.187:
	s_or_b32 exec_lo, exec_lo, s7
	s_and_saveexec_b32 s7, s0
	s_cbranch_execnz .LBB35_196
.LBB35_188:
	s_or_b32 exec_lo, exec_lo, s7
	s_and_saveexec_b32 s0, s1
	s_cbranch_execnz .LBB35_197
.LBB35_189:
	s_or_b32 exec_lo, exec_lo, s0
	s_and_saveexec_b32 s0, s2
	s_cbranch_execnz .LBB35_198
.LBB35_190:
	s_or_b32 exec_lo, exec_lo, s0
	s_and_saveexec_b32 s0, s3
	s_cbranch_execnz .LBB35_199
.LBB35_191:
	s_or_b32 exec_lo, exec_lo, s0
	s_and_saveexec_b32 s0, s4
	s_cbranch_execnz .LBB35_200
.LBB35_192:
	s_or_b32 exec_lo, exec_lo, s0
	s_and_saveexec_b32 s0, s5
	s_cbranch_execnz .LBB35_201
.LBB35_193:
	s_or_b32 exec_lo, exec_lo, s0
	s_and_saveexec_b32 s0, s6
	s_cbranch_execnz .LBB35_202
.LBB35_194:
	s_endpgm
.LBB35_195:
	global_store_dword v[0:1], v6, off
	s_or_b32 exec_lo, exec_lo, s7
	s_and_saveexec_b32 s7, s0
	s_cbranch_execz .LBB35_188
.LBB35_196:
	global_store_dword v[0:1], v15, off offset:4
	s_or_b32 exec_lo, exec_lo, s7
	s_and_saveexec_b32 s0, s1
	s_cbranch_execz .LBB35_189
.LBB35_197:
	global_store_dword v[0:1], v10, off offset:8
	s_or_b32 exec_lo, exec_lo, s0
	s_and_saveexec_b32 s0, s2
	s_cbranch_execz .LBB35_190
.LBB35_198:
	global_store_dword v[0:1], v8, off offset:12
	s_or_b32 exec_lo, exec_lo, s0
	s_and_saveexec_b32 s0, s3
	s_cbranch_execz .LBB35_191
.LBB35_199:
	global_store_dword v[0:1], v7, off offset:16
	s_or_b32 exec_lo, exec_lo, s0
	s_and_saveexec_b32 s0, s4
	s_cbranch_execz .LBB35_192
.LBB35_200:
	global_store_dword v[0:1], v5, off offset:20
	s_or_b32 exec_lo, exec_lo, s0
	s_and_saveexec_b32 s0, s5
	s_cbranch_execz .LBB35_193
.LBB35_201:
	global_store_dword v[0:1], v4, off offset:24
	s_or_b32 exec_lo, exec_lo, s0
	s_and_saveexec_b32 s0, s6
	s_cbranch_execz .LBB35_194
.LBB35_202:
	global_store_dword v[0:1], v3, off offset:28
	s_endpgm
	.section	.rodata,"a",@progbits
	.p2align	6, 0x0
	.amdhsa_kernel _Z20sort_pairs_segmentedILj256ELj32ELj8EiN10test_utils4lessEEvPKT2_PS2_PKjT3_
		.amdhsa_group_segment_fixed_size 8224
		.amdhsa_private_segment_fixed_size 0
		.amdhsa_kernarg_size 28
		.amdhsa_user_sgpr_count 6
		.amdhsa_user_sgpr_private_segment_buffer 1
		.amdhsa_user_sgpr_dispatch_ptr 0
		.amdhsa_user_sgpr_queue_ptr 0
		.amdhsa_user_sgpr_kernarg_segment_ptr 1
		.amdhsa_user_sgpr_dispatch_id 0
		.amdhsa_user_sgpr_flat_scratch_init 0
		.amdhsa_user_sgpr_private_segment_size 0
		.amdhsa_wavefront_size32 1
		.amdhsa_uses_dynamic_stack 0
		.amdhsa_system_sgpr_private_segment_wavefront_offset 0
		.amdhsa_system_sgpr_workgroup_id_x 1
		.amdhsa_system_sgpr_workgroup_id_y 0
		.amdhsa_system_sgpr_workgroup_id_z 0
		.amdhsa_system_sgpr_workgroup_info 0
		.amdhsa_system_vgpr_workitem_id 0
		.amdhsa_next_free_vgpr 49
		.amdhsa_next_free_sgpr 20
		.amdhsa_reserve_vcc 1
		.amdhsa_reserve_flat_scratch 0
		.amdhsa_float_round_mode_32 0
		.amdhsa_float_round_mode_16_64 0
		.amdhsa_float_denorm_mode_32 3
		.amdhsa_float_denorm_mode_16_64 3
		.amdhsa_dx10_clamp 1
		.amdhsa_ieee_mode 1
		.amdhsa_fp16_overflow 0
		.amdhsa_workgroup_processor_mode 1
		.amdhsa_memory_ordered 1
		.amdhsa_forward_progress 1
		.amdhsa_shared_vgpr_count 0
		.amdhsa_exception_fp_ieee_invalid_op 0
		.amdhsa_exception_fp_denorm_src 0
		.amdhsa_exception_fp_ieee_div_zero 0
		.amdhsa_exception_fp_ieee_overflow 0
		.amdhsa_exception_fp_ieee_underflow 0
		.amdhsa_exception_fp_ieee_inexact 0
		.amdhsa_exception_int_div_zero 0
	.end_amdhsa_kernel
	.section	.text._Z20sort_pairs_segmentedILj256ELj32ELj8EiN10test_utils4lessEEvPKT2_PS2_PKjT3_,"axG",@progbits,_Z20sort_pairs_segmentedILj256ELj32ELj8EiN10test_utils4lessEEvPKT2_PS2_PKjT3_,comdat
.Lfunc_end35:
	.size	_Z20sort_pairs_segmentedILj256ELj32ELj8EiN10test_utils4lessEEvPKT2_PS2_PKjT3_, .Lfunc_end35-_Z20sort_pairs_segmentedILj256ELj32ELj8EiN10test_utils4lessEEvPKT2_PS2_PKjT3_
                                        ; -- End function
	.set _Z20sort_pairs_segmentedILj256ELj32ELj8EiN10test_utils4lessEEvPKT2_PS2_PKjT3_.num_vgpr, 49
	.set _Z20sort_pairs_segmentedILj256ELj32ELj8EiN10test_utils4lessEEvPKT2_PS2_PKjT3_.num_agpr, 0
	.set _Z20sort_pairs_segmentedILj256ELj32ELj8EiN10test_utils4lessEEvPKT2_PS2_PKjT3_.numbered_sgpr, 20
	.set _Z20sort_pairs_segmentedILj256ELj32ELj8EiN10test_utils4lessEEvPKT2_PS2_PKjT3_.num_named_barrier, 0
	.set _Z20sort_pairs_segmentedILj256ELj32ELj8EiN10test_utils4lessEEvPKT2_PS2_PKjT3_.private_seg_size, 0
	.set _Z20sort_pairs_segmentedILj256ELj32ELj8EiN10test_utils4lessEEvPKT2_PS2_PKjT3_.uses_vcc, 1
	.set _Z20sort_pairs_segmentedILj256ELj32ELj8EiN10test_utils4lessEEvPKT2_PS2_PKjT3_.uses_flat_scratch, 0
	.set _Z20sort_pairs_segmentedILj256ELj32ELj8EiN10test_utils4lessEEvPKT2_PS2_PKjT3_.has_dyn_sized_stack, 0
	.set _Z20sort_pairs_segmentedILj256ELj32ELj8EiN10test_utils4lessEEvPKT2_PS2_PKjT3_.has_recursion, 0
	.set _Z20sort_pairs_segmentedILj256ELj32ELj8EiN10test_utils4lessEEvPKT2_PS2_PKjT3_.has_indirect_call, 0
	.section	.AMDGPU.csdata,"",@progbits
; Kernel info:
; codeLenInByte = 9976
; TotalNumSgprs: 22
; NumVgprs: 49
; ScratchSize: 0
; MemoryBound: 0
; FloatMode: 240
; IeeeMode: 1
; LDSByteSize: 8224 bytes/workgroup (compile time only)
; SGPRBlocks: 0
; VGPRBlocks: 6
; NumSGPRsForWavesPerEU: 22
; NumVGPRsForWavesPerEU: 49
; Occupancy: 16
; WaveLimiterHint : 0
; COMPUTE_PGM_RSRC2:SCRATCH_EN: 0
; COMPUTE_PGM_RSRC2:USER_SGPR: 6
; COMPUTE_PGM_RSRC2:TRAP_HANDLER: 0
; COMPUTE_PGM_RSRC2:TGID_X_EN: 1
; COMPUTE_PGM_RSRC2:TGID_Y_EN: 0
; COMPUTE_PGM_RSRC2:TGID_Z_EN: 0
; COMPUTE_PGM_RSRC2:TIDIG_COMP_CNT: 0
	.section	.text._Z9sort_keysILj256ELj64ELj1EiN10test_utils4lessEEvPKT2_PS2_T3_,"axG",@progbits,_Z9sort_keysILj256ELj64ELj1EiN10test_utils4lessEEvPKT2_PS2_T3_,comdat
	.protected	_Z9sort_keysILj256ELj64ELj1EiN10test_utils4lessEEvPKT2_PS2_T3_ ; -- Begin function _Z9sort_keysILj256ELj64ELj1EiN10test_utils4lessEEvPKT2_PS2_T3_
	.globl	_Z9sort_keysILj256ELj64ELj1EiN10test_utils4lessEEvPKT2_PS2_T3_
	.p2align	8
	.type	_Z9sort_keysILj256ELj64ELj1EiN10test_utils4lessEEvPKT2_PS2_T3_,@function
_Z9sort_keysILj256ELj64ELj1EiN10test_utils4lessEEvPKT2_PS2_T3_: ; @_Z9sort_keysILj256ELj64ELj1EiN10test_utils4lessEEvPKT2_PS2_T3_
; %bb.0:
	s_load_dwordx4 s[8:11], s[4:5], 0x0
	s_mov_b32 s1, 0
	s_lshl_b32 s0, s6, 8
	v_lshlrev_b32_e32 v1, 2, v0
	s_lshl_b64 s[4:5], s[0:1], 2
	v_mbcnt_lo_u32_b32 v2, -1, 0
	v_lshrrev_b32_e32 v7, 6, v0
	s_mov_b32 s0, exec_lo
	v_and_b32_e32 v8, 30, v2
	v_and_b32_e32 v5, 1, v2
	v_lshlrev_b32_e32 v3, 2, v2
	v_or_b32_e32 v6, 1, v8
	v_add_nc_u32_e32 v0, -1, v5
	v_lshlrev_b32_e32 v12, 2, v8
	v_cmp_lt_i32_e32 vcc_lo, 0, v5
	v_sub_nc_u32_e32 v4, v6, v8
	s_waitcnt lgkmcnt(0)
	s_add_u32 s2, s8, s4
	s_addc_u32 s3, s9, s5
	v_cndmask_b32_e32 v10, 0, v0, vcc_lo
	global_load_dword v11, v1, s[2:3]
	v_min_i32_e32 v9, v5, v4
	v_mul_u32_u24_e32 v0, 0x104, v7
	v_mad_u32_u24 v4, 0x104, v7, v3
	v_mad_u32_u24 v7, 0x104, v7, v12
	; wave barrier
	s_waitcnt vmcnt(0)
	ds_write_b32 v4, v11
	; wave barrier
	v_cmpx_lt_i32_e64 v10, v9
	s_cbranch_execz .LBB36_4
; %bb.1:
	v_lshlrev_b32_e32 v11, 2, v6
	v_lshlrev_b32_e32 v12, 2, v5
	v_add3_u32 v11, v0, v11, v12
	.p2align	6
.LBB36_2:                               ; =>This Inner Loop Header: Depth=1
	v_sub_nc_u32_e32 v12, v9, v10
	v_lshrrev_b32_e32 v12, 1, v12
	v_add_nc_u32_e32 v12, v12, v10
	v_not_b32_e32 v13, v12
	v_lshl_add_u32 v14, v12, 2, v7
	v_add_nc_u32_e32 v15, 1, v12
	v_lshl_add_u32 v13, v13, 2, v11
	ds_read_b32 v14, v14
	ds_read_b32 v13, v13
	s_waitcnt lgkmcnt(0)
	v_cmp_lt_i32_e32 vcc_lo, v13, v14
	v_cndmask_b32_e32 v9, v9, v12, vcc_lo
	v_cndmask_b32_e32 v10, v15, v10, vcc_lo
	v_cmp_ge_i32_e32 vcc_lo, v10, v9
	s_or_b32 s1, vcc_lo, s1
	s_andn2_b32 exec_lo, exec_lo, s1
	s_cbranch_execnz .LBB36_2
; %bb.3:
	s_or_b32 exec_lo, exec_lo, s1
.LBB36_4:
	s_or_b32 exec_lo, exec_lo, s0
	v_add_nc_u32_e32 v5, v6, v5
	v_and_b32_e32 v9, 28, v2
	s_mov_b32 s2, 0
	v_sub_nc_u32_e32 v11, v5, v10
	v_lshl_add_u32 v5, v10, 2, v7
	v_add_nc_u32_e32 v10, v10, v8
	v_and_b32_e32 v8, 3, v2
	v_lshl_add_u32 v7, v11, 2, v0
	v_cmp_ge_i32_e64 s1, v6, v11
	v_cmp_le_i32_e32 vcc_lo, v6, v10
	v_lshl_add_u32 v6, v9, 2, v0
	ds_read_b32 v12, v5
	ds_read_b32 v13, v7
	v_or_b32_e32 v7, 2, v9
	v_add_nc_u32_e32 v5, 4, v9
	; wave barrier
	v_sub_nc_u32_e32 v10, v7, v9
	v_sub_nc_u32_e32 v14, v5, v7
	v_min_i32_e32 v10, v8, v10
	v_sub_nc_u32_e32 v15, v8, v14
	s_waitcnt lgkmcnt(0)
	v_cmp_lt_i32_e64 s0, v13, v12
	s_or_b32 s0, vcc_lo, s0
	v_cmp_ge_i32_e32 vcc_lo, v8, v14
	v_cndmask_b32_e32 v11, 0, v15, vcc_lo
	s_and_b32 vcc_lo, s1, s0
	s_mov_b32 s0, exec_lo
	v_cndmask_b32_e32 v12, v12, v13, vcc_lo
	ds_write_b32 v4, v12
	; wave barrier
	v_cmpx_lt_i32_e64 v11, v10
	s_cbranch_execz .LBB36_8
; %bb.5:
	v_lshlrev_b32_e32 v12, 2, v7
	v_lshlrev_b32_e32 v13, 2, v8
	v_add3_u32 v12, v0, v12, v13
	.p2align	6
.LBB36_6:                               ; =>This Inner Loop Header: Depth=1
	v_sub_nc_u32_e32 v13, v10, v11
	v_lshrrev_b32_e32 v13, 1, v13
	v_add_nc_u32_e32 v13, v13, v11
	v_not_b32_e32 v14, v13
	v_lshl_add_u32 v15, v13, 2, v6
	v_add_nc_u32_e32 v16, 1, v13
	v_lshl_add_u32 v14, v14, 2, v12
	ds_read_b32 v15, v15
	ds_read_b32 v14, v14
	s_waitcnt lgkmcnt(0)
	v_cmp_lt_i32_e32 vcc_lo, v14, v15
	v_cndmask_b32_e32 v10, v10, v13, vcc_lo
	v_cndmask_b32_e32 v11, v16, v11, vcc_lo
	v_cmp_ge_i32_e32 vcc_lo, v11, v10
	s_or_b32 s2, vcc_lo, s2
	s_andn2_b32 exec_lo, exec_lo, s2
	s_cbranch_execnz .LBB36_6
; %bb.7:
	s_or_b32 exec_lo, exec_lo, s2
.LBB36_8:
	s_or_b32 exec_lo, exec_lo, s0
	v_add_nc_u32_e32 v8, v7, v8
	v_lshl_add_u32 v6, v11, 2, v6
	v_and_b32_e32 v10, 24, v2
	s_mov_b32 s2, 0
	v_sub_nc_u32_e32 v12, v8, v11
	v_add_nc_u32_e32 v11, v11, v9
	v_and_b32_e32 v9, 7, v2
	v_lshl_add_u32 v8, v12, 2, v0
	v_cmp_le_i32_e32 vcc_lo, v7, v11
	v_cmp_gt_i32_e64 s1, v5, v12
	v_lshl_add_u32 v5, v10, 2, v0
	ds_read_b32 v13, v6
	ds_read_b32 v14, v8
	v_or_b32_e32 v8, 4, v10
	v_add_nc_u32_e32 v6, 8, v10
	; wave barrier
	v_sub_nc_u32_e32 v7, v8, v10
	v_sub_nc_u32_e32 v15, v6, v8
	v_min_i32_e32 v7, v9, v7
	v_sub_nc_u32_e32 v11, v9, v15
	s_waitcnt lgkmcnt(0)
	v_cmp_lt_i32_e64 s0, v14, v13
	s_or_b32 s0, vcc_lo, s0
	v_cmp_ge_i32_e32 vcc_lo, v9, v15
	v_cndmask_b32_e32 v11, 0, v11, vcc_lo
	s_and_b32 vcc_lo, s1, s0
	s_mov_b32 s0, exec_lo
	v_cndmask_b32_e32 v12, v13, v14, vcc_lo
	ds_write_b32 v4, v12
	; wave barrier
	v_cmpx_lt_i32_e64 v11, v7
	s_cbranch_execz .LBB36_12
; %bb.9:
	v_lshlrev_b32_e32 v12, 2, v8
	v_lshlrev_b32_e32 v13, 2, v9
	v_add3_u32 v12, v0, v12, v13
	.p2align	6
.LBB36_10:                              ; =>This Inner Loop Header: Depth=1
	v_sub_nc_u32_e32 v13, v7, v11
	v_lshrrev_b32_e32 v13, 1, v13
	v_add_nc_u32_e32 v13, v13, v11
	v_not_b32_e32 v14, v13
	v_lshl_add_u32 v15, v13, 2, v5
	v_add_nc_u32_e32 v16, 1, v13
	v_lshl_add_u32 v14, v14, 2, v12
	ds_read_b32 v15, v15
	ds_read_b32 v14, v14
	s_waitcnt lgkmcnt(0)
	v_cmp_lt_i32_e32 vcc_lo, v14, v15
	v_cndmask_b32_e32 v7, v7, v13, vcc_lo
	v_cndmask_b32_e32 v11, v16, v11, vcc_lo
	v_cmp_ge_i32_e32 vcc_lo, v11, v7
	s_or_b32 s2, vcc_lo, s2
	s_andn2_b32 exec_lo, exec_lo, s2
	s_cbranch_execnz .LBB36_10
; %bb.11:
	s_or_b32 exec_lo, exec_lo, s2
.LBB36_12:
	s_or_b32 exec_lo, exec_lo, s0
	v_add_nc_u32_e32 v7, v8, v9
	v_lshl_add_u32 v5, v11, 2, v5
	v_and_b32_e32 v9, 16, v2
	s_mov_b32 s2, 0
	v_sub_nc_u32_e32 v12, v7, v11
	v_add_nc_u32_e32 v11, v11, v10
	v_and_b32_e32 v10, 15, v2
	v_lshl_add_u32 v7, v12, 2, v0
	v_cmp_le_i32_e32 vcc_lo, v8, v11
	v_cmp_gt_i32_e64 s1, v6, v12
	ds_read_b32 v13, v5
	ds_read_b32 v14, v7
	v_or_b32_e32 v7, 8, v9
	v_add_nc_u32_e32 v5, 16, v9
	; wave barrier
	v_sub_nc_u32_e32 v8, v7, v9
	v_sub_nc_u32_e32 v15, v5, v7
	v_min_i32_e32 v11, v10, v8
	v_sub_nc_u32_e32 v16, v10, v15
	v_lshl_add_u32 v8, v9, 2, v0
	s_waitcnt lgkmcnt(0)
	v_cmp_lt_i32_e64 s0, v14, v13
	s_or_b32 s0, vcc_lo, s0
	v_cmp_ge_i32_e32 vcc_lo, v10, v15
	v_cndmask_b32_e32 v6, 0, v16, vcc_lo
	s_and_b32 vcc_lo, s1, s0
	s_mov_b32 s0, exec_lo
	v_cndmask_b32_e32 v12, v13, v14, vcc_lo
	ds_write_b32 v4, v12
	; wave barrier
	v_cmpx_lt_i32_e64 v6, v11
	s_cbranch_execz .LBB36_16
; %bb.13:
	v_lshlrev_b32_e32 v12, 2, v7
	v_lshlrev_b32_e32 v13, 2, v10
	v_add3_u32 v12, v0, v12, v13
	.p2align	6
.LBB36_14:                              ; =>This Inner Loop Header: Depth=1
	v_sub_nc_u32_e32 v13, v11, v6
	v_lshrrev_b32_e32 v13, 1, v13
	v_add_nc_u32_e32 v13, v13, v6
	v_not_b32_e32 v14, v13
	v_lshl_add_u32 v15, v13, 2, v8
	v_add_nc_u32_e32 v16, 1, v13
	v_lshl_add_u32 v14, v14, 2, v12
	ds_read_b32 v15, v15
	ds_read_b32 v14, v14
	s_waitcnt lgkmcnt(0)
	v_cmp_lt_i32_e32 vcc_lo, v14, v15
	v_cndmask_b32_e32 v11, v11, v13, vcc_lo
	v_cndmask_b32_e32 v6, v16, v6, vcc_lo
	v_cmp_ge_i32_e32 vcc_lo, v6, v11
	s_or_b32 s2, vcc_lo, s2
	s_andn2_b32 exec_lo, exec_lo, s2
	s_cbranch_execnz .LBB36_14
; %bb.15:
	s_or_b32 exec_lo, exec_lo, s2
.LBB36_16:
	s_or_b32 exec_lo, exec_lo, s0
	v_add_nc_u32_e32 v10, v7, v10
	v_lshl_add_u32 v8, v6, 2, v8
	v_cmp_lt_i32_e64 s2, 15, v2
	v_sub_nc_u32_e32 v10, v10, v6
	v_add_nc_u32_e32 v6, v6, v9
	v_add_nc_u32_e32 v9, -16, v2
	v_lshl_add_u32 v11, v10, 2, v0
	v_cmp_le_i32_e32 vcc_lo, v7, v6
	v_cmp_gt_i32_e64 s1, v5, v10
	v_min_i32_e32 v6, 16, v2
	ds_read_b32 v8, v8
	ds_read_b32 v11, v11
	v_cndmask_b32_e64 v5, 0, v9, s2
	; wave barrier
	s_waitcnt lgkmcnt(0)
	v_cmp_lt_i32_e64 s0, v11, v8
	s_or_b32 s0, vcc_lo, s0
	s_and_b32 vcc_lo, s1, s0
	s_mov_b32 s0, exec_lo
	v_cndmask_b32_e32 v7, v8, v11, vcc_lo
	ds_write_b32 v4, v7
	; wave barrier
	v_cmpx_lt_i32_e64 v5, v6
	s_cbranch_execz .LBB36_20
; %bb.17:
	v_add3_u32 v7, v0, 64, v3
	s_mov_b32 s1, 0
	.p2align	6
.LBB36_18:                              ; =>This Inner Loop Header: Depth=1
	v_sub_nc_u32_e32 v8, v6, v5
	v_lshrrev_b32_e32 v8, 1, v8
	v_add_nc_u32_e32 v8, v8, v5
	v_not_b32_e32 v9, v8
	v_lshl_add_u32 v10, v8, 2, v0
	v_add_nc_u32_e32 v11, 1, v8
	v_lshl_add_u32 v9, v9, 2, v7
	ds_read_b32 v10, v10
	ds_read_b32 v9, v9
	s_waitcnt lgkmcnt(0)
	v_cmp_lt_i32_e32 vcc_lo, v9, v10
	v_cndmask_b32_e32 v6, v6, v8, vcc_lo
	v_cndmask_b32_e32 v5, v11, v5, vcc_lo
	v_cmp_ge_i32_e32 vcc_lo, v5, v6
	s_or_b32 s1, vcc_lo, s1
	s_andn2_b32 exec_lo, exec_lo, s1
	s_cbranch_execnz .LBB36_18
; %bb.19:
	s_or_b32 exec_lo, exec_lo, s1
.LBB36_20:
	s_or_b32 exec_lo, exec_lo, s0
	v_add_nc_u32_e32 v6, 16, v2
	v_lshl_add_u32 v7, v5, 2, v0
	v_cmp_le_i32_e32 vcc_lo, 16, v5
	v_cmp_lt_i32_e64 s2, 31, v2
	v_sub_nc_u32_e32 v6, v6, v5
	v_or_b32_e32 v5, 0xffffffe0, v2
	v_lshl_add_u32 v8, v6, 2, v0
	v_cmp_gt_i32_e64 s1, 32, v6
	v_cndmask_b32_e64 v5, 0, v5, s2
	ds_read_b32 v7, v7
	ds_read_b32 v8, v8
	; wave barrier
	s_waitcnt lgkmcnt(0)
	v_cmp_lt_i32_e64 s0, v8, v7
	s_or_b32 s0, vcc_lo, s0
	s_and_b32 vcc_lo, s1, s0
	s_mov_b32 s0, exec_lo
	v_cndmask_b32_e32 v6, v7, v8, vcc_lo
	ds_write_b32 v4, v6
	; wave barrier
	v_cmpx_lt_i32_e64 v5, v2
	s_cbranch_execz .LBB36_24
; %bb.21:
	v_add3_u32 v3, 0x80, v0, v3
	v_mov_b32_e32 v4, v2
	s_mov_b32 s1, 0
	.p2align	6
.LBB36_22:                              ; =>This Inner Loop Header: Depth=1
	v_sub_nc_u32_e32 v6, v4, v5
	v_lshrrev_b32_e32 v6, 1, v6
	v_add_nc_u32_e32 v6, v6, v5
	v_not_b32_e32 v7, v6
	v_lshl_add_u32 v8, v6, 2, v0
	v_add_nc_u32_e32 v9, 1, v6
	v_lshl_add_u32 v7, v7, 2, v3
	ds_read_b32 v8, v8
	ds_read_b32 v7, v7
	s_waitcnt lgkmcnt(0)
	v_cmp_lt_i32_e32 vcc_lo, v7, v8
	v_cndmask_b32_e32 v4, v4, v6, vcc_lo
	v_cndmask_b32_e32 v5, v9, v5, vcc_lo
	v_cmp_ge_i32_e32 vcc_lo, v5, v4
	s_or_b32 s1, vcc_lo, s1
	s_andn2_b32 exec_lo, exec_lo, s1
	s_cbranch_execnz .LBB36_22
; %bb.23:
	s_or_b32 exec_lo, exec_lo, s1
.LBB36_24:
	s_or_b32 exec_lo, exec_lo, s0
	v_add_nc_u32_e32 v2, 32, v2
	v_lshl_add_u32 v3, v5, 2, v0
	v_cmp_le_i32_e32 vcc_lo, 32, v5
	v_sub_nc_u32_e32 v2, v2, v5
	v_lshl_add_u32 v0, v2, 2, v0
	v_cmp_gt_i32_e64 s1, 64, v2
	ds_read_b32 v3, v3
	ds_read_b32 v0, v0
	s_waitcnt lgkmcnt(0)
	v_cmp_lt_i32_e64 s0, v0, v3
	s_or_b32 s0, vcc_lo, s0
	s_and_b32 vcc_lo, s1, s0
	s_add_u32 s0, s10, s4
	v_cndmask_b32_e32 v0, v3, v0, vcc_lo
	s_addc_u32 s1, s11, s5
	global_store_dword v1, v0, s[0:1]
	s_endpgm
	.section	.rodata,"a",@progbits
	.p2align	6, 0x0
	.amdhsa_kernel _Z9sort_keysILj256ELj64ELj1EiN10test_utils4lessEEvPKT2_PS2_T3_
		.amdhsa_group_segment_fixed_size 1040
		.amdhsa_private_segment_fixed_size 0
		.amdhsa_kernarg_size 20
		.amdhsa_user_sgpr_count 6
		.amdhsa_user_sgpr_private_segment_buffer 1
		.amdhsa_user_sgpr_dispatch_ptr 0
		.amdhsa_user_sgpr_queue_ptr 0
		.amdhsa_user_sgpr_kernarg_segment_ptr 1
		.amdhsa_user_sgpr_dispatch_id 0
		.amdhsa_user_sgpr_flat_scratch_init 0
		.amdhsa_user_sgpr_private_segment_size 0
		.amdhsa_wavefront_size32 1
		.amdhsa_uses_dynamic_stack 0
		.amdhsa_system_sgpr_private_segment_wavefront_offset 0
		.amdhsa_system_sgpr_workgroup_id_x 1
		.amdhsa_system_sgpr_workgroup_id_y 0
		.amdhsa_system_sgpr_workgroup_id_z 0
		.amdhsa_system_sgpr_workgroup_info 0
		.amdhsa_system_vgpr_workitem_id 0
		.amdhsa_next_free_vgpr 17
		.amdhsa_next_free_sgpr 12
		.amdhsa_reserve_vcc 1
		.amdhsa_reserve_flat_scratch 0
		.amdhsa_float_round_mode_32 0
		.amdhsa_float_round_mode_16_64 0
		.amdhsa_float_denorm_mode_32 3
		.amdhsa_float_denorm_mode_16_64 3
		.amdhsa_dx10_clamp 1
		.amdhsa_ieee_mode 1
		.amdhsa_fp16_overflow 0
		.amdhsa_workgroup_processor_mode 1
		.amdhsa_memory_ordered 1
		.amdhsa_forward_progress 1
		.amdhsa_shared_vgpr_count 0
		.amdhsa_exception_fp_ieee_invalid_op 0
		.amdhsa_exception_fp_denorm_src 0
		.amdhsa_exception_fp_ieee_div_zero 0
		.amdhsa_exception_fp_ieee_overflow 0
		.amdhsa_exception_fp_ieee_underflow 0
		.amdhsa_exception_fp_ieee_inexact 0
		.amdhsa_exception_int_div_zero 0
	.end_amdhsa_kernel
	.section	.text._Z9sort_keysILj256ELj64ELj1EiN10test_utils4lessEEvPKT2_PS2_T3_,"axG",@progbits,_Z9sort_keysILj256ELj64ELj1EiN10test_utils4lessEEvPKT2_PS2_T3_,comdat
.Lfunc_end36:
	.size	_Z9sort_keysILj256ELj64ELj1EiN10test_utils4lessEEvPKT2_PS2_T3_, .Lfunc_end36-_Z9sort_keysILj256ELj64ELj1EiN10test_utils4lessEEvPKT2_PS2_T3_
                                        ; -- End function
	.set _Z9sort_keysILj256ELj64ELj1EiN10test_utils4lessEEvPKT2_PS2_T3_.num_vgpr, 17
	.set _Z9sort_keysILj256ELj64ELj1EiN10test_utils4lessEEvPKT2_PS2_T3_.num_agpr, 0
	.set _Z9sort_keysILj256ELj64ELj1EiN10test_utils4lessEEvPKT2_PS2_T3_.numbered_sgpr, 12
	.set _Z9sort_keysILj256ELj64ELj1EiN10test_utils4lessEEvPKT2_PS2_T3_.num_named_barrier, 0
	.set _Z9sort_keysILj256ELj64ELj1EiN10test_utils4lessEEvPKT2_PS2_T3_.private_seg_size, 0
	.set _Z9sort_keysILj256ELj64ELj1EiN10test_utils4lessEEvPKT2_PS2_T3_.uses_vcc, 1
	.set _Z9sort_keysILj256ELj64ELj1EiN10test_utils4lessEEvPKT2_PS2_T3_.uses_flat_scratch, 0
	.set _Z9sort_keysILj256ELj64ELj1EiN10test_utils4lessEEvPKT2_PS2_T3_.has_dyn_sized_stack, 0
	.set _Z9sort_keysILj256ELj64ELj1EiN10test_utils4lessEEvPKT2_PS2_T3_.has_recursion, 0
	.set _Z9sort_keysILj256ELj64ELj1EiN10test_utils4lessEEvPKT2_PS2_T3_.has_indirect_call, 0
	.section	.AMDGPU.csdata,"",@progbits
; Kernel info:
; codeLenInByte = 1852
; TotalNumSgprs: 14
; NumVgprs: 17
; ScratchSize: 0
; MemoryBound: 0
; FloatMode: 240
; IeeeMode: 1
; LDSByteSize: 1040 bytes/workgroup (compile time only)
; SGPRBlocks: 0
; VGPRBlocks: 2
; NumSGPRsForWavesPerEU: 14
; NumVGPRsForWavesPerEU: 17
; Occupancy: 16
; WaveLimiterHint : 0
; COMPUTE_PGM_RSRC2:SCRATCH_EN: 0
; COMPUTE_PGM_RSRC2:USER_SGPR: 6
; COMPUTE_PGM_RSRC2:TRAP_HANDLER: 0
; COMPUTE_PGM_RSRC2:TGID_X_EN: 1
; COMPUTE_PGM_RSRC2:TGID_Y_EN: 0
; COMPUTE_PGM_RSRC2:TGID_Z_EN: 0
; COMPUTE_PGM_RSRC2:TIDIG_COMP_CNT: 0
	.section	.text._Z10sort_pairsILj256ELj64ELj1EiN10test_utils4lessEEvPKT2_PS2_T3_,"axG",@progbits,_Z10sort_pairsILj256ELj64ELj1EiN10test_utils4lessEEvPKT2_PS2_T3_,comdat
	.protected	_Z10sort_pairsILj256ELj64ELj1EiN10test_utils4lessEEvPKT2_PS2_T3_ ; -- Begin function _Z10sort_pairsILj256ELj64ELj1EiN10test_utils4lessEEvPKT2_PS2_T3_
	.globl	_Z10sort_pairsILj256ELj64ELj1EiN10test_utils4lessEEvPKT2_PS2_T3_
	.p2align	8
	.type	_Z10sort_pairsILj256ELj64ELj1EiN10test_utils4lessEEvPKT2_PS2_T3_,@function
_Z10sort_pairsILj256ELj64ELj1EiN10test_utils4lessEEvPKT2_PS2_T3_: ; @_Z10sort_pairsILj256ELj64ELj1EiN10test_utils4lessEEvPKT2_PS2_T3_
; %bb.0:
	s_load_dwordx4 s[0:3], s[4:5], 0x0
	s_mov_b32 s7, 0
	s_lshl_b32 s6, s6, 8
	v_lshlrev_b32_e32 v1, 2, v0
	s_lshl_b64 s[4:5], s[6:7], 2
	v_mbcnt_lo_u32_b32 v2, -1, 0
	v_lshrrev_b32_e32 v10, 6, v0
	v_and_b32_e32 v7, 30, v2
	v_and_b32_e32 v8, 1, v2
	v_lshlrev_b32_e32 v4, 2, v2
	v_or_b32_e32 v6, 1, v7
	v_add_nc_u32_e32 v0, -1, v8
	v_lshlrev_b32_e32 v12, 2, v7
	v_cmp_lt_i32_e32 vcc_lo, 0, v8
	v_sub_nc_u32_e32 v3, v6, v7
	s_waitcnt lgkmcnt(0)
	s_add_u32 s0, s0, s4
	s_addc_u32 s1, s1, s5
	v_cndmask_b32_e32 v9, 0, v0, vcc_lo
	global_load_dword v5, v1, s[0:1]
	v_min_i32_e32 v11, v8, v3
	v_mul_u32_u24_e32 v3, 0x104, v10
	v_mad_u32_u24 v0, 0x104, v10, v4
	v_mad_u32_u24 v10, 0x104, v10, v12
	s_mov_b32 s0, exec_lo
	; wave barrier
	s_waitcnt vmcnt(0)
	ds_write_b32 v0, v5
	; wave barrier
	v_cmpx_lt_i32_e64 v9, v11
	s_cbranch_execz .LBB37_4
; %bb.1:
	v_lshlrev_b32_e32 v12, 2, v6
	v_lshlrev_b32_e32 v13, 2, v8
	v_add3_u32 v12, v3, v12, v13
	.p2align	6
.LBB37_2:                               ; =>This Inner Loop Header: Depth=1
	v_sub_nc_u32_e32 v13, v11, v9
	v_lshrrev_b32_e32 v13, 1, v13
	v_add_nc_u32_e32 v13, v13, v9
	v_not_b32_e32 v14, v13
	v_lshl_add_u32 v15, v13, 2, v10
	v_add_nc_u32_e32 v16, 1, v13
	v_lshl_add_u32 v14, v14, 2, v12
	ds_read_b32 v15, v15
	ds_read_b32 v14, v14
	s_waitcnt lgkmcnt(0)
	v_cmp_lt_i32_e32 vcc_lo, v14, v15
	v_cndmask_b32_e32 v11, v11, v13, vcc_lo
	v_cndmask_b32_e32 v9, v16, v9, vcc_lo
	v_cmp_ge_i32_e32 vcc_lo, v9, v11
	s_or_b32 s7, vcc_lo, s7
	s_andn2_b32 exec_lo, exec_lo, s7
	s_cbranch_execnz .LBB37_2
; %bb.3:
	s_or_b32 exec_lo, exec_lo, s7
.LBB37_4:
	s_or_b32 exec_lo, exec_lo, s0
	v_add_nc_u32_e32 v8, v6, v8
	v_lshl_add_u32 v10, v9, 2, v10
	v_add_nc_u32_e32 v7, v9, v7
	v_add_nc_u32_e32 v5, 1, v5
	v_sub_nc_u32_e32 v8, v8, v9
	v_cmp_le_i32_e32 vcc_lo, v6, v7
	v_lshl_add_u32 v11, v8, 2, v3
	v_cmp_ge_i32_e64 s1, v6, v8
	v_and_b32_e32 v6, 28, v2
	ds_read_b32 v10, v10
	ds_read_b32 v11, v11
	; wave barrier
	ds_write_b32 v0, v5
	; wave barrier
	s_waitcnt lgkmcnt(1)
	v_cmp_lt_i32_e64 s0, v11, v10
	s_or_b32 s0, vcc_lo, s0
	s_and_b32 vcc_lo, s1, s0
	s_mov_b32 s1, 0
	v_cndmask_b32_e32 v9, v7, v8, vcc_lo
	v_or_b32_e32 v8, 2, v6
	v_add_nc_u32_e32 v7, 4, v6
	v_cndmask_b32_e32 v13, v10, v11, vcc_lo
	s_mov_b32 s0, exec_lo
	v_lshl_add_u32 v5, v9, 2, v3
	v_and_b32_e32 v9, 3, v2
	v_sub_nc_u32_e32 v10, v7, v8
	v_sub_nc_u32_e32 v12, v8, v6
	ds_read_b32 v5, v5
	v_sub_nc_u32_e32 v11, v9, v10
	v_cmp_ge_i32_e32 vcc_lo, v9, v10
	v_min_i32_e32 v12, v9, v12
	; wave barrier
	ds_write_b32 v0, v13
	v_cndmask_b32_e32 v10, 0, v11, vcc_lo
	v_lshl_add_u32 v11, v6, 2, v3
	; wave barrier
	v_cmpx_lt_i32_e64 v10, v12
	s_cbranch_execz .LBB37_8
; %bb.5:
	v_lshlrev_b32_e32 v13, 2, v8
	v_lshlrev_b32_e32 v14, 2, v9
	v_add3_u32 v13, v3, v13, v14
	.p2align	6
.LBB37_6:                               ; =>This Inner Loop Header: Depth=1
	v_sub_nc_u32_e32 v14, v12, v10
	v_lshrrev_b32_e32 v14, 1, v14
	v_add_nc_u32_e32 v14, v14, v10
	v_not_b32_e32 v15, v14
	v_lshl_add_u32 v16, v14, 2, v11
	v_add_nc_u32_e32 v17, 1, v14
	v_lshl_add_u32 v15, v15, 2, v13
	ds_read_b32 v16, v16
	ds_read_b32 v15, v15
	s_waitcnt lgkmcnt(0)
	v_cmp_lt_i32_e32 vcc_lo, v15, v16
	v_cndmask_b32_e32 v12, v12, v14, vcc_lo
	v_cndmask_b32_e32 v10, v17, v10, vcc_lo
	v_cmp_ge_i32_e32 vcc_lo, v10, v12
	s_or_b32 s1, vcc_lo, s1
	s_andn2_b32 exec_lo, exec_lo, s1
	s_cbranch_execnz .LBB37_6
; %bb.7:
	s_or_b32 exec_lo, exec_lo, s1
.LBB37_8:
	s_or_b32 exec_lo, exec_lo, s0
	v_add_nc_u32_e32 v9, v8, v9
	v_lshl_add_u32 v11, v10, 2, v11
	v_sub_nc_u32_e32 v9, v9, v10
	v_add_nc_u32_e32 v10, v10, v6
	v_and_b32_e32 v6, 24, v2
	v_lshl_add_u32 v12, v9, 2, v3
	v_cmp_le_i32_e32 vcc_lo, v8, v10
	v_cmp_gt_i32_e64 s1, v7, v9
	v_or_b32_e32 v8, 4, v6
	ds_read_b32 v11, v11
	ds_read_b32 v12, v12
	; wave barrier
	s_waitcnt lgkmcnt(3)
	ds_write_b32 v0, v5
	v_add_nc_u32_e32 v7, 8, v6
	; wave barrier
	s_waitcnt lgkmcnt(1)
	v_cmp_lt_i32_e64 s0, v12, v11
	s_or_b32 s0, vcc_lo, s0
	s_and_b32 vcc_lo, s1, s0
	s_mov_b32 s1, 0
	v_cndmask_b32_e32 v9, v10, v9, vcc_lo
	v_sub_nc_u32_e32 v10, v7, v8
	v_cndmask_b32_e32 v13, v11, v12, vcc_lo
	v_sub_nc_u32_e32 v12, v8, v6
	s_mov_b32 s0, exec_lo
	v_lshl_add_u32 v5, v9, 2, v3
	v_and_b32_e32 v9, 7, v2
	ds_read_b32 v5, v5
	v_sub_nc_u32_e32 v11, v9, v10
	v_cmp_ge_i32_e32 vcc_lo, v9, v10
	v_min_i32_e32 v12, v9, v12
	; wave barrier
	ds_write_b32 v0, v13
	v_cndmask_b32_e32 v10, 0, v11, vcc_lo
	v_lshl_add_u32 v11, v6, 2, v3
	; wave barrier
	v_cmpx_lt_i32_e64 v10, v12
	s_cbranch_execz .LBB37_12
; %bb.9:
	v_lshlrev_b32_e32 v13, 2, v8
	v_lshlrev_b32_e32 v14, 2, v9
	v_add3_u32 v13, v3, v13, v14
	.p2align	6
.LBB37_10:                              ; =>This Inner Loop Header: Depth=1
	v_sub_nc_u32_e32 v14, v12, v10
	v_lshrrev_b32_e32 v14, 1, v14
	v_add_nc_u32_e32 v14, v14, v10
	v_not_b32_e32 v15, v14
	v_lshl_add_u32 v16, v14, 2, v11
	v_add_nc_u32_e32 v17, 1, v14
	v_lshl_add_u32 v15, v15, 2, v13
	ds_read_b32 v16, v16
	ds_read_b32 v15, v15
	s_waitcnt lgkmcnt(0)
	v_cmp_lt_i32_e32 vcc_lo, v15, v16
	v_cndmask_b32_e32 v12, v12, v14, vcc_lo
	v_cndmask_b32_e32 v10, v17, v10, vcc_lo
	v_cmp_ge_i32_e32 vcc_lo, v10, v12
	s_or_b32 s1, vcc_lo, s1
	s_andn2_b32 exec_lo, exec_lo, s1
	s_cbranch_execnz .LBB37_10
; %bb.11:
	s_or_b32 exec_lo, exec_lo, s1
.LBB37_12:
	s_or_b32 exec_lo, exec_lo, s0
	v_add_nc_u32_e32 v9, v8, v9
	v_lshl_add_u32 v11, v10, 2, v11
	v_sub_nc_u32_e32 v9, v9, v10
	v_add_nc_u32_e32 v10, v10, v6
	v_and_b32_e32 v6, 16, v2
	v_lshl_add_u32 v12, v9, 2, v3
	v_cmp_le_i32_e32 vcc_lo, v8, v10
	v_cmp_gt_i32_e64 s1, v7, v9
	v_or_b32_e32 v8, 8, v6
	ds_read_b32 v11, v11
	ds_read_b32 v12, v12
	; wave barrier
	s_waitcnt lgkmcnt(3)
	ds_write_b32 v0, v5
	v_add_nc_u32_e32 v7, 16, v6
	; wave barrier
	s_waitcnt lgkmcnt(1)
	v_cmp_lt_i32_e64 s0, v12, v11
	s_or_b32 s0, vcc_lo, s0
	s_and_b32 vcc_lo, s1, s0
	s_mov_b32 s1, 0
	v_cndmask_b32_e32 v9, v10, v9, vcc_lo
	v_sub_nc_u32_e32 v10, v7, v8
	v_cndmask_b32_e32 v13, v11, v12, vcc_lo
	v_sub_nc_u32_e32 v12, v8, v6
	s_mov_b32 s0, exec_lo
	v_lshl_add_u32 v5, v9, 2, v3
	v_and_b32_e32 v9, 15, v2
	ds_read_b32 v5, v5
	v_sub_nc_u32_e32 v11, v9, v10
	v_cmp_ge_i32_e32 vcc_lo, v9, v10
	v_min_i32_e32 v12, v9, v12
	; wave barrier
	ds_write_b32 v0, v13
	v_cndmask_b32_e32 v10, 0, v11, vcc_lo
	v_lshl_add_u32 v11, v6, 2, v3
	; wave barrier
	v_cmpx_lt_i32_e64 v10, v12
	s_cbranch_execz .LBB37_16
; %bb.13:
	v_lshlrev_b32_e32 v13, 2, v8
	v_lshlrev_b32_e32 v14, 2, v9
	v_add3_u32 v13, v3, v13, v14
	.p2align	6
.LBB37_14:                              ; =>This Inner Loop Header: Depth=1
	v_sub_nc_u32_e32 v14, v12, v10
	v_lshrrev_b32_e32 v14, 1, v14
	v_add_nc_u32_e32 v14, v14, v10
	v_not_b32_e32 v15, v14
	v_lshl_add_u32 v16, v14, 2, v11
	v_add_nc_u32_e32 v17, 1, v14
	v_lshl_add_u32 v15, v15, 2, v13
	ds_read_b32 v16, v16
	ds_read_b32 v15, v15
	s_waitcnt lgkmcnt(0)
	v_cmp_lt_i32_e32 vcc_lo, v15, v16
	v_cndmask_b32_e32 v12, v12, v14, vcc_lo
	v_cndmask_b32_e32 v10, v17, v10, vcc_lo
	v_cmp_ge_i32_e32 vcc_lo, v10, v12
	s_or_b32 s1, vcc_lo, s1
	s_andn2_b32 exec_lo, exec_lo, s1
	s_cbranch_execnz .LBB37_14
; %bb.15:
	s_or_b32 exec_lo, exec_lo, s1
.LBB37_16:
	s_or_b32 exec_lo, exec_lo, s0
	v_add_nc_u32_e32 v9, v8, v9
	v_lshl_add_u32 v11, v10, 2, v11
	v_add_nc_u32_e32 v6, v10, v6
	v_sub_nc_u32_e32 v9, v9, v10
	v_cmp_le_i32_e32 vcc_lo, v8, v6
	v_lshl_add_u32 v12, v9, 2, v3
	v_cmp_gt_i32_e64 s1, v7, v9
	v_min_i32_e32 v7, 16, v2
	ds_read_b32 v11, v11
	ds_read_b32 v12, v12
	; wave barrier
	s_waitcnt lgkmcnt(3)
	ds_write_b32 v0, v5
	; wave barrier
	s_waitcnt lgkmcnt(1)
	v_cmp_lt_i32_e64 s0, v12, v11
	s_or_b32 s0, vcc_lo, s0
	s_and_b32 vcc_lo, s1, s0
	s_mov_b32 s0, exec_lo
	v_cndmask_b32_e32 v6, v6, v9, vcc_lo
	v_cndmask_b32_e32 v8, v11, v12, vcc_lo
	v_cmp_lt_i32_e32 vcc_lo, 15, v2
	v_lshl_add_u32 v6, v6, 2, v3
	ds_read_b32 v5, v6
	v_add_nc_u32_e32 v6, -16, v2
	; wave barrier
	ds_write_b32 v0, v8
	v_cndmask_b32_e32 v6, 0, v6, vcc_lo
	; wave barrier
	v_cmpx_lt_i32_e64 v6, v7
	s_cbranch_execz .LBB37_20
; %bb.17:
	v_add3_u32 v8, v3, 64, v4
	s_mov_b32 s1, 0
	.p2align	6
.LBB37_18:                              ; =>This Inner Loop Header: Depth=1
	v_sub_nc_u32_e32 v9, v7, v6
	v_lshrrev_b32_e32 v9, 1, v9
	v_add_nc_u32_e32 v9, v9, v6
	v_not_b32_e32 v10, v9
	v_lshl_add_u32 v11, v9, 2, v3
	v_add_nc_u32_e32 v12, 1, v9
	v_lshl_add_u32 v10, v10, 2, v8
	ds_read_b32 v11, v11
	ds_read_b32 v10, v10
	s_waitcnt lgkmcnt(0)
	v_cmp_lt_i32_e32 vcc_lo, v10, v11
	v_cndmask_b32_e32 v7, v7, v9, vcc_lo
	v_cndmask_b32_e32 v6, v12, v6, vcc_lo
	v_cmp_ge_i32_e32 vcc_lo, v6, v7
	s_or_b32 s1, vcc_lo, s1
	s_andn2_b32 exec_lo, exec_lo, s1
	s_cbranch_execnz .LBB37_18
; %bb.19:
	s_or_b32 exec_lo, exec_lo, s1
.LBB37_20:
	s_or_b32 exec_lo, exec_lo, s0
	v_add_nc_u32_e32 v7, 16, v2
	v_lshl_add_u32 v8, v6, 2, v3
	v_cmp_le_i32_e32 vcc_lo, 16, v6
	v_sub_nc_u32_e32 v7, v7, v6
	v_lshl_add_u32 v9, v7, 2, v3
	v_cmp_gt_i32_e64 s1, 32, v7
	ds_read_b32 v8, v8
	ds_read_b32 v9, v9
	; wave barrier
	s_waitcnt lgkmcnt(3)
	ds_write_b32 v0, v5
	; wave barrier
	s_waitcnt lgkmcnt(1)
	v_cmp_lt_i32_e64 s0, v9, v8
	s_or_b32 s0, vcc_lo, s0
	s_and_b32 vcc_lo, s1, s0
	s_mov_b32 s0, exec_lo
	v_cndmask_b32_e32 v6, v6, v7, vcc_lo
	v_cndmask_b32_e32 v8, v8, v9, vcc_lo
	v_cmp_lt_i32_e32 vcc_lo, 31, v2
	v_lshl_add_u32 v6, v6, 2, v3
	ds_read_b32 v5, v6
	v_or_b32_e32 v6, 0xffffffe0, v2
	; wave barrier
	ds_write_b32 v0, v8
	v_cndmask_b32_e32 v6, 0, v6, vcc_lo
	; wave barrier
	v_cmpx_lt_i32_e64 v6, v2
	s_cbranch_execz .LBB37_24
; %bb.21:
	v_add3_u32 v4, 0x80, v3, v4
	v_mov_b32_e32 v7, v2
	s_mov_b32 s1, 0
	.p2align	6
.LBB37_22:                              ; =>This Inner Loop Header: Depth=1
	v_sub_nc_u32_e32 v8, v7, v6
	v_lshrrev_b32_e32 v8, 1, v8
	v_add_nc_u32_e32 v8, v8, v6
	v_not_b32_e32 v9, v8
	v_lshl_add_u32 v10, v8, 2, v3
	v_add_nc_u32_e32 v11, 1, v8
	v_lshl_add_u32 v9, v9, 2, v4
	ds_read_b32 v10, v10
	ds_read_b32 v9, v9
	s_waitcnt lgkmcnt(0)
	v_cmp_lt_i32_e32 vcc_lo, v9, v10
	v_cndmask_b32_e32 v7, v7, v8, vcc_lo
	v_cndmask_b32_e32 v6, v11, v6, vcc_lo
	v_cmp_ge_i32_e32 vcc_lo, v6, v7
	s_or_b32 s1, vcc_lo, s1
	s_andn2_b32 exec_lo, exec_lo, s1
	s_cbranch_execnz .LBB37_22
; %bb.23:
	s_or_b32 exec_lo, exec_lo, s1
.LBB37_24:
	s_or_b32 exec_lo, exec_lo, s0
	v_add_nc_u32_e32 v2, 32, v2
	v_lshl_add_u32 v4, v6, 2, v3
	v_cmp_le_i32_e32 vcc_lo, 32, v6
	v_sub_nc_u32_e32 v2, v2, v6
	v_lshl_add_u32 v7, v2, 2, v3
	v_cmp_gt_i32_e64 s1, 64, v2
	ds_read_b32 v4, v4
	ds_read_b32 v7, v7
	; wave barrier
	s_waitcnt lgkmcnt(3)
	ds_write_b32 v0, v5
	; wave barrier
	s_waitcnt lgkmcnt(1)
	v_cmp_lt_i32_e64 s0, v7, v4
	s_or_b32 s0, vcc_lo, s0
	s_and_b32 vcc_lo, s1, s0
	s_add_u32 s0, s2, s4
	v_cndmask_b32_e32 v2, v6, v2, vcc_lo
	v_cndmask_b32_e32 v4, v4, v7, vcc_lo
	s_addc_u32 s1, s3, s5
	v_lshl_add_u32 v2, v2, 2, v3
	ds_read_b32 v0, v2
	s_waitcnt lgkmcnt(0)
	v_add_nc_u32_e32 v0, v0, v4
	global_store_dword v1, v0, s[0:1]
	s_endpgm
	.section	.rodata,"a",@progbits
	.p2align	6, 0x0
	.amdhsa_kernel _Z10sort_pairsILj256ELj64ELj1EiN10test_utils4lessEEvPKT2_PS2_T3_
		.amdhsa_group_segment_fixed_size 1040
		.amdhsa_private_segment_fixed_size 0
		.amdhsa_kernarg_size 20
		.amdhsa_user_sgpr_count 6
		.amdhsa_user_sgpr_private_segment_buffer 1
		.amdhsa_user_sgpr_dispatch_ptr 0
		.amdhsa_user_sgpr_queue_ptr 0
		.amdhsa_user_sgpr_kernarg_segment_ptr 1
		.amdhsa_user_sgpr_dispatch_id 0
		.amdhsa_user_sgpr_flat_scratch_init 0
		.amdhsa_user_sgpr_private_segment_size 0
		.amdhsa_wavefront_size32 1
		.amdhsa_uses_dynamic_stack 0
		.amdhsa_system_sgpr_private_segment_wavefront_offset 0
		.amdhsa_system_sgpr_workgroup_id_x 1
		.amdhsa_system_sgpr_workgroup_id_y 0
		.amdhsa_system_sgpr_workgroup_id_z 0
		.amdhsa_system_sgpr_workgroup_info 0
		.amdhsa_system_vgpr_workitem_id 0
		.amdhsa_next_free_vgpr 18
		.amdhsa_next_free_sgpr 8
		.amdhsa_reserve_vcc 1
		.amdhsa_reserve_flat_scratch 0
		.amdhsa_float_round_mode_32 0
		.amdhsa_float_round_mode_16_64 0
		.amdhsa_float_denorm_mode_32 3
		.amdhsa_float_denorm_mode_16_64 3
		.amdhsa_dx10_clamp 1
		.amdhsa_ieee_mode 1
		.amdhsa_fp16_overflow 0
		.amdhsa_workgroup_processor_mode 1
		.amdhsa_memory_ordered 1
		.amdhsa_forward_progress 1
		.amdhsa_shared_vgpr_count 0
		.amdhsa_exception_fp_ieee_invalid_op 0
		.amdhsa_exception_fp_denorm_src 0
		.amdhsa_exception_fp_ieee_div_zero 0
		.amdhsa_exception_fp_ieee_overflow 0
		.amdhsa_exception_fp_ieee_underflow 0
		.amdhsa_exception_fp_ieee_inexact 0
		.amdhsa_exception_int_div_zero 0
	.end_amdhsa_kernel
	.section	.text._Z10sort_pairsILj256ELj64ELj1EiN10test_utils4lessEEvPKT2_PS2_T3_,"axG",@progbits,_Z10sort_pairsILj256ELj64ELj1EiN10test_utils4lessEEvPKT2_PS2_T3_,comdat
.Lfunc_end37:
	.size	_Z10sort_pairsILj256ELj64ELj1EiN10test_utils4lessEEvPKT2_PS2_T3_, .Lfunc_end37-_Z10sort_pairsILj256ELj64ELj1EiN10test_utils4lessEEvPKT2_PS2_T3_
                                        ; -- End function
	.set _Z10sort_pairsILj256ELj64ELj1EiN10test_utils4lessEEvPKT2_PS2_T3_.num_vgpr, 18
	.set _Z10sort_pairsILj256ELj64ELj1EiN10test_utils4lessEEvPKT2_PS2_T3_.num_agpr, 0
	.set _Z10sort_pairsILj256ELj64ELj1EiN10test_utils4lessEEvPKT2_PS2_T3_.numbered_sgpr, 8
	.set _Z10sort_pairsILj256ELj64ELj1EiN10test_utils4lessEEvPKT2_PS2_T3_.num_named_barrier, 0
	.set _Z10sort_pairsILj256ELj64ELj1EiN10test_utils4lessEEvPKT2_PS2_T3_.private_seg_size, 0
	.set _Z10sort_pairsILj256ELj64ELj1EiN10test_utils4lessEEvPKT2_PS2_T3_.uses_vcc, 1
	.set _Z10sort_pairsILj256ELj64ELj1EiN10test_utils4lessEEvPKT2_PS2_T3_.uses_flat_scratch, 0
	.set _Z10sort_pairsILj256ELj64ELj1EiN10test_utils4lessEEvPKT2_PS2_T3_.has_dyn_sized_stack, 0
	.set _Z10sort_pairsILj256ELj64ELj1EiN10test_utils4lessEEvPKT2_PS2_T3_.has_recursion, 0
	.set _Z10sort_pairsILj256ELj64ELj1EiN10test_utils4lessEEvPKT2_PS2_T3_.has_indirect_call, 0
	.section	.AMDGPU.csdata,"",@progbits
; Kernel info:
; codeLenInByte = 1956
; TotalNumSgprs: 10
; NumVgprs: 18
; ScratchSize: 0
; MemoryBound: 0
; FloatMode: 240
; IeeeMode: 1
; LDSByteSize: 1040 bytes/workgroup (compile time only)
; SGPRBlocks: 0
; VGPRBlocks: 2
; NumSGPRsForWavesPerEU: 10
; NumVGPRsForWavesPerEU: 18
; Occupancy: 16
; WaveLimiterHint : 0
; COMPUTE_PGM_RSRC2:SCRATCH_EN: 0
; COMPUTE_PGM_RSRC2:USER_SGPR: 6
; COMPUTE_PGM_RSRC2:TRAP_HANDLER: 0
; COMPUTE_PGM_RSRC2:TGID_X_EN: 1
; COMPUTE_PGM_RSRC2:TGID_Y_EN: 0
; COMPUTE_PGM_RSRC2:TGID_Z_EN: 0
; COMPUTE_PGM_RSRC2:TIDIG_COMP_CNT: 0
	.section	.text._Z19sort_keys_segmentedILj256ELj64ELj1EiN10test_utils4lessEEvPKT2_PS2_PKjT3_,"axG",@progbits,_Z19sort_keys_segmentedILj256ELj64ELj1EiN10test_utils4lessEEvPKT2_PS2_PKjT3_,comdat
	.protected	_Z19sort_keys_segmentedILj256ELj64ELj1EiN10test_utils4lessEEvPKT2_PS2_PKjT3_ ; -- Begin function _Z19sort_keys_segmentedILj256ELj64ELj1EiN10test_utils4lessEEvPKT2_PS2_PKjT3_
	.globl	_Z19sort_keys_segmentedILj256ELj64ELj1EiN10test_utils4lessEEvPKT2_PS2_PKjT3_
	.p2align	8
	.type	_Z19sort_keys_segmentedILj256ELj64ELj1EiN10test_utils4lessEEvPKT2_PS2_PKjT3_,@function
_Z19sort_keys_segmentedILj256ELj64ELj1EiN10test_utils4lessEEvPKT2_PS2_PKjT3_: ; @_Z19sort_keys_segmentedILj256ELj64ELj1EiN10test_utils4lessEEvPKT2_PS2_PKjT3_
; %bb.0:
	s_load_dwordx2 s[0:1], s[4:5], 0x10
	v_lshrrev_b32_e32 v8, 6, v0
	v_mov_b32_e32 v1, 0
	v_mbcnt_lo_u32_b32 v6, -1, 0
                                        ; implicit-def: $vgpr14
	v_lshl_or_b32 v0, s6, 2, v8
	s_load_dwordx4 s[4:7], s[4:5], 0x0
	v_lshlrev_b64 v[2:3], 2, v[0:1]
	v_lshlrev_b32_e32 v0, 6, v0
	v_lshlrev_b64 v[0:1], 2, v[0:1]
	s_waitcnt lgkmcnt(0)
	v_add_co_u32 v2, vcc_lo, s0, v2
	v_add_co_ci_u32_e64 v3, null, s1, v3, vcc_lo
	global_load_dword v4, v[2:3], off
	v_lshlrev_b32_e32 v2, 2, v6
	s_waitcnt vmcnt(0)
	v_cmp_lt_u32_e32 vcc_lo, v6, v4
	s_and_saveexec_b32 s1, vcc_lo
	s_cbranch_execz .LBB38_2
; %bb.1:
	v_add_co_u32 v3, s0, s4, v0
	v_add_co_ci_u32_e64 v5, null, s5, v1, s0
	v_add_co_u32 v9, s0, v3, v2
	v_add_co_ci_u32_e64 v10, null, 0, v5, s0
	global_load_dword v14, v[9:10], off
.LBB38_2:
	s_or_b32 exec_lo, exec_lo, s1
	v_and_b32_e32 v3, 30, v6
	v_and_b32_e32 v5, 1, v6
	s_mov_b32 s1, exec_lo
	; wave barrier
	v_min_i32_e32 v12, v4, v3
	v_min_i32_e32 v7, v4, v5
	v_add_nc_u32_e32 v3, 1, v12
	v_lshlrev_b32_e32 v15, 2, v12
	v_min_i32_e32 v10, v4, v3
	v_add_nc_u32_e32 v3, 1, v10
	v_sub_nc_u32_e32 v11, v10, v12
	v_min_i32_e32 v9, v4, v3
	v_min_i32_e32 v11, v7, v11
	v_sub_nc_u32_e32 v3, v9, v10
	v_sub_nc_u32_e32 v5, v7, v3
	v_cmp_ge_i32_e64 s0, v7, v3
	v_mul_u32_u24_e32 v3, 0x104, v8
	v_cndmask_b32_e64 v13, 0, v5, s0
	v_mad_u32_u24 v5, 0x104, v8, v2
	v_mad_u32_u24 v8, 0x104, v8, v15
	s_waitcnt vmcnt(0)
	ds_write_b32 v5, v14
	; wave barrier
	v_cmpx_lt_i32_e64 v13, v11
	s_cbranch_execz .LBB38_6
; %bb.3:
	v_lshlrev_b32_e32 v14, 2, v10
	v_lshlrev_b32_e32 v15, 2, v7
	s_mov_b32 s2, 0
	v_add3_u32 v14, v3, v14, v15
	.p2align	6
.LBB38_4:                               ; =>This Inner Loop Header: Depth=1
	v_sub_nc_u32_e32 v15, v11, v13
	v_lshrrev_b32_e32 v15, 1, v15
	v_add_nc_u32_e32 v15, v15, v13
	v_not_b32_e32 v16, v15
	v_lshl_add_u32 v17, v15, 2, v8
	v_add_nc_u32_e32 v18, 1, v15
	v_lshl_add_u32 v16, v16, 2, v14
	ds_read_b32 v17, v17
	ds_read_b32 v16, v16
	s_waitcnt lgkmcnt(0)
	v_cmp_lt_i32_e64 s0, v16, v17
	v_cndmask_b32_e64 v11, v11, v15, s0
	v_cndmask_b32_e64 v13, v18, v13, s0
	v_cmp_ge_i32_e64 s0, v13, v11
	s_or_b32 s2, s0, s2
	s_andn2_b32 exec_lo, exec_lo, s2
	s_cbranch_execnz .LBB38_4
; %bb.5:
	s_or_b32 exec_lo, exec_lo, s2
.LBB38_6:
	s_or_b32 exec_lo, exec_lo, s1
	v_add_nc_u32_e32 v7, v10, v7
	v_and_b32_e32 v11, 28, v6
	v_lshl_add_u32 v8, v13, 2, v8
	v_sub_nc_u32_e32 v14, v7, v13
	v_min_i32_e32 v7, v4, v11
	v_add_nc_u32_e32 v13, v13, v12
	v_lshl_add_u32 v11, v14, 2, v3
	v_add_nc_u32_e32 v15, 2, v7
	v_cmp_le_i32_e64 s0, v10, v13
	v_cmp_gt_i32_e64 s2, v9, v14
	ds_read_b32 v16, v8
	ds_read_b32 v17, v11
	v_min_i32_e32 v11, v4, v15
	v_and_b32_e32 v15, 3, v6
	; wave barrier
	v_add_nc_u32_e32 v8, 2, v11
	v_min_i32_e32 v12, v4, v15
	v_sub_nc_u32_e32 v10, v11, v7
	v_min_i32_e32 v8, v4, v8
	v_min_i32_e32 v9, v12, v10
	v_lshl_add_u32 v10, v7, 2, v3
	v_sub_nc_u32_e32 v15, v8, v11
	s_waitcnt lgkmcnt(0)
	v_cmp_lt_i32_e64 s1, v17, v16
	v_sub_nc_u32_e32 v13, v12, v15
	s_or_b32 s1, s0, s1
	v_cmp_ge_i32_e64 s0, v12, v15
	v_cndmask_b32_e64 v13, 0, v13, s0
	s_and_b32 s0, s2, s1
	s_mov_b32 s2, 0
	v_cndmask_b32_e64 v14, v16, v17, s0
	s_mov_b32 s1, exec_lo
	ds_write_b32 v5, v14
	; wave barrier
	v_cmpx_lt_i32_e64 v13, v9
	s_cbranch_execz .LBB38_10
; %bb.7:
	v_lshlrev_b32_e32 v14, 2, v11
	v_lshlrev_b32_e32 v15, 2, v12
	v_add3_u32 v14, v3, v14, v15
	.p2align	6
.LBB38_8:                               ; =>This Inner Loop Header: Depth=1
	v_sub_nc_u32_e32 v15, v9, v13
	v_lshrrev_b32_e32 v15, 1, v15
	v_add_nc_u32_e32 v15, v15, v13
	v_not_b32_e32 v16, v15
	v_lshl_add_u32 v17, v15, 2, v10
	v_add_nc_u32_e32 v18, 1, v15
	v_lshl_add_u32 v16, v16, 2, v14
	ds_read_b32 v17, v17
	ds_read_b32 v16, v16
	s_waitcnt lgkmcnt(0)
	v_cmp_lt_i32_e64 s0, v16, v17
	v_cndmask_b32_e64 v9, v9, v15, s0
	v_cndmask_b32_e64 v13, v18, v13, s0
	v_cmp_ge_i32_e64 s0, v13, v9
	s_or_b32 s2, s0, s2
	s_andn2_b32 exec_lo, exec_lo, s2
	s_cbranch_execnz .LBB38_8
; %bb.9:
	s_or_b32 exec_lo, exec_lo, s2
.LBB38_10:
	s_or_b32 exec_lo, exec_lo, s1
	v_add_nc_u32_e32 v9, v11, v12
	v_and_b32_e32 v12, 24, v6
	v_lshl_add_u32 v10, v13, 2, v10
	v_add_nc_u32_e32 v7, v13, v7
	v_sub_nc_u32_e32 v14, v9, v13
	v_min_i32_e32 v9, v4, v12
	v_cmp_le_i32_e64 s0, v11, v7
	v_lshl_add_u32 v12, v14, 2, v3
	v_add_nc_u32_e32 v15, 4, v9
	v_cmp_gt_i32_e64 s2, v8, v14
	ds_read_b32 v16, v10
	ds_read_b32 v17, v12
	v_min_i32_e32 v12, v4, v15
	v_and_b32_e32 v15, 7, v6
	; wave barrier
	v_add_nc_u32_e32 v10, 4, v12
	v_min_i32_e32 v13, v4, v15
	v_sub_nc_u32_e32 v7, v12, v9
	v_min_i32_e32 v10, v4, v10
	v_min_i32_e32 v8, v13, v7
	v_sub_nc_u32_e32 v15, v10, v12
	s_waitcnt lgkmcnt(0)
	v_cmp_lt_i32_e64 s1, v17, v16
	v_sub_nc_u32_e32 v11, v13, v15
	s_or_b32 s1, s0, s1
	v_cmp_ge_i32_e64 s0, v13, v15
	v_cndmask_b32_e64 v7, 0, v11, s0
	s_and_b32 s0, s2, s1
	v_lshl_add_u32 v11, v9, 2, v3
	v_cndmask_b32_e64 v14, v16, v17, s0
	s_mov_b32 s2, 0
	s_mov_b32 s1, exec_lo
	ds_write_b32 v5, v14
	; wave barrier
	v_cmpx_lt_i32_e64 v7, v8
	s_cbranch_execz .LBB38_14
; %bb.11:
	v_lshlrev_b32_e32 v14, 2, v12
	v_lshlrev_b32_e32 v15, 2, v13
	v_add3_u32 v14, v3, v14, v15
	.p2align	6
.LBB38_12:                              ; =>This Inner Loop Header: Depth=1
	v_sub_nc_u32_e32 v15, v8, v7
	v_lshrrev_b32_e32 v15, 1, v15
	v_add_nc_u32_e32 v15, v15, v7
	v_not_b32_e32 v16, v15
	v_lshl_add_u32 v17, v15, 2, v11
	v_add_nc_u32_e32 v18, 1, v15
	v_lshl_add_u32 v16, v16, 2, v14
	ds_read_b32 v17, v17
	ds_read_b32 v16, v16
	s_waitcnt lgkmcnt(0)
	v_cmp_lt_i32_e64 s0, v16, v17
	v_cndmask_b32_e64 v8, v8, v15, s0
	v_cndmask_b32_e64 v7, v18, v7, s0
	v_cmp_ge_i32_e64 s0, v7, v8
	s_or_b32 s2, s0, s2
	s_andn2_b32 exec_lo, exec_lo, s2
	s_cbranch_execnz .LBB38_12
; %bb.13:
	s_or_b32 exec_lo, exec_lo, s2
.LBB38_14:
	s_or_b32 exec_lo, exec_lo, s1
	v_add_nc_u32_e32 v8, v12, v13
	v_and_b32_e32 v13, 16, v6
	v_lshl_add_u32 v11, v7, 2, v11
	v_add_nc_u32_e32 v9, v7, v9
	v_sub_nc_u32_e32 v14, v8, v7
	v_min_i32_e32 v8, v4, v13
	v_cmp_le_i32_e64 s0, v12, v9
	v_lshl_add_u32 v13, v14, 2, v3
	v_add_nc_u32_e32 v15, 8, v8
	v_cmp_gt_i32_e64 s2, v10, v14
	v_lshl_add_u32 v10, v8, 2, v3
	ds_read_b32 v16, v11
	ds_read_b32 v17, v13
	v_min_i32_e32 v13, v4, v15
	v_and_b32_e32 v15, 15, v6
	; wave barrier
	v_add_nc_u32_e32 v11, 8, v13
	v_min_i32_e32 v7, v4, v15
	v_sub_nc_u32_e32 v9, v13, v8
	v_min_i32_e32 v11, v4, v11
	v_min_i32_e32 v12, v7, v9
	v_sub_nc_u32_e32 v15, v11, v13
	s_waitcnt lgkmcnt(0)
	v_cmp_lt_i32_e64 s1, v17, v16
	v_sub_nc_u32_e32 v18, v7, v15
	s_or_b32 s1, s0, s1
	v_cmp_ge_i32_e64 s0, v7, v15
	v_cndmask_b32_e64 v9, 0, v18, s0
	s_and_b32 s0, s2, s1
	s_mov_b32 s2, 0
	v_cndmask_b32_e64 v14, v16, v17, s0
	s_mov_b32 s1, exec_lo
	ds_write_b32 v5, v14
	; wave barrier
	v_cmpx_lt_i32_e64 v9, v12
	s_cbranch_execz .LBB38_18
; %bb.15:
	v_lshlrev_b32_e32 v14, 2, v13
	v_lshlrev_b32_e32 v15, 2, v7
	v_add3_u32 v14, v3, v14, v15
	.p2align	6
.LBB38_16:                              ; =>This Inner Loop Header: Depth=1
	v_sub_nc_u32_e32 v15, v12, v9
	v_lshrrev_b32_e32 v15, 1, v15
	v_add_nc_u32_e32 v15, v15, v9
	v_not_b32_e32 v16, v15
	v_lshl_add_u32 v17, v15, 2, v10
	v_add_nc_u32_e32 v18, 1, v15
	v_lshl_add_u32 v16, v16, 2, v14
	ds_read_b32 v17, v17
	ds_read_b32 v16, v16
	s_waitcnt lgkmcnt(0)
	v_cmp_lt_i32_e64 s0, v16, v17
	v_cndmask_b32_e64 v12, v12, v15, s0
	v_cndmask_b32_e64 v9, v18, v9, s0
	v_cmp_ge_i32_e64 s0, v9, v12
	s_or_b32 s2, s0, s2
	s_andn2_b32 exec_lo, exec_lo, s2
	s_cbranch_execnz .LBB38_16
; %bb.17:
	s_or_b32 exec_lo, exec_lo, s2
.LBB38_18:
	s_or_b32 exec_lo, exec_lo, s1
	v_add_nc_u32_e32 v7, v13, v7
	v_lshl_add_u32 v10, v9, 2, v10
	v_add_nc_u32_e32 v8, v9, v8
	v_min_i32_e32 v6, v4, v6
	s_mov_b32 s3, 0
	v_sub_nc_u32_e32 v14, v7, v9
	v_min_i32_e32 v7, 0, v4
	v_cmp_le_i32_e64 s0, v13, v8
	v_lshl_add_u32 v12, v14, 2, v3
	v_add_nc_u32_e32 v15, 16, v7
	v_cmp_gt_i32_e64 s2, v11, v14
	v_lshl_add_u32 v8, v7, 2, v3
	ds_read_b32 v16, v10
	ds_read_b32 v17, v12
	v_min_i32_e32 v12, v4, v15
	; wave barrier
	v_add_nc_u32_e32 v10, 16, v12
	v_sub_nc_u32_e32 v13, v12, v7
	v_min_i32_e32 v10, v4, v10
	v_min_i32_e32 v11, v6, v13
	v_sub_nc_u32_e32 v9, v10, v12
	s_waitcnt lgkmcnt(0)
	v_cmp_lt_i32_e64 s1, v17, v16
	v_sub_nc_u32_e32 v15, v6, v9
	s_or_b32 s1, s0, s1
	v_cmp_ge_i32_e64 s0, v6, v9
	v_lshlrev_b32_e32 v9, 2, v6
	v_cndmask_b32_e64 v13, 0, v15, s0
	s_and_b32 s0, s2, s1
	s_mov_b32 s1, exec_lo
	v_cndmask_b32_e64 v14, v16, v17, s0
	ds_write_b32 v5, v14
	; wave barrier
	v_cmpx_lt_i32_e64 v13, v11
	s_cbranch_execz .LBB38_22
; %bb.19:
	v_lshlrev_b32_e32 v14, 2, v12
	v_add3_u32 v14, v3, v14, v9
	.p2align	6
.LBB38_20:                              ; =>This Inner Loop Header: Depth=1
	v_sub_nc_u32_e32 v15, v11, v13
	v_lshrrev_b32_e32 v15, 1, v15
	v_add_nc_u32_e32 v15, v15, v13
	v_not_b32_e32 v16, v15
	v_lshl_add_u32 v17, v15, 2, v8
	v_add_nc_u32_e32 v18, 1, v15
	v_lshl_add_u32 v16, v16, 2, v14
	ds_read_b32 v17, v17
	ds_read_b32 v16, v16
	s_waitcnt lgkmcnt(0)
	v_cmp_lt_i32_e64 s0, v16, v17
	v_cndmask_b32_e64 v11, v11, v15, s0
	v_cndmask_b32_e64 v13, v18, v13, s0
	v_cmp_ge_i32_e64 s0, v13, v11
	s_or_b32 s3, s0, s3
	s_andn2_b32 exec_lo, exec_lo, s3
	s_cbranch_execnz .LBB38_20
; %bb.21:
	s_or_b32 exec_lo, exec_lo, s3
.LBB38_22:
	s_or_b32 exec_lo, exec_lo, s1
	v_add_nc_u32_e32 v11, v12, v6
	v_add_nc_u32_e32 v16, 32, v7
	v_sub_nc_u32_e32 v14, v11, v13
	v_lshl_add_u32 v11, v13, 2, v8
	v_add_nc_u32_e32 v13, v13, v7
	v_lshl_add_u32 v15, v14, 2, v3
	v_cmp_gt_i32_e64 s2, v10, v14
	v_cmp_le_i32_e64 s0, v12, v13
	ds_read_b32 v17, v11
	ds_read_b32 v15, v15
	v_min_i32_e32 v11, v4, v16
	; wave barrier
	v_add_nc_u32_e32 v16, 32, v11
	v_sub_nc_u32_e32 v12, v11, v7
	v_min_i32_e32 v4, v4, v16
	v_min_i32_e32 v12, v6, v12
	v_sub_nc_u32_e32 v16, v4, v11
	s_waitcnt lgkmcnt(0)
	v_cmp_lt_i32_e64 s1, v15, v17
	v_sub_nc_u32_e32 v13, v6, v16
	s_or_b32 s1, s0, s1
	v_cmp_ge_i32_e64 s0, v6, v16
	v_cndmask_b32_e64 v10, 0, v13, s0
	s_and_b32 s0, s2, s1
	s_mov_b32 s1, 0
	v_cndmask_b32_e64 v13, v17, v15, s0
	s_mov_b32 s2, exec_lo
	ds_write_b32 v5, v13
	; wave barrier
	v_cmpx_lt_i32_e64 v10, v12
	s_cbranch_execnz .LBB38_25
; %bb.23:
	s_or_b32 exec_lo, exec_lo, s2
	s_and_saveexec_b32 s0, vcc_lo
	s_cbranch_execnz .LBB38_28
.LBB38_24:
	s_endpgm
.LBB38_25:
	v_lshlrev_b32_e32 v5, 2, v11
	v_add3_u32 v5, v3, v5, v9
	.p2align	6
.LBB38_26:                              ; =>This Inner Loop Header: Depth=1
	v_sub_nc_u32_e32 v9, v12, v10
	v_lshrrev_b32_e32 v9, 1, v9
	v_add_nc_u32_e32 v9, v9, v10
	v_not_b32_e32 v13, v9
	v_lshl_add_u32 v14, v9, 2, v8
	v_add_nc_u32_e32 v15, 1, v9
	v_lshl_add_u32 v13, v13, 2, v5
	ds_read_b32 v14, v14
	ds_read_b32 v13, v13
	s_waitcnt lgkmcnt(0)
	v_cmp_lt_i32_e64 s0, v13, v14
	v_cndmask_b32_e64 v12, v12, v9, s0
	v_cndmask_b32_e64 v10, v15, v10, s0
	v_cmp_ge_i32_e64 s0, v10, v12
	s_or_b32 s1, s0, s1
	s_andn2_b32 exec_lo, exec_lo, s1
	s_cbranch_execnz .LBB38_26
; %bb.27:
	s_or_b32 exec_lo, exec_lo, s1
	s_or_b32 exec_lo, exec_lo, s2
	s_and_saveexec_b32 s0, vcc_lo
	s_cbranch_execz .LBB38_24
.LBB38_28:
	v_add_nc_u32_e32 v5, v11, v6
	v_lshl_add_u32 v6, v10, 2, v8
	v_add_nc_u32_e32 v7, v10, v7
	v_add_co_u32 v0, s1, s6, v0
	v_sub_nc_u32_e32 v5, v5, v10
	v_add_co_ci_u32_e64 v1, null, s7, v1, s1
	v_cmp_le_i32_e32 vcc_lo, v11, v7
	v_lshl_add_u32 v3, v5, 2, v3
	v_cmp_gt_i32_e64 s1, v4, v5
	ds_read_b32 v3, v3
	ds_read_b32 v6, v6
	s_waitcnt lgkmcnt(0)
	v_cmp_lt_i32_e64 s0, v3, v6
	s_or_b32 s0, vcc_lo, s0
	v_add_co_u32 v0, vcc_lo, v0, v2
	v_add_co_ci_u32_e64 v1, null, 0, v1, vcc_lo
	s_and_b32 vcc_lo, s1, s0
	v_cndmask_b32_e32 v2, v6, v3, vcc_lo
	global_store_dword v[0:1], v2, off
	s_endpgm
	.section	.rodata,"a",@progbits
	.p2align	6, 0x0
	.amdhsa_kernel _Z19sort_keys_segmentedILj256ELj64ELj1EiN10test_utils4lessEEvPKT2_PS2_PKjT3_
		.amdhsa_group_segment_fixed_size 1040
		.amdhsa_private_segment_fixed_size 0
		.amdhsa_kernarg_size 28
		.amdhsa_user_sgpr_count 6
		.amdhsa_user_sgpr_private_segment_buffer 1
		.amdhsa_user_sgpr_dispatch_ptr 0
		.amdhsa_user_sgpr_queue_ptr 0
		.amdhsa_user_sgpr_kernarg_segment_ptr 1
		.amdhsa_user_sgpr_dispatch_id 0
		.amdhsa_user_sgpr_flat_scratch_init 0
		.amdhsa_user_sgpr_private_segment_size 0
		.amdhsa_wavefront_size32 1
		.amdhsa_uses_dynamic_stack 0
		.amdhsa_system_sgpr_private_segment_wavefront_offset 0
		.amdhsa_system_sgpr_workgroup_id_x 1
		.amdhsa_system_sgpr_workgroup_id_y 0
		.amdhsa_system_sgpr_workgroup_id_z 0
		.amdhsa_system_sgpr_workgroup_info 0
		.amdhsa_system_vgpr_workitem_id 0
		.amdhsa_next_free_vgpr 19
		.amdhsa_next_free_sgpr 8
		.amdhsa_reserve_vcc 1
		.amdhsa_reserve_flat_scratch 0
		.amdhsa_float_round_mode_32 0
		.amdhsa_float_round_mode_16_64 0
		.amdhsa_float_denorm_mode_32 3
		.amdhsa_float_denorm_mode_16_64 3
		.amdhsa_dx10_clamp 1
		.amdhsa_ieee_mode 1
		.amdhsa_fp16_overflow 0
		.amdhsa_workgroup_processor_mode 1
		.amdhsa_memory_ordered 1
		.amdhsa_forward_progress 1
		.amdhsa_shared_vgpr_count 0
		.amdhsa_exception_fp_ieee_invalid_op 0
		.amdhsa_exception_fp_denorm_src 0
		.amdhsa_exception_fp_ieee_div_zero 0
		.amdhsa_exception_fp_ieee_overflow 0
		.amdhsa_exception_fp_ieee_underflow 0
		.amdhsa_exception_fp_ieee_inexact 0
		.amdhsa_exception_int_div_zero 0
	.end_amdhsa_kernel
	.section	.text._Z19sort_keys_segmentedILj256ELj64ELj1EiN10test_utils4lessEEvPKT2_PS2_PKjT3_,"axG",@progbits,_Z19sort_keys_segmentedILj256ELj64ELj1EiN10test_utils4lessEEvPKT2_PS2_PKjT3_,comdat
.Lfunc_end38:
	.size	_Z19sort_keys_segmentedILj256ELj64ELj1EiN10test_utils4lessEEvPKT2_PS2_PKjT3_, .Lfunc_end38-_Z19sort_keys_segmentedILj256ELj64ELj1EiN10test_utils4lessEEvPKT2_PS2_PKjT3_
                                        ; -- End function
	.set _Z19sort_keys_segmentedILj256ELj64ELj1EiN10test_utils4lessEEvPKT2_PS2_PKjT3_.num_vgpr, 19
	.set _Z19sort_keys_segmentedILj256ELj64ELj1EiN10test_utils4lessEEvPKT2_PS2_PKjT3_.num_agpr, 0
	.set _Z19sort_keys_segmentedILj256ELj64ELj1EiN10test_utils4lessEEvPKT2_PS2_PKjT3_.numbered_sgpr, 8
	.set _Z19sort_keys_segmentedILj256ELj64ELj1EiN10test_utils4lessEEvPKT2_PS2_PKjT3_.num_named_barrier, 0
	.set _Z19sort_keys_segmentedILj256ELj64ELj1EiN10test_utils4lessEEvPKT2_PS2_PKjT3_.private_seg_size, 0
	.set _Z19sort_keys_segmentedILj256ELj64ELj1EiN10test_utils4lessEEvPKT2_PS2_PKjT3_.uses_vcc, 1
	.set _Z19sort_keys_segmentedILj256ELj64ELj1EiN10test_utils4lessEEvPKT2_PS2_PKjT3_.uses_flat_scratch, 0
	.set _Z19sort_keys_segmentedILj256ELj64ELj1EiN10test_utils4lessEEvPKT2_PS2_PKjT3_.has_dyn_sized_stack, 0
	.set _Z19sort_keys_segmentedILj256ELj64ELj1EiN10test_utils4lessEEvPKT2_PS2_PKjT3_.has_recursion, 0
	.set _Z19sort_keys_segmentedILj256ELj64ELj1EiN10test_utils4lessEEvPKT2_PS2_PKjT3_.has_indirect_call, 0
	.section	.AMDGPU.csdata,"",@progbits
; Kernel info:
; codeLenInByte = 2160
; TotalNumSgprs: 10
; NumVgprs: 19
; ScratchSize: 0
; MemoryBound: 0
; FloatMode: 240
; IeeeMode: 1
; LDSByteSize: 1040 bytes/workgroup (compile time only)
; SGPRBlocks: 0
; VGPRBlocks: 2
; NumSGPRsForWavesPerEU: 10
; NumVGPRsForWavesPerEU: 19
; Occupancy: 16
; WaveLimiterHint : 0
; COMPUTE_PGM_RSRC2:SCRATCH_EN: 0
; COMPUTE_PGM_RSRC2:USER_SGPR: 6
; COMPUTE_PGM_RSRC2:TRAP_HANDLER: 0
; COMPUTE_PGM_RSRC2:TGID_X_EN: 1
; COMPUTE_PGM_RSRC2:TGID_Y_EN: 0
; COMPUTE_PGM_RSRC2:TGID_Z_EN: 0
; COMPUTE_PGM_RSRC2:TIDIG_COMP_CNT: 0
	.section	.text._Z20sort_pairs_segmentedILj256ELj64ELj1EiN10test_utils4lessEEvPKT2_PS2_PKjT3_,"axG",@progbits,_Z20sort_pairs_segmentedILj256ELj64ELj1EiN10test_utils4lessEEvPKT2_PS2_PKjT3_,comdat
	.protected	_Z20sort_pairs_segmentedILj256ELj64ELj1EiN10test_utils4lessEEvPKT2_PS2_PKjT3_ ; -- Begin function _Z20sort_pairs_segmentedILj256ELj64ELj1EiN10test_utils4lessEEvPKT2_PS2_PKjT3_
	.globl	_Z20sort_pairs_segmentedILj256ELj64ELj1EiN10test_utils4lessEEvPKT2_PS2_PKjT3_
	.p2align	8
	.type	_Z20sort_pairs_segmentedILj256ELj64ELj1EiN10test_utils4lessEEvPKT2_PS2_PKjT3_,@function
_Z20sort_pairs_segmentedILj256ELj64ELj1EiN10test_utils4lessEEvPKT2_PS2_PKjT3_: ; @_Z20sort_pairs_segmentedILj256ELj64ELj1EiN10test_utils4lessEEvPKT2_PS2_PKjT3_
; %bb.0:
	s_load_dwordx2 s[0:1], s[4:5], 0x10
	v_lshrrev_b32_e32 v13, 6, v0
	v_mov_b32_e32 v1, 0
	v_mbcnt_lo_u32_b32 v6, -1, 0
                                        ; implicit-def: $vgpr7
	v_lshl_or_b32 v0, s6, 2, v13
	s_load_dwordx4 s[4:7], s[4:5], 0x0
	v_lshlrev_b64 v[2:3], 2, v[0:1]
	v_lshlrev_b32_e32 v0, 6, v0
	v_lshlrev_b64 v[0:1], 2, v[0:1]
	s_waitcnt lgkmcnt(0)
	v_add_co_u32 v2, vcc_lo, s0, v2
	v_add_co_ci_u32_e64 v3, null, s1, v3, vcc_lo
	global_load_dword v5, v[2:3], off
	v_lshlrev_b32_e32 v2, 2, v6
	s_waitcnt vmcnt(0)
	v_cmp_lt_u32_e32 vcc_lo, v6, v5
	s_and_saveexec_b32 s1, vcc_lo
	s_cbranch_execz .LBB39_2
; %bb.1:
	v_add_co_u32 v3, s0, s4, v0
	v_add_co_ci_u32_e64 v4, null, s5, v1, s0
	v_add_co_u32 v3, s0, v3, v2
	v_add_co_ci_u32_e64 v4, null, 0, v4, s0
	global_load_dword v7, v[3:4], off
.LBB39_2:
	s_or_b32 exec_lo, exec_lo, s1
	v_and_b32_e32 v3, 30, v6
	v_and_b32_e32 v4, 1, v6
	s_mov_b32 s1, exec_lo
	; wave barrier
	v_min_i32_e32 v9, v5, v3
	v_min_i32_e32 v8, v5, v4
	v_add_nc_u32_e32 v3, 1, v9
	v_lshlrev_b32_e32 v15, 2, v9
	v_min_i32_e32 v10, v5, v3
	v_add_nc_u32_e32 v3, 1, v10
	v_sub_nc_u32_e32 v14, v10, v9
	v_min_i32_e32 v11, v5, v3
	v_min_i32_e32 v14, v8, v14
	v_sub_nc_u32_e32 v3, v11, v10
	v_sub_nc_u32_e32 v4, v8, v3
	v_cmp_ge_i32_e64 s0, v8, v3
	v_mul_u32_u24_e32 v3, 0x104, v13
	v_cndmask_b32_e64 v12, 0, v4, s0
	v_mad_u32_u24 v4, 0x104, v13, v2
	v_mad_u32_u24 v13, 0x104, v13, v15
	s_waitcnt vmcnt(0)
	ds_write_b32 v4, v7
	; wave barrier
	v_cmpx_lt_i32_e64 v12, v14
	s_cbranch_execz .LBB39_6
; %bb.3:
	v_lshlrev_b32_e32 v15, 2, v10
	v_lshlrev_b32_e32 v16, 2, v8
	s_mov_b32 s2, 0
	v_add3_u32 v15, v3, v15, v16
	.p2align	6
.LBB39_4:                               ; =>This Inner Loop Header: Depth=1
	v_sub_nc_u32_e32 v16, v14, v12
	v_lshrrev_b32_e32 v16, 1, v16
	v_add_nc_u32_e32 v16, v16, v12
	v_not_b32_e32 v17, v16
	v_lshl_add_u32 v18, v16, 2, v13
	v_add_nc_u32_e32 v19, 1, v16
	v_lshl_add_u32 v17, v17, 2, v15
	ds_read_b32 v18, v18
	ds_read_b32 v17, v17
	s_waitcnt lgkmcnt(0)
	v_cmp_lt_i32_e64 s0, v17, v18
	v_cndmask_b32_e64 v14, v14, v16, s0
	v_cndmask_b32_e64 v12, v19, v12, s0
	v_cmp_ge_i32_e64 s0, v12, v14
	s_or_b32 s2, s0, s2
	s_andn2_b32 exec_lo, exec_lo, s2
	s_cbranch_execnz .LBB39_4
; %bb.5:
	s_or_b32 exec_lo, exec_lo, s2
.LBB39_6:
	s_or_b32 exec_lo, exec_lo, s1
	v_add_nc_u32_e32 v8, v10, v8
	v_add_nc_u32_e32 v7, 1, v7
	v_sub_nc_u32_e32 v14, v8, v12
	v_lshl_add_u32 v8, v12, 2, v13
	v_add_nc_u32_e32 v12, v12, v9
	v_lshl_add_u32 v13, v14, 2, v3
	v_cmp_gt_i32_e64 s2, v11, v14
	v_cmp_le_i32_e64 s0, v10, v12
	ds_read_b32 v15, v8
	ds_read_b32 v13, v13
	v_and_b32_e32 v8, 28, v6
	; wave barrier
	ds_write_b32 v4, v7
	v_and_b32_e32 v7, 3, v6
	v_min_i32_e32 v8, v5, v8
	; wave barrier
	v_min_i32_e32 v7, v5, v7
	v_add_nc_u32_e32 v9, 2, v8
	v_min_i32_e32 v9, v5, v9
	s_waitcnt lgkmcnt(1)
	v_cmp_lt_i32_e64 s1, v13, v15
	v_add_nc_u32_e32 v10, 2, v9
	s_or_b32 s0, s0, s1
	v_min_i32_e32 v11, v5, v10
	s_and_b32 s0, s2, s0
	s_mov_b32 s2, 0
	v_cndmask_b32_e64 v12, v12, v14, s0
	v_cndmask_b32_e64 v15, v15, v13, s0
	v_sub_nc_u32_e32 v14, v9, v8
	s_mov_b32 s1, exec_lo
	v_lshl_add_u32 v10, v12, 2, v3
	v_sub_nc_u32_e32 v12, v11, v9
	v_min_i32_e32 v14, v7, v14
	ds_read_b32 v10, v10
	v_sub_nc_u32_e32 v13, v7, v12
	v_cmp_ge_i32_e64 s0, v7, v12
	; wave barrier
	ds_write_b32 v4, v15
	v_cndmask_b32_e64 v12, 0, v13, s0
	v_lshl_add_u32 v13, v8, 2, v3
	; wave barrier
	v_cmpx_lt_i32_e64 v12, v14
	s_cbranch_execz .LBB39_10
; %bb.7:
	v_lshlrev_b32_e32 v15, 2, v9
	v_lshlrev_b32_e32 v16, 2, v7
	v_add3_u32 v15, v3, v15, v16
	.p2align	6
.LBB39_8:                               ; =>This Inner Loop Header: Depth=1
	v_sub_nc_u32_e32 v16, v14, v12
	v_lshrrev_b32_e32 v16, 1, v16
	v_add_nc_u32_e32 v16, v16, v12
	v_not_b32_e32 v17, v16
	v_lshl_add_u32 v18, v16, 2, v13
	v_add_nc_u32_e32 v19, 1, v16
	v_lshl_add_u32 v17, v17, 2, v15
	ds_read_b32 v18, v18
	ds_read_b32 v17, v17
	s_waitcnt lgkmcnt(0)
	v_cmp_lt_i32_e64 s0, v17, v18
	v_cndmask_b32_e64 v14, v14, v16, s0
	v_cndmask_b32_e64 v12, v19, v12, s0
	v_cmp_ge_i32_e64 s0, v12, v14
	s_or_b32 s2, s0, s2
	s_andn2_b32 exec_lo, exec_lo, s2
	s_cbranch_execnz .LBB39_8
; %bb.9:
	s_or_b32 exec_lo, exec_lo, s2
.LBB39_10:
	s_or_b32 exec_lo, exec_lo, s1
	v_add_nc_u32_e32 v7, v9, v7
	v_add_nc_u32_e32 v8, v12, v8
	v_sub_nc_u32_e32 v14, v7, v12
	v_lshl_add_u32 v7, v12, 2, v13
	v_cmp_le_i32_e64 s0, v9, v8
	v_lshl_add_u32 v13, v14, 2, v3
	v_cmp_gt_i32_e64 s2, v11, v14
	ds_read_b32 v15, v7
	ds_read_b32 v13, v13
	v_and_b32_e32 v7, 24, v6
	; wave barrier
	s_waitcnt lgkmcnt(3)
	ds_write_b32 v4, v10
	v_and_b32_e32 v10, 7, v6
	v_min_i32_e32 v7, v5, v7
	; wave barrier
	v_add_nc_u32_e32 v12, 4, v7
	v_min_i32_e32 v9, v5, v12
	s_waitcnt lgkmcnt(1)
	v_cmp_lt_i32_e64 s1, v13, v15
	v_add_nc_u32_e32 v11, 4, v9
	s_or_b32 s0, s0, s1
	v_min_i32_e32 v11, v5, v11
	s_and_b32 s0, s2, s0
	s_mov_b32 s2, 0
	v_cndmask_b32_e64 v8, v8, v14, s0
	v_cndmask_b32_e64 v15, v15, v13, s0
	v_sub_nc_u32_e32 v13, v11, v9
	v_sub_nc_u32_e32 v14, v9, v7
	s_mov_b32 s1, exec_lo
	v_lshl_add_u32 v12, v8, 2, v3
	v_min_i32_e32 v8, v5, v10
	ds_read_b32 v10, v12
	v_sub_nc_u32_e32 v12, v8, v13
	v_cmp_ge_i32_e64 s0, v8, v13
	v_min_i32_e32 v14, v8, v14
	v_lshl_add_u32 v13, v7, 2, v3
	; wave barrier
	v_cndmask_b32_e64 v12, 0, v12, s0
	ds_write_b32 v4, v15
	; wave barrier
	v_cmpx_lt_i32_e64 v12, v14
	s_cbranch_execz .LBB39_14
; %bb.11:
	v_lshlrev_b32_e32 v15, 2, v9
	v_lshlrev_b32_e32 v16, 2, v8
	v_add3_u32 v15, v3, v15, v16
	.p2align	6
.LBB39_12:                              ; =>This Inner Loop Header: Depth=1
	v_sub_nc_u32_e32 v16, v14, v12
	v_lshrrev_b32_e32 v16, 1, v16
	v_add_nc_u32_e32 v16, v16, v12
	v_not_b32_e32 v17, v16
	v_lshl_add_u32 v18, v16, 2, v13
	v_add_nc_u32_e32 v19, 1, v16
	v_lshl_add_u32 v17, v17, 2, v15
	ds_read_b32 v18, v18
	ds_read_b32 v17, v17
	s_waitcnt lgkmcnt(0)
	v_cmp_lt_i32_e64 s0, v17, v18
	v_cndmask_b32_e64 v14, v14, v16, s0
	v_cndmask_b32_e64 v12, v19, v12, s0
	v_cmp_ge_i32_e64 s0, v12, v14
	s_or_b32 s2, s0, s2
	s_andn2_b32 exec_lo, exec_lo, s2
	s_cbranch_execnz .LBB39_12
; %bb.13:
	s_or_b32 exec_lo, exec_lo, s2
.LBB39_14:
	s_or_b32 exec_lo, exec_lo, s1
	v_add_nc_u32_e32 v8, v9, v8
	v_add_nc_u32_e32 v7, v12, v7
	v_sub_nc_u32_e32 v14, v8, v12
	v_lshl_add_u32 v8, v12, 2, v13
	v_cmp_le_i32_e64 s0, v9, v7
	v_lshl_add_u32 v13, v14, 2, v3
	v_cmp_gt_i32_e64 s2, v11, v14
	ds_read_b32 v15, v8
	ds_read_b32 v13, v13
	v_and_b32_e32 v8, 16, v6
	; wave barrier
	s_waitcnt lgkmcnt(3)
	ds_write_b32 v4, v10
	v_and_b32_e32 v10, 15, v6
	v_min_i32_e32 v8, v5, v8
	; wave barrier
	v_add_nc_u32_e32 v12, 8, v8
	v_min_i32_e32 v9, v5, v12
	s_waitcnt lgkmcnt(1)
	v_cmp_lt_i32_e64 s1, v13, v15
	v_add_nc_u32_e32 v11, 8, v9
	s_or_b32 s0, s0, s1
	v_min_i32_e32 v12, v5, v11
	s_and_b32 s0, s2, s0
	s_mov_b32 s2, 0
	v_cndmask_b32_e64 v7, v7, v14, s0
	v_cndmask_b32_e64 v15, v15, v13, s0
	v_sub_nc_u32_e32 v14, v9, v8
	s_mov_b32 s1, exec_lo
	v_lshl_add_u32 v11, v7, 2, v3
	v_min_i32_e32 v7, v5, v10
	v_sub_nc_u32_e32 v10, v12, v9
	ds_read_b32 v11, v11
	v_min_i32_e32 v14, v7, v14
	v_sub_nc_u32_e32 v13, v7, v10
	v_cmp_ge_i32_e64 s0, v7, v10
	; wave barrier
	ds_write_b32 v4, v15
	v_cndmask_b32_e64 v10, 0, v13, s0
	v_lshl_add_u32 v13, v8, 2, v3
	; wave barrier
	v_cmpx_lt_i32_e64 v10, v14
	s_cbranch_execz .LBB39_18
; %bb.15:
	v_lshlrev_b32_e32 v15, 2, v9
	v_lshlrev_b32_e32 v16, 2, v7
	v_add3_u32 v15, v3, v15, v16
	.p2align	6
.LBB39_16:                              ; =>This Inner Loop Header: Depth=1
	v_sub_nc_u32_e32 v16, v14, v10
	v_lshrrev_b32_e32 v16, 1, v16
	v_add_nc_u32_e32 v16, v16, v10
	v_not_b32_e32 v17, v16
	v_lshl_add_u32 v18, v16, 2, v13
	v_add_nc_u32_e32 v19, 1, v16
	v_lshl_add_u32 v17, v17, 2, v15
	ds_read_b32 v18, v18
	ds_read_b32 v17, v17
	s_waitcnt lgkmcnt(0)
	v_cmp_lt_i32_e64 s0, v17, v18
	v_cndmask_b32_e64 v14, v14, v16, s0
	v_cndmask_b32_e64 v10, v19, v10, s0
	v_cmp_ge_i32_e64 s0, v10, v14
	s_or_b32 s2, s0, s2
	s_andn2_b32 exec_lo, exec_lo, s2
	s_cbranch_execnz .LBB39_16
; %bb.17:
	s_or_b32 exec_lo, exec_lo, s2
.LBB39_18:
	s_or_b32 exec_lo, exec_lo, s1
	v_add_nc_u32_e32 v7, v9, v7
	v_add_nc_u32_e32 v8, v10, v8
	v_min_i32_e32 v6, v5, v6
	v_sub_nc_u32_e32 v14, v7, v10
	v_lshl_add_u32 v7, v10, 2, v13
	v_cmp_le_i32_e64 s0, v9, v8
	v_lshl_add_u32 v13, v14, 2, v3
	v_cmp_gt_i32_e64 s2, v12, v14
	ds_read_b32 v15, v7
	ds_read_b32 v13, v13
	v_min_i32_e32 v7, 0, v5
	; wave barrier
	s_waitcnt lgkmcnt(3)
	ds_write_b32 v4, v11
	v_add_nc_u32_e32 v10, 16, v7
	; wave barrier
	v_min_i32_e32 v10, v5, v10
	v_add_nc_u32_e32 v9, 16, v10
	s_waitcnt lgkmcnt(1)
	v_cmp_lt_i32_e64 s1, v13, v15
	v_min_i32_e32 v12, v5, v9
	s_or_b32 s0, s0, s1
	v_sub_nc_u32_e32 v9, v12, v10
	s_and_b32 s0, s2, s0
	s_mov_b32 s2, 0
	v_cndmask_b32_e64 v8, v8, v14, s0
	v_cndmask_b32_e64 v15, v15, v13, s0
	v_sub_nc_u32_e32 v14, v10, v7
	v_cmp_ge_i32_e64 s0, v6, v9
	s_mov_b32 s1, exec_lo
	v_lshl_add_u32 v8, v8, 2, v3
	v_min_i32_e32 v14, v6, v14
	ds_read_b32 v11, v8
	v_sub_nc_u32_e32 v8, v6, v9
	v_lshlrev_b32_e32 v9, 2, v6
	; wave barrier
	ds_write_b32 v4, v15
	v_cndmask_b32_e64 v13, 0, v8, s0
	v_lshl_add_u32 v8, v7, 2, v3
	; wave barrier
	v_cmpx_lt_i32_e64 v13, v14
	s_cbranch_execz .LBB39_22
; %bb.19:
	v_lshlrev_b32_e32 v15, 2, v10
	v_add3_u32 v15, v3, v15, v9
	.p2align	6
.LBB39_20:                              ; =>This Inner Loop Header: Depth=1
	v_sub_nc_u32_e32 v16, v14, v13
	v_lshrrev_b32_e32 v16, 1, v16
	v_add_nc_u32_e32 v16, v16, v13
	v_not_b32_e32 v17, v16
	v_lshl_add_u32 v18, v16, 2, v8
	v_add_nc_u32_e32 v19, 1, v16
	v_lshl_add_u32 v17, v17, 2, v15
	ds_read_b32 v18, v18
	ds_read_b32 v17, v17
	s_waitcnt lgkmcnt(0)
	v_cmp_lt_i32_e64 s0, v17, v18
	v_cndmask_b32_e64 v14, v14, v16, s0
	v_cndmask_b32_e64 v13, v19, v13, s0
	v_cmp_ge_i32_e64 s0, v13, v14
	s_or_b32 s2, s0, s2
	s_andn2_b32 exec_lo, exec_lo, s2
	s_cbranch_execnz .LBB39_20
; %bb.21:
	s_or_b32 exec_lo, exec_lo, s2
.LBB39_22:
	s_or_b32 exec_lo, exec_lo, s1
	v_add_nc_u32_e32 v14, v10, v6
	v_lshl_add_u32 v15, v13, 2, v8
	v_add_nc_u32_e32 v17, 32, v7
	v_sub_nc_u32_e32 v14, v14, v13
	v_add_nc_u32_e32 v13, v13, v7
	v_lshl_add_u32 v16, v14, 2, v3
	v_cmp_le_i32_e64 s0, v10, v13
	v_cmp_gt_i32_e64 s2, v12, v14
	v_min_i32_e32 v10, v5, v17
	ds_read_b32 v15, v15
	ds_read_b32 v16, v16
	; wave barrier
	s_waitcnt lgkmcnt(3)
	ds_write_b32 v4, v11
	v_add_nc_u32_e32 v12, 32, v10
	; wave barrier
	v_min_i32_e32 v5, v5, v12
	v_sub_nc_u32_e32 v11, v5, v10
	s_waitcnt lgkmcnt(1)
	v_cmp_lt_i32_e64 s1, v16, v15
	s_or_b32 s0, s0, s1
	s_mov_b32 s1, exec_lo
	s_and_b32 s0, s2, s0
	s_mov_b32 s2, 0
	v_cndmask_b32_e64 v13, v13, v14, s0
	v_cndmask_b32_e64 v15, v15, v16, s0
	v_sub_nc_u32_e32 v14, v10, v7
	v_cmp_ge_i32_e64 s0, v6, v11
	v_lshl_add_u32 v12, v13, 2, v3
	v_sub_nc_u32_e32 v13, v6, v11
	ds_read_b32 v12, v12
	v_cndmask_b32_e64 v11, 0, v13, s0
	v_min_i32_e32 v13, v6, v14
	; wave barrier
	ds_write_b32 v4, v15
	; wave barrier
	v_cmpx_lt_i32_e64 v11, v13
	s_cbranch_execz .LBB39_26
; %bb.23:
	v_lshlrev_b32_e32 v14, 2, v10
	v_add3_u32 v9, v3, v14, v9
	.p2align	6
.LBB39_24:                              ; =>This Inner Loop Header: Depth=1
	v_sub_nc_u32_e32 v14, v13, v11
	v_lshrrev_b32_e32 v14, 1, v14
	v_add_nc_u32_e32 v14, v14, v11
	v_not_b32_e32 v15, v14
	v_lshl_add_u32 v16, v14, 2, v8
	v_add_nc_u32_e32 v17, 1, v14
	v_lshl_add_u32 v15, v15, 2, v9
	ds_read_b32 v16, v16
	ds_read_b32 v15, v15
	s_waitcnt lgkmcnt(0)
	v_cmp_lt_i32_e64 s0, v15, v16
	v_cndmask_b32_e64 v13, v13, v14, s0
	v_cndmask_b32_e64 v11, v17, v11, s0
	v_cmp_ge_i32_e64 s0, v11, v13
	s_or_b32 s2, s0, s2
	s_andn2_b32 exec_lo, exec_lo, s2
	s_cbranch_execnz .LBB39_24
; %bb.25:
	s_or_b32 exec_lo, exec_lo, s2
.LBB39_26:
	s_or_b32 exec_lo, exec_lo, s1
	v_add_nc_u32_e32 v6, v10, v6
	v_lshl_add_u32 v8, v11, 2, v8
	v_sub_nc_u32_e32 v6, v6, v11
	v_lshl_add_u32 v9, v6, 2, v3
	ds_read_b32 v8, v8
	ds_read_b32 v9, v9
	; wave barrier
	s_waitcnt lgkmcnt(3)
	ds_write_b32 v4, v12
	; wave barrier
	s_and_saveexec_b32 s0, vcc_lo
	s_cbranch_execz .LBB39_28
; %bb.27:
	v_add_nc_u32_e32 v4, v11, v7
	s_waitcnt lgkmcnt(1)
	v_cmp_lt_i32_e32 vcc_lo, v9, v8
	v_cmp_gt_i32_e64 s1, v5, v6
	v_cmp_le_i32_e64 s0, v10, v4
	s_or_b32 s0, s0, vcc_lo
	s_and_b32 vcc_lo, s1, s0
	v_cndmask_b32_e32 v4, v4, v6, vcc_lo
	v_cndmask_b32_e32 v5, v8, v9, vcc_lo
	v_add_co_u32 v0, vcc_lo, s6, v0
	v_add_co_ci_u32_e64 v1, null, s7, v1, vcc_lo
	v_lshl_add_u32 v3, v4, 2, v3
	v_add_co_u32 v0, vcc_lo, v0, v2
	v_add_co_ci_u32_e64 v1, null, 0, v1, vcc_lo
	ds_read_b32 v3, v3
	s_waitcnt lgkmcnt(0)
	v_add_nc_u32_e32 v3, v3, v5
	global_store_dword v[0:1], v3, off
.LBB39_28:
	s_endpgm
	.section	.rodata,"a",@progbits
	.p2align	6, 0x0
	.amdhsa_kernel _Z20sort_pairs_segmentedILj256ELj64ELj1EiN10test_utils4lessEEvPKT2_PS2_PKjT3_
		.amdhsa_group_segment_fixed_size 1040
		.amdhsa_private_segment_fixed_size 0
		.amdhsa_kernarg_size 28
		.amdhsa_user_sgpr_count 6
		.amdhsa_user_sgpr_private_segment_buffer 1
		.amdhsa_user_sgpr_dispatch_ptr 0
		.amdhsa_user_sgpr_queue_ptr 0
		.amdhsa_user_sgpr_kernarg_segment_ptr 1
		.amdhsa_user_sgpr_dispatch_id 0
		.amdhsa_user_sgpr_flat_scratch_init 0
		.amdhsa_user_sgpr_private_segment_size 0
		.amdhsa_wavefront_size32 1
		.amdhsa_uses_dynamic_stack 0
		.amdhsa_system_sgpr_private_segment_wavefront_offset 0
		.amdhsa_system_sgpr_workgroup_id_x 1
		.amdhsa_system_sgpr_workgroup_id_y 0
		.amdhsa_system_sgpr_workgroup_id_z 0
		.amdhsa_system_sgpr_workgroup_info 0
		.amdhsa_system_vgpr_workitem_id 0
		.amdhsa_next_free_vgpr 20
		.amdhsa_next_free_sgpr 8
		.amdhsa_reserve_vcc 1
		.amdhsa_reserve_flat_scratch 0
		.amdhsa_float_round_mode_32 0
		.amdhsa_float_round_mode_16_64 0
		.amdhsa_float_denorm_mode_32 3
		.amdhsa_float_denorm_mode_16_64 3
		.amdhsa_dx10_clamp 1
		.amdhsa_ieee_mode 1
		.amdhsa_fp16_overflow 0
		.amdhsa_workgroup_processor_mode 1
		.amdhsa_memory_ordered 1
		.amdhsa_forward_progress 1
		.amdhsa_shared_vgpr_count 0
		.amdhsa_exception_fp_ieee_invalid_op 0
		.amdhsa_exception_fp_denorm_src 0
		.amdhsa_exception_fp_ieee_div_zero 0
		.amdhsa_exception_fp_ieee_overflow 0
		.amdhsa_exception_fp_ieee_underflow 0
		.amdhsa_exception_fp_ieee_inexact 0
		.amdhsa_exception_int_div_zero 0
	.end_amdhsa_kernel
	.section	.text._Z20sort_pairs_segmentedILj256ELj64ELj1EiN10test_utils4lessEEvPKT2_PS2_PKjT3_,"axG",@progbits,_Z20sort_pairs_segmentedILj256ELj64ELj1EiN10test_utils4lessEEvPKT2_PS2_PKjT3_,comdat
.Lfunc_end39:
	.size	_Z20sort_pairs_segmentedILj256ELj64ELj1EiN10test_utils4lessEEvPKT2_PS2_PKjT3_, .Lfunc_end39-_Z20sort_pairs_segmentedILj256ELj64ELj1EiN10test_utils4lessEEvPKT2_PS2_PKjT3_
                                        ; -- End function
	.set _Z20sort_pairs_segmentedILj256ELj64ELj1EiN10test_utils4lessEEvPKT2_PS2_PKjT3_.num_vgpr, 20
	.set _Z20sort_pairs_segmentedILj256ELj64ELj1EiN10test_utils4lessEEvPKT2_PS2_PKjT3_.num_agpr, 0
	.set _Z20sort_pairs_segmentedILj256ELj64ELj1EiN10test_utils4lessEEvPKT2_PS2_PKjT3_.numbered_sgpr, 8
	.set _Z20sort_pairs_segmentedILj256ELj64ELj1EiN10test_utils4lessEEvPKT2_PS2_PKjT3_.num_named_barrier, 0
	.set _Z20sort_pairs_segmentedILj256ELj64ELj1EiN10test_utils4lessEEvPKT2_PS2_PKjT3_.private_seg_size, 0
	.set _Z20sort_pairs_segmentedILj256ELj64ELj1EiN10test_utils4lessEEvPKT2_PS2_PKjT3_.uses_vcc, 1
	.set _Z20sort_pairs_segmentedILj256ELj64ELj1EiN10test_utils4lessEEvPKT2_PS2_PKjT3_.uses_flat_scratch, 0
	.set _Z20sort_pairs_segmentedILj256ELj64ELj1EiN10test_utils4lessEEvPKT2_PS2_PKjT3_.has_dyn_sized_stack, 0
	.set _Z20sort_pairs_segmentedILj256ELj64ELj1EiN10test_utils4lessEEvPKT2_PS2_PKjT3_.has_recursion, 0
	.set _Z20sort_pairs_segmentedILj256ELj64ELj1EiN10test_utils4lessEEvPKT2_PS2_PKjT3_.has_indirect_call, 0
	.section	.AMDGPU.csdata,"",@progbits
; Kernel info:
; codeLenInByte = 2456
; TotalNumSgprs: 10
; NumVgprs: 20
; ScratchSize: 0
; MemoryBound: 0
; FloatMode: 240
; IeeeMode: 1
; LDSByteSize: 1040 bytes/workgroup (compile time only)
; SGPRBlocks: 0
; VGPRBlocks: 2
; NumSGPRsForWavesPerEU: 10
; NumVGPRsForWavesPerEU: 20
; Occupancy: 16
; WaveLimiterHint : 0
; COMPUTE_PGM_RSRC2:SCRATCH_EN: 0
; COMPUTE_PGM_RSRC2:USER_SGPR: 6
; COMPUTE_PGM_RSRC2:TRAP_HANDLER: 0
; COMPUTE_PGM_RSRC2:TGID_X_EN: 1
; COMPUTE_PGM_RSRC2:TGID_Y_EN: 0
; COMPUTE_PGM_RSRC2:TGID_Z_EN: 0
; COMPUTE_PGM_RSRC2:TIDIG_COMP_CNT: 0
	.section	.text._Z9sort_keysILj256ELj64ELj4EiN10test_utils4lessEEvPKT2_PS2_T3_,"axG",@progbits,_Z9sort_keysILj256ELj64ELj4EiN10test_utils4lessEEvPKT2_PS2_T3_,comdat
	.protected	_Z9sort_keysILj256ELj64ELj4EiN10test_utils4lessEEvPKT2_PS2_T3_ ; -- Begin function _Z9sort_keysILj256ELj64ELj4EiN10test_utils4lessEEvPKT2_PS2_T3_
	.globl	_Z9sort_keysILj256ELj64ELj4EiN10test_utils4lessEEvPKT2_PS2_T3_
	.p2align	8
	.type	_Z9sort_keysILj256ELj64ELj4EiN10test_utils4lessEEvPKT2_PS2_T3_,@function
_Z9sort_keysILj256ELj64ELj4EiN10test_utils4lessEEvPKT2_PS2_T3_: ; @_Z9sort_keysILj256ELj64ELj4EiN10test_utils4lessEEvPKT2_PS2_T3_
; %bb.0:
	s_load_dwordx4 s[8:11], s[4:5], 0x0
	s_mov_b32 s3, 0
	s_lshl_b32 s2, s6, 10
	v_lshlrev_b32_e32 v1, 4, v0
	s_lshl_b64 s[4:5], s[2:3], 2
	v_lshrrev_b32_e32 v12, 6, v0
	v_lshlrev_b32_e32 v4, 2, v0
	v_mul_u32_u24_e32 v0, 0x404, v12
	s_waitcnt lgkmcnt(0)
	s_add_u32 s0, s8, s4
	s_addc_u32 s1, s9, s5
	global_load_dwordx4 v[8:11], v1, s[0:1]
	v_mbcnt_lo_u32_b32 v1, -1, 0
	; wave barrier
	v_lshlrev_b32_e32 v2, 2, v1
	v_lshlrev_b32_e32 v1, 4, v1
	v_and_b32_e32 v6, 0x78, v2
	v_and_b32_e32 v7, 4, v2
	v_mad_u32_u24 v1, 0x404, v12, v1
	v_or_b32_e32 v5, 4, v6
	v_add_nc_u32_e32 v3, 8, v6
	v_lshlrev_b32_e32 v13, 2, v6
	v_sub_nc_u32_e32 v14, v3, v5
	s_waitcnt vmcnt(0)
	v_cmp_lt_i32_e32 vcc_lo, v9, v8
	v_min_i32_e32 v16, v9, v8
	v_max_i32_e32 v17, v9, v8
	v_cmp_lt_i32_e64 s0, v11, v10
	v_min_i32_e32 v18, v11, v10
	v_max_i32_e32 v20, v11, v10
	v_cndmask_b32_e32 v15, v8, v9, vcc_lo
	v_cndmask_b32_e32 v8, v9, v8, vcc_lo
	v_cndmask_b32_e64 v19, v11, v10, s0
	v_cndmask_b32_e64 v9, v10, v11, s0
	v_cmp_lt_i32_e32 vcc_lo, v18, v17
	v_max_i32_e32 v10, v18, v17
	v_min_i32_e32 v11, v18, v17
	v_cmp_lt_i32_e64 s0, v18, v16
	v_cmp_gt_i32_e64 s1, v17, v20
	v_cndmask_b32_e32 v8, v8, v18, vcc_lo
	v_cndmask_b32_e32 v9, v9, v17, vcc_lo
	v_cndmask_b32_e64 v15, v15, v11, s0
	v_cndmask_b32_e64 v11, v11, v16, s0
	;; [unrolled: 1-line block ×4, first 2 shown]
	v_sub_nc_u32_e32 v10, v5, v6
	v_sub_nc_u32_e32 v19, v7, v14
	v_cndmask_b32_e64 v8, v8, v16, s0
	v_cmp_lt_i32_e32 vcc_lo, v18, v11
	v_cmp_ge_i32_e64 s0, v7, v14
	v_cndmask_b32_e64 v16, v9, v20, s1
	v_min_i32_e32 v9, v7, v10
	v_cndmask_b32_e32 v14, v8, v18, vcc_lo
	v_cndmask_b32_e64 v10, 0, v19, s0
	v_mad_u32_u24 v8, 0x404, v12, v13
	v_cndmask_b32_e32 v11, v16, v11, vcc_lo
	s_mov_b32 s0, exec_lo
	ds_write2_b32 v1, v15, v14 offset1:1
	ds_write2_b32 v1, v11, v17 offset0:2 offset1:3
	; wave barrier
	v_cmpx_lt_i32_e64 v10, v9
	s_cbranch_execz .LBB40_4
; %bb.1:
	v_lshlrev_b32_e32 v11, 2, v5
	v_lshlrev_b32_e32 v12, 2, v7
	v_add3_u32 v11, v0, v11, v12
	.p2align	6
.LBB40_2:                               ; =>This Inner Loop Header: Depth=1
	v_sub_nc_u32_e32 v12, v9, v10
	v_lshrrev_b32_e32 v12, 1, v12
	v_add_nc_u32_e32 v12, v12, v10
	v_not_b32_e32 v13, v12
	v_lshl_add_u32 v14, v12, 2, v8
	v_add_nc_u32_e32 v15, 1, v12
	v_lshl_add_u32 v13, v13, 2, v11
	ds_read_b32 v14, v14
	ds_read_b32 v13, v13
	s_waitcnt lgkmcnt(0)
	v_cmp_lt_i32_e32 vcc_lo, v13, v14
	v_cndmask_b32_e32 v9, v9, v12, vcc_lo
	v_cndmask_b32_e32 v10, v15, v10, vcc_lo
	v_cmp_ge_i32_e32 vcc_lo, v10, v9
	s_or_b32 s3, vcc_lo, s3
	s_andn2_b32 exec_lo, exec_lo, s3
	s_cbranch_execnz .LBB40_2
; %bb.3:
	s_or_b32 exec_lo, exec_lo, s3
.LBB40_4:
	s_or_b32 exec_lo, exec_lo, s0
	v_add_nc_u32_e32 v7, v5, v7
	v_lshl_add_u32 v11, v10, 2, v8
	v_add_nc_u32_e32 v6, v10, v6
	v_sub_nc_u32_e32 v7, v7, v10
                                        ; implicit-def: $vgpr10
	v_cmp_le_i32_e32 vcc_lo, v5, v6
	v_lshl_add_u32 v12, v7, 2, v0
	v_cmp_gt_i32_e64 s1, v3, v7
	ds_read_b32 v8, v11
	ds_read_b32 v9, v12
	s_waitcnt lgkmcnt(0)
	v_cmp_lt_i32_e64 s0, v9, v8
	s_or_b32 s0, vcc_lo, s0
	s_and_b32 vcc_lo, s1, s0
	s_xor_b32 s0, vcc_lo, -1
	s_and_saveexec_b32 s1, s0
	s_xor_b32 s0, exec_lo, s1
; %bb.5:
	ds_read_b32 v10, v11 offset:4
                                        ; implicit-def: $vgpr12
; %bb.6:
	s_or_saveexec_b32 s0, s0
	v_mov_b32_e32 v11, v9
	s_xor_b32 exec_lo, exec_lo, s0
	s_cbranch_execz .LBB40_8
; %bb.7:
	ds_read_b32 v11, v12 offset:4
	s_waitcnt lgkmcnt(1)
	v_mov_b32_e32 v10, v8
.LBB40_8:
	s_or_b32 exec_lo, exec_lo, s0
	v_add_nc_u32_e32 v12, 1, v6
	v_add_nc_u32_e32 v14, 1, v7
	s_waitcnt lgkmcnt(0)
	v_cmp_lt_i32_e64 s1, v11, v10
	v_cndmask_b32_e32 v13, v12, v6, vcc_lo
	v_cndmask_b32_e32 v12, v7, v14, vcc_lo
                                        ; implicit-def: $vgpr6
	v_cmp_ge_i32_e64 s0, v13, v5
	v_cmp_lt_i32_e64 s2, v12, v3
	s_or_b32 s0, s0, s1
	s_and_b32 s0, s2, s0
	s_xor_b32 s1, s0, -1
	s_and_saveexec_b32 s2, s1
	s_xor_b32 s1, exec_lo, s2
; %bb.9:
	v_lshl_add_u32 v6, v13, 2, v0
	ds_read_b32 v6, v6 offset:4
; %bb.10:
	s_or_saveexec_b32 s1, s1
	v_mov_b32_e32 v7, v11
	s_xor_b32 exec_lo, exec_lo, s1
	s_cbranch_execz .LBB40_12
; %bb.11:
	s_waitcnt lgkmcnt(0)
	v_lshl_add_u32 v6, v12, 2, v0
	ds_read_b32 v7, v6 offset:4
	v_mov_b32_e32 v6, v10
.LBB40_12:
	s_or_b32 exec_lo, exec_lo, s1
	v_add_nc_u32_e32 v14, 1, v13
	v_add_nc_u32_e32 v16, 1, v12
	s_waitcnt lgkmcnt(0)
	v_cmp_lt_i32_e64 s2, v7, v6
	v_cndmask_b32_e64 v15, v14, v13, s0
	v_cndmask_b32_e64 v13, v12, v16, s0
                                        ; implicit-def: $vgpr14
	v_cmp_ge_i32_e64 s1, v15, v5
	v_cmp_lt_i32_e64 s3, v13, v3
	s_or_b32 s1, s1, s2
	s_and_b32 s1, s3, s1
	s_xor_b32 s2, s1, -1
	s_and_saveexec_b32 s3, s2
	s_xor_b32 s2, exec_lo, s3
; %bb.13:
	v_lshl_add_u32 v12, v15, 2, v0
	ds_read_b32 v14, v12 offset:4
; %bb.14:
	s_or_saveexec_b32 s2, s2
	v_mov_b32_e32 v16, v7
	s_xor_b32 exec_lo, exec_lo, s2
	s_cbranch_execz .LBB40_16
; %bb.15:
	v_lshl_add_u32 v12, v13, 2, v0
	s_waitcnt lgkmcnt(0)
	v_mov_b32_e32 v14, v6
	ds_read_b32 v16, v12 offset:4
.LBB40_16:
	s_or_b32 exec_lo, exec_lo, s2
	v_add_nc_u32_e32 v17, 1, v15
	v_add_nc_u32_e32 v19, 1, v13
	v_and_b32_e32 v12, 0x70, v2
	v_cndmask_b32_e64 v18, v6, v7, s1
	s_waitcnt lgkmcnt(0)
	v_cmp_lt_i32_e64 s2, v16, v14
	v_cndmask_b32_e64 v15, v17, v15, s1
	v_cndmask_b32_e64 v17, v13, v19, s1
	v_or_b32_e32 v7, 8, v12
	v_add_nc_u32_e32 v6, 16, v12
	v_cndmask_b32_e64 v10, v10, v11, s0
	v_cmp_ge_i32_e64 s1, v15, v5
	v_cmp_lt_i32_e64 s0, v17, v3
	v_and_b32_e32 v13, 12, v2
	v_sub_nc_u32_e32 v5, v6, v7
	v_cndmask_b32_e32 v9, v8, v9, vcc_lo
	s_or_b32 s1, s1, s2
	v_sub_nc_u32_e32 v8, v7, v12
	s_and_b32 vcc_lo, s0, s1
	v_sub_nc_u32_e32 v3, v13, v5
	v_cndmask_b32_e32 v11, v14, v16, vcc_lo
	v_cmp_ge_i32_e32 vcc_lo, v13, v5
	v_min_i32_e32 v8, v13, v8
	v_lshl_add_u32 v5, v12, 2, v0
	s_mov_b32 s1, 0
	s_mov_b32 s0, exec_lo
	v_cndmask_b32_e32 v3, 0, v3, vcc_lo
	; wave barrier
	ds_write2_b32 v1, v9, v10 offset1:1
	ds_write2_b32 v1, v18, v11 offset0:2 offset1:3
	; wave barrier
	v_cmpx_lt_i32_e64 v3, v8
	s_cbranch_execz .LBB40_20
; %bb.17:
	v_lshlrev_b32_e32 v9, 2, v7
	v_lshlrev_b32_e32 v10, 2, v13
	v_add3_u32 v9, v0, v9, v10
	.p2align	6
.LBB40_18:                              ; =>This Inner Loop Header: Depth=1
	v_sub_nc_u32_e32 v10, v8, v3
	v_lshrrev_b32_e32 v10, 1, v10
	v_add_nc_u32_e32 v10, v10, v3
	v_not_b32_e32 v11, v10
	v_lshl_add_u32 v14, v10, 2, v5
	v_add_nc_u32_e32 v15, 1, v10
	v_lshl_add_u32 v11, v11, 2, v9
	ds_read_b32 v14, v14
	ds_read_b32 v11, v11
	s_waitcnt lgkmcnt(0)
	v_cmp_lt_i32_e32 vcc_lo, v11, v14
	v_cndmask_b32_e32 v8, v8, v10, vcc_lo
	v_cndmask_b32_e32 v3, v15, v3, vcc_lo
	v_cmp_ge_i32_e32 vcc_lo, v3, v8
	s_or_b32 s1, vcc_lo, s1
	s_andn2_b32 exec_lo, exec_lo, s1
	s_cbranch_execnz .LBB40_18
; %bb.19:
	s_or_b32 exec_lo, exec_lo, s1
.LBB40_20:
	s_or_b32 exec_lo, exec_lo, s0
	v_add_nc_u32_e32 v8, v7, v13
	v_lshl_add_u32 v11, v3, 2, v5
                                        ; implicit-def: $vgpr10
	v_sub_nc_u32_e32 v13, v8, v3
	v_add_nc_u32_e32 v3, v3, v12
	v_lshl_add_u32 v5, v13, 2, v0
	v_cmp_le_i32_e32 vcc_lo, v7, v3
	v_cmp_gt_i32_e64 s1, v6, v13
	ds_read_b32 v8, v11
	ds_read_b32 v9, v5
	s_waitcnt lgkmcnt(0)
	v_cmp_lt_i32_e64 s0, v9, v8
	s_or_b32 s0, vcc_lo, s0
	s_and_b32 vcc_lo, s1, s0
	s_xor_b32 s0, vcc_lo, -1
	s_and_saveexec_b32 s1, s0
	s_xor_b32 s0, exec_lo, s1
; %bb.21:
	ds_read_b32 v10, v11 offset:4
                                        ; implicit-def: $vgpr5
; %bb.22:
	s_or_saveexec_b32 s0, s0
	v_mov_b32_e32 v11, v9
	s_xor_b32 exec_lo, exec_lo, s0
	s_cbranch_execz .LBB40_24
; %bb.23:
	ds_read_b32 v11, v5 offset:4
	s_waitcnt lgkmcnt(1)
	v_mov_b32_e32 v10, v8
.LBB40_24:
	s_or_b32 exec_lo, exec_lo, s0
	v_add_nc_u32_e32 v5, 1, v3
	v_add_nc_u32_e32 v12, 1, v13
	s_waitcnt lgkmcnt(0)
	v_cmp_lt_i32_e64 s1, v11, v10
	v_cndmask_b32_e32 v14, v5, v3, vcc_lo
	v_cndmask_b32_e32 v12, v13, v12, vcc_lo
                                        ; implicit-def: $vgpr3
	v_cmp_ge_i32_e64 s0, v14, v7
	v_cmp_lt_i32_e64 s2, v12, v6
	s_or_b32 s0, s0, s1
	s_and_b32 s0, s2, s0
	s_xor_b32 s1, s0, -1
	s_and_saveexec_b32 s2, s1
	s_xor_b32 s1, exec_lo, s2
; %bb.25:
	v_lshl_add_u32 v3, v14, 2, v0
	ds_read_b32 v3, v3 offset:4
; %bb.26:
	s_or_saveexec_b32 s1, s1
	v_mov_b32_e32 v5, v11
	s_xor_b32 exec_lo, exec_lo, s1
	s_cbranch_execz .LBB40_28
; %bb.27:
	s_waitcnt lgkmcnt(0)
	v_lshl_add_u32 v3, v12, 2, v0
	ds_read_b32 v5, v3 offset:4
	v_mov_b32_e32 v3, v10
.LBB40_28:
	s_or_b32 exec_lo, exec_lo, s1
	v_add_nc_u32_e32 v13, 1, v14
	v_add_nc_u32_e32 v16, 1, v12
	s_waitcnt lgkmcnt(0)
	v_cmp_lt_i32_e64 s2, v5, v3
	v_cndmask_b32_e64 v15, v13, v14, s0
	v_cndmask_b32_e64 v13, v12, v16, s0
                                        ; implicit-def: $vgpr14
	v_cmp_ge_i32_e64 s1, v15, v7
	v_cmp_lt_i32_e64 s3, v13, v6
	s_or_b32 s1, s1, s2
	s_and_b32 s1, s3, s1
	s_xor_b32 s2, s1, -1
	s_and_saveexec_b32 s3, s2
	s_xor_b32 s2, exec_lo, s3
; %bb.29:
	v_lshl_add_u32 v12, v15, 2, v0
	ds_read_b32 v14, v12 offset:4
; %bb.30:
	s_or_saveexec_b32 s2, s2
	v_mov_b32_e32 v16, v5
	s_xor_b32 exec_lo, exec_lo, s2
	s_cbranch_execz .LBB40_32
; %bb.31:
	v_lshl_add_u32 v12, v13, 2, v0
	s_waitcnt lgkmcnt(0)
	v_mov_b32_e32 v14, v3
	ds_read_b32 v16, v12 offset:4
.LBB40_32:
	s_or_b32 exec_lo, exec_lo, s2
	v_add_nc_u32_e32 v17, 1, v15
	v_add_nc_u32_e32 v19, 1, v13
	v_and_b32_e32 v12, 0x60, v2
	v_cndmask_b32_e64 v18, v3, v5, s1
	s_waitcnt lgkmcnt(0)
	v_cmp_lt_i32_e64 s2, v16, v14
	v_cndmask_b32_e64 v15, v17, v15, s1
	v_cndmask_b32_e64 v17, v13, v19, s1
	v_or_b32_e32 v5, 16, v12
	v_add_nc_u32_e32 v3, 32, v12
	v_cndmask_b32_e64 v10, v10, v11, s0
	v_cmp_ge_i32_e64 s1, v15, v7
	v_cmp_lt_i32_e64 s0, v17, v6
	v_and_b32_e32 v13, 28, v2
	v_sub_nc_u32_e32 v7, v3, v5
	v_cndmask_b32_e32 v9, v8, v9, vcc_lo
	s_or_b32 s1, s1, s2
	v_sub_nc_u32_e32 v8, v5, v12
	s_and_b32 vcc_lo, s0, s1
	v_sub_nc_u32_e32 v6, v13, v7
	v_cndmask_b32_e32 v11, v14, v16, vcc_lo
	v_cmp_ge_i32_e32 vcc_lo, v13, v7
	v_min_i32_e32 v8, v13, v8
	v_lshl_add_u32 v7, v12, 2, v0
	s_mov_b32 s1, 0
	s_mov_b32 s0, exec_lo
	v_cndmask_b32_e32 v6, 0, v6, vcc_lo
	; wave barrier
	ds_write2_b32 v1, v9, v10 offset1:1
	ds_write2_b32 v1, v18, v11 offset0:2 offset1:3
	; wave barrier
	v_cmpx_lt_i32_e64 v6, v8
	s_cbranch_execz .LBB40_36
; %bb.33:
	v_lshlrev_b32_e32 v9, 2, v5
	v_lshlrev_b32_e32 v10, 2, v13
	v_add3_u32 v9, v0, v9, v10
	.p2align	6
.LBB40_34:                              ; =>This Inner Loop Header: Depth=1
	v_sub_nc_u32_e32 v10, v8, v6
	v_lshrrev_b32_e32 v10, 1, v10
	v_add_nc_u32_e32 v10, v10, v6
	v_not_b32_e32 v11, v10
	v_lshl_add_u32 v14, v10, 2, v7
	v_add_nc_u32_e32 v15, 1, v10
	v_lshl_add_u32 v11, v11, 2, v9
	ds_read_b32 v14, v14
	ds_read_b32 v11, v11
	s_waitcnt lgkmcnt(0)
	v_cmp_lt_i32_e32 vcc_lo, v11, v14
	v_cndmask_b32_e32 v8, v8, v10, vcc_lo
	v_cndmask_b32_e32 v6, v15, v6, vcc_lo
	v_cmp_ge_i32_e32 vcc_lo, v6, v8
	s_or_b32 s1, vcc_lo, s1
	s_andn2_b32 exec_lo, exec_lo, s1
	s_cbranch_execnz .LBB40_34
; %bb.35:
	s_or_b32 exec_lo, exec_lo, s1
.LBB40_36:
	s_or_b32 exec_lo, exec_lo, s0
	v_add_nc_u32_e32 v8, v5, v13
	v_lshl_add_u32 v11, v6, 2, v7
                                        ; implicit-def: $vgpr10
	v_sub_nc_u32_e32 v13, v8, v6
	v_add_nc_u32_e32 v6, v6, v12
	v_lshl_add_u32 v7, v13, 2, v0
	v_cmp_le_i32_e32 vcc_lo, v5, v6
	v_cmp_gt_i32_e64 s1, v3, v13
	ds_read_b32 v8, v11
	ds_read_b32 v9, v7
	s_waitcnt lgkmcnt(0)
	v_cmp_lt_i32_e64 s0, v9, v8
	s_or_b32 s0, vcc_lo, s0
	s_and_b32 vcc_lo, s1, s0
	s_xor_b32 s0, vcc_lo, -1
	s_and_saveexec_b32 s1, s0
	s_xor_b32 s0, exec_lo, s1
; %bb.37:
	ds_read_b32 v10, v11 offset:4
                                        ; implicit-def: $vgpr7
; %bb.38:
	s_or_saveexec_b32 s0, s0
	v_mov_b32_e32 v11, v9
	s_xor_b32 exec_lo, exec_lo, s0
	s_cbranch_execz .LBB40_40
; %bb.39:
	ds_read_b32 v11, v7 offset:4
	s_waitcnt lgkmcnt(1)
	v_mov_b32_e32 v10, v8
.LBB40_40:
	s_or_b32 exec_lo, exec_lo, s0
	v_add_nc_u32_e32 v7, 1, v6
	v_add_nc_u32_e32 v12, 1, v13
	s_waitcnt lgkmcnt(0)
	v_cmp_lt_i32_e64 s1, v11, v10
	v_cndmask_b32_e32 v14, v7, v6, vcc_lo
	v_cndmask_b32_e32 v12, v13, v12, vcc_lo
                                        ; implicit-def: $vgpr6
	v_cmp_ge_i32_e64 s0, v14, v5
	v_cmp_lt_i32_e64 s2, v12, v3
	s_or_b32 s0, s0, s1
	s_and_b32 s0, s2, s0
	s_xor_b32 s1, s0, -1
	s_and_saveexec_b32 s2, s1
	s_xor_b32 s1, exec_lo, s2
; %bb.41:
	v_lshl_add_u32 v6, v14, 2, v0
	ds_read_b32 v6, v6 offset:4
; %bb.42:
	s_or_saveexec_b32 s1, s1
	v_mov_b32_e32 v7, v11
	s_xor_b32 exec_lo, exec_lo, s1
	s_cbranch_execz .LBB40_44
; %bb.43:
	s_waitcnt lgkmcnt(0)
	v_lshl_add_u32 v6, v12, 2, v0
	ds_read_b32 v7, v6 offset:4
	v_mov_b32_e32 v6, v10
.LBB40_44:
	s_or_b32 exec_lo, exec_lo, s1
	v_add_nc_u32_e32 v13, 1, v14
	v_add_nc_u32_e32 v16, 1, v12
	s_waitcnt lgkmcnt(0)
	v_cmp_lt_i32_e64 s2, v7, v6
	v_cndmask_b32_e64 v15, v13, v14, s0
	v_cndmask_b32_e64 v13, v12, v16, s0
                                        ; implicit-def: $vgpr14
	v_cmp_ge_i32_e64 s1, v15, v5
	v_cmp_lt_i32_e64 s3, v13, v3
	s_or_b32 s1, s1, s2
	s_and_b32 s1, s3, s1
	s_xor_b32 s2, s1, -1
	s_and_saveexec_b32 s3, s2
	s_xor_b32 s2, exec_lo, s3
; %bb.45:
	v_lshl_add_u32 v12, v15, 2, v0
	ds_read_b32 v14, v12 offset:4
; %bb.46:
	s_or_saveexec_b32 s2, s2
	v_mov_b32_e32 v16, v7
	s_xor_b32 exec_lo, exec_lo, s2
	s_cbranch_execz .LBB40_48
; %bb.47:
	v_lshl_add_u32 v12, v13, 2, v0
	s_waitcnt lgkmcnt(0)
	v_mov_b32_e32 v14, v6
	ds_read_b32 v16, v12 offset:4
.LBB40_48:
	s_or_b32 exec_lo, exec_lo, s2
	v_add_nc_u32_e32 v17, 1, v15
	v_add_nc_u32_e32 v19, 1, v13
	v_and_b32_e32 v12, 64, v2
	v_cndmask_b32_e64 v18, v6, v7, s1
	s_waitcnt lgkmcnt(0)
	v_cmp_lt_i32_e64 s2, v16, v14
	v_cndmask_b32_e64 v15, v17, v15, s1
	v_cndmask_b32_e64 v17, v13, v19, s1
	v_or_b32_e32 v7, 32, v12
	v_add_nc_u32_e32 v6, 64, v12
	v_cndmask_b32_e64 v10, v10, v11, s0
	v_cmp_ge_i32_e64 s1, v15, v5
	v_cmp_lt_i32_e64 s0, v17, v3
	v_and_b32_e32 v13, 60, v2
	v_sub_nc_u32_e32 v5, v6, v7
	v_cndmask_b32_e32 v3, v8, v9, vcc_lo
	s_or_b32 s1, s1, s2
	v_sub_nc_u32_e32 v9, v7, v12
	s_and_b32 vcc_lo, s0, s1
	v_sub_nc_u32_e32 v8, v13, v5
	v_cndmask_b32_e32 v11, v14, v16, vcc_lo
	v_cmp_ge_i32_e32 vcc_lo, v13, v5
	v_min_i32_e32 v5, v13, v9
	; wave barrier
	ds_write2_b32 v1, v3, v10 offset1:1
	v_cndmask_b32_e32 v8, 0, v8, vcc_lo
	v_lshl_add_u32 v3, v12, 2, v0
	s_mov_b32 s1, 0
	s_mov_b32 s0, exec_lo
	ds_write2_b32 v1, v18, v11 offset0:2 offset1:3
	; wave barrier
	v_cmpx_lt_i32_e64 v8, v5
	s_cbranch_execz .LBB40_52
; %bb.49:
	v_lshlrev_b32_e32 v9, 2, v7
	v_lshlrev_b32_e32 v10, 2, v13
	v_add3_u32 v9, v0, v9, v10
	.p2align	6
.LBB40_50:                              ; =>This Inner Loop Header: Depth=1
	v_sub_nc_u32_e32 v10, v5, v8
	v_lshrrev_b32_e32 v10, 1, v10
	v_add_nc_u32_e32 v10, v10, v8
	v_not_b32_e32 v11, v10
	v_lshl_add_u32 v14, v10, 2, v3
	v_add_nc_u32_e32 v15, 1, v10
	v_lshl_add_u32 v11, v11, 2, v9
	ds_read_b32 v14, v14
	ds_read_b32 v11, v11
	s_waitcnt lgkmcnt(0)
	v_cmp_lt_i32_e32 vcc_lo, v11, v14
	v_cndmask_b32_e32 v5, v5, v10, vcc_lo
	v_cndmask_b32_e32 v8, v15, v8, vcc_lo
	v_cmp_ge_i32_e32 vcc_lo, v8, v5
	s_or_b32 s1, vcc_lo, s1
	s_andn2_b32 exec_lo, exec_lo, s1
	s_cbranch_execnz .LBB40_50
; %bb.51:
	s_or_b32 exec_lo, exec_lo, s1
.LBB40_52:
	s_or_b32 exec_lo, exec_lo, s0
	v_add_nc_u32_e32 v5, v7, v13
	v_lshl_add_u32 v9, v8, 2, v3
	v_add_nc_u32_e32 v11, v8, v12
	v_sub_nc_u32_e32 v10, v5, v8
                                        ; implicit-def: $vgpr8
	v_cmp_le_i32_e32 vcc_lo, v7, v11
	v_lshl_add_u32 v13, v10, 2, v0
	v_cmp_gt_i32_e64 s1, v6, v10
	ds_read_b32 v3, v9
	ds_read_b32 v5, v13
	s_waitcnt lgkmcnt(0)
	v_cmp_lt_i32_e64 s0, v5, v3
	s_or_b32 s0, vcc_lo, s0
	s_and_b32 vcc_lo, s1, s0
	s_xor_b32 s0, vcc_lo, -1
	s_and_saveexec_b32 s1, s0
	s_xor_b32 s0, exec_lo, s1
; %bb.53:
	ds_read_b32 v8, v9 offset:4
                                        ; implicit-def: $vgpr13
; %bb.54:
	s_or_saveexec_b32 s0, s0
	v_mov_b32_e32 v9, v5
	s_xor_b32 exec_lo, exec_lo, s0
	s_cbranch_execz .LBB40_56
; %bb.55:
	ds_read_b32 v9, v13 offset:4
	s_waitcnt lgkmcnt(1)
	v_mov_b32_e32 v8, v3
.LBB40_56:
	s_or_b32 exec_lo, exec_lo, s0
	v_add_nc_u32_e32 v12, 1, v11
	v_add_nc_u32_e32 v13, 1, v10
	s_waitcnt lgkmcnt(0)
	v_cmp_lt_i32_e64 s1, v9, v8
	v_cndmask_b32_e32 v12, v12, v11, vcc_lo
	v_cndmask_b32_e32 v11, v10, v13, vcc_lo
                                        ; implicit-def: $vgpr10
	v_cmp_ge_i32_e64 s0, v12, v7
	v_cmp_lt_i32_e64 s2, v11, v6
	s_or_b32 s0, s0, s1
	s_and_b32 s0, s2, s0
	s_xor_b32 s1, s0, -1
	s_and_saveexec_b32 s2, s1
	s_xor_b32 s1, exec_lo, s2
; %bb.57:
	v_lshl_add_u32 v10, v12, 2, v0
	ds_read_b32 v10, v10 offset:4
; %bb.58:
	s_or_saveexec_b32 s1, s1
	v_mov_b32_e32 v13, v9
	s_xor_b32 exec_lo, exec_lo, s1
	s_cbranch_execz .LBB40_60
; %bb.59:
	s_waitcnt lgkmcnt(0)
	v_lshl_add_u32 v10, v11, 2, v0
	ds_read_b32 v13, v10 offset:4
	v_mov_b32_e32 v10, v8
.LBB40_60:
	s_or_b32 exec_lo, exec_lo, s1
	v_add_nc_u32_e32 v14, 1, v12
	v_add_nc_u32_e32 v16, 1, v11
	s_waitcnt lgkmcnt(0)
	v_cmp_lt_i32_e64 s2, v13, v10
	v_cndmask_b32_e64 v15, v14, v12, s0
	v_cndmask_b32_e64 v11, v11, v16, s0
                                        ; implicit-def: $vgpr12
	v_cmp_ge_i32_e64 s1, v15, v7
	v_cmp_lt_i32_e64 s3, v11, v6
	s_or_b32 s1, s1, s2
	s_and_b32 s1, s3, s1
	s_xor_b32 s2, s1, -1
	s_and_saveexec_b32 s3, s2
	s_xor_b32 s2, exec_lo, s3
; %bb.61:
	v_lshl_add_u32 v12, v15, 2, v0
	ds_read_b32 v12, v12 offset:4
; %bb.62:
	s_or_saveexec_b32 s2, s2
	v_mov_b32_e32 v14, v13
	s_xor_b32 exec_lo, exec_lo, s2
	s_cbranch_execz .LBB40_64
; %bb.63:
	s_waitcnt lgkmcnt(0)
	v_lshl_add_u32 v12, v11, 2, v0
	ds_read_b32 v14, v12 offset:4
	v_mov_b32_e32 v12, v10
.LBB40_64:
	s_or_b32 exec_lo, exec_lo, s2
	v_add_nc_u32_e32 v16, 1, v15
	v_add_nc_u32_e32 v17, 1, v11
	v_cndmask_b32_e64 v10, v10, v13, s1
	v_cndmask_b32_e64 v8, v8, v9, s0
	v_and_b32_e32 v2, 0x7c, v2
	v_cndmask_b32_e64 v13, v16, v15, s1
	v_cndmask_b32_e64 v9, v11, v17, s1
	s_waitcnt lgkmcnt(0)
	v_cmp_lt_i32_e64 s0, v14, v12
	v_cndmask_b32_e32 v5, v3, v5, vcc_lo
	v_min_i32_e32 v3, 64, v2
	v_cmp_ge_i32_e64 s1, v13, v7
	v_cmp_lt_i32_e32 vcc_lo, v9, v6
	v_subrev_nc_u32_e32 v7, 64, v2
	; wave barrier
	s_or_b32 s1, s1, s0
	v_cmp_lt_i32_e64 s0, 63, v2
	s_and_b32 vcc_lo, vcc_lo, s1
	v_cndmask_b32_e32 v6, v12, v14, vcc_lo
	ds_write2_b32 v1, v5, v8 offset1:1
	ds_write2_b32 v1, v10, v6 offset0:2 offset1:3
	v_cndmask_b32_e64 v7, 0, v7, s0
	s_mov_b32 s0, exec_lo
	; wave barrier
	v_cmpx_lt_i32_e64 v7, v3
	s_cbranch_execz .LBB40_68
; %bb.65:
	v_lshlrev_b32_e32 v5, 2, v2
	s_mov_b32 s1, 0
	v_add3_u32 v5, 0x100, v0, v5
	.p2align	6
.LBB40_66:                              ; =>This Inner Loop Header: Depth=1
	v_sub_nc_u32_e32 v6, v3, v7
	v_lshrrev_b32_e32 v6, 1, v6
	v_add_nc_u32_e32 v6, v6, v7
	v_not_b32_e32 v8, v6
	v_lshl_add_u32 v9, v6, 2, v0
	v_add_nc_u32_e32 v10, 1, v6
	v_lshl_add_u32 v8, v8, 2, v5
	ds_read_b32 v9, v9
	ds_read_b32 v8, v8
	s_waitcnt lgkmcnt(0)
	v_cmp_lt_i32_e32 vcc_lo, v8, v9
	v_cndmask_b32_e32 v3, v3, v6, vcc_lo
	v_cndmask_b32_e32 v7, v10, v7, vcc_lo
	v_cmp_ge_i32_e32 vcc_lo, v7, v3
	s_or_b32 s1, vcc_lo, s1
	s_andn2_b32 exec_lo, exec_lo, s1
	s_cbranch_execnz .LBB40_66
; %bb.67:
	s_or_b32 exec_lo, exec_lo, s1
.LBB40_68:
	s_or_b32 exec_lo, exec_lo, s0
	v_add_nc_u32_e32 v3, 64, v2
	v_lshl_add_u32 v8, v7, 2, v0
	v_cmp_le_i32_e32 vcc_lo, 64, v7
                                        ; implicit-def: $vgpr6
	v_sub_nc_u32_e32 v9, v3, v7
	v_lshl_add_u32 v10, v9, 2, v0
	v_cmp_gt_i32_e64 s1, 0x80, v9
	ds_read_b32 v3, v8
	ds_read_b32 v5, v10
	s_waitcnt lgkmcnt(0)
	v_cmp_lt_i32_e64 s0, v5, v3
	s_or_b32 s0, vcc_lo, s0
	s_and_b32 vcc_lo, s1, s0
	s_xor_b32 s0, vcc_lo, -1
	s_and_saveexec_b32 s1, s0
	s_xor_b32 s0, exec_lo, s1
; %bb.69:
	ds_read_b32 v6, v8 offset:4
                                        ; implicit-def: $vgpr10
; %bb.70:
	s_or_saveexec_b32 s0, s0
	v_mov_b32_e32 v8, v5
	s_xor_b32 exec_lo, exec_lo, s0
	s_cbranch_execz .LBB40_72
; %bb.71:
	ds_read_b32 v8, v10 offset:4
	s_waitcnt lgkmcnt(1)
	v_mov_b32_e32 v6, v3
.LBB40_72:
	s_or_b32 exec_lo, exec_lo, s0
	v_add_nc_u32_e32 v10, 1, v7
	v_add_nc_u32_e32 v12, 1, v9
	s_waitcnt lgkmcnt(0)
	v_cmp_lt_i32_e64 s1, v8, v6
	v_cndmask_b32_e32 v11, v10, v7, vcc_lo
	v_cndmask_b32_e32 v10, v9, v12, vcc_lo
                                        ; implicit-def: $vgpr7
	v_cmp_le_i32_e64 s0, 64, v11
	v_cmp_gt_i32_e64 s2, 0x80, v10
	s_or_b32 s0, s0, s1
	s_and_b32 s0, s2, s0
	s_xor_b32 s1, s0, -1
	s_and_saveexec_b32 s2, s1
	s_xor_b32 s1, exec_lo, s2
; %bb.73:
	v_lshl_add_u32 v7, v11, 2, v0
	ds_read_b32 v7, v7 offset:4
; %bb.74:
	s_or_saveexec_b32 s1, s1
	v_mov_b32_e32 v9, v8
	s_xor_b32 exec_lo, exec_lo, s1
	s_cbranch_execz .LBB40_76
; %bb.75:
	s_waitcnt lgkmcnt(0)
	v_lshl_add_u32 v7, v10, 2, v0
	ds_read_b32 v9, v7 offset:4
	v_mov_b32_e32 v7, v6
.LBB40_76:
	s_or_b32 exec_lo, exec_lo, s1
	v_add_nc_u32_e32 v12, 1, v11
	v_add_nc_u32_e32 v14, 1, v10
	s_waitcnt lgkmcnt(0)
	v_cmp_lt_i32_e64 s2, v9, v7
	v_cndmask_b32_e64 v13, v12, v11, s0
	v_cndmask_b32_e64 v12, v10, v14, s0
                                        ; implicit-def: $vgpr10
	v_cmp_le_i32_e64 s1, 64, v13
	v_cmp_gt_i32_e64 s3, 0x80, v12
	s_or_b32 s1, s1, s2
	s_and_b32 s1, s3, s1
	s_xor_b32 s2, s1, -1
	s_and_saveexec_b32 s3, s2
	s_xor_b32 s2, exec_lo, s3
; %bb.77:
	v_lshl_add_u32 v10, v13, 2, v0
	ds_read_b32 v10, v10 offset:4
; %bb.78:
	s_or_saveexec_b32 s2, s2
	v_mov_b32_e32 v11, v9
	s_xor_b32 exec_lo, exec_lo, s2
	s_cbranch_execz .LBB40_80
; %bb.79:
	s_waitcnt lgkmcnt(0)
	v_lshl_add_u32 v10, v12, 2, v0
	ds_read_b32 v11, v10 offset:4
	v_mov_b32_e32 v10, v7
.LBB40_80:
	s_or_b32 exec_lo, exec_lo, s2
	v_add_nc_u32_e32 v14, 1, v13
	v_add_nc_u32_e32 v15, 1, v12
	v_cndmask_b32_e64 v9, v7, v9, s1
	v_cndmask_b32_e64 v6, v6, v8, s0
	v_or_b32_e32 v8, 0xffffff80, v2
	v_cndmask_b32_e64 v13, v14, v13, s1
	v_cndmask_b32_e64 v7, v12, v15, s1
	s_waitcnt lgkmcnt(0)
	v_cmp_lt_i32_e64 s1, v11, v10
	v_cndmask_b32_e32 v3, v3, v5, vcc_lo
	v_cmp_lt_i32_e32 vcc_lo, 0x7f, v2
	v_cmp_le_i32_e64 s2, 64, v13
	v_cmp_gt_i32_e64 s0, 0x80, v7
	; wave barrier
	v_cndmask_b32_e32 v7, 0, v8, vcc_lo
	s_or_b32 s1, s2, s1
	s_and_b32 vcc_lo, s0, s1
	s_mov_b32 s0, exec_lo
	v_cndmask_b32_e32 v5, v10, v11, vcc_lo
	ds_write2_b32 v1, v3, v6 offset1:1
	ds_write2_b32 v1, v9, v5 offset0:2 offset1:3
	; wave barrier
	v_cmpx_lt_i32_e64 v7, v2
	s_cbranch_execz .LBB40_84
; %bb.81:
	v_lshlrev_b32_e32 v1, 2, v2
	v_mov_b32_e32 v3, v2
	s_mov_b32 s1, 0
	v_add3_u32 v1, 0x200, v0, v1
	.p2align	6
.LBB40_82:                              ; =>This Inner Loop Header: Depth=1
	v_sub_nc_u32_e32 v5, v3, v7
	v_lshrrev_b32_e32 v5, 1, v5
	v_add_nc_u32_e32 v5, v5, v7
	v_not_b32_e32 v6, v5
	v_lshl_add_u32 v8, v5, 2, v0
	v_add_nc_u32_e32 v9, 1, v5
	v_lshl_add_u32 v6, v6, 2, v1
	ds_read_b32 v8, v8
	ds_read_b32 v6, v6
	s_waitcnt lgkmcnt(0)
	v_cmp_lt_i32_e32 vcc_lo, v6, v8
	v_cndmask_b32_e32 v3, v3, v5, vcc_lo
	v_cndmask_b32_e32 v7, v9, v7, vcc_lo
	v_cmp_ge_i32_e32 vcc_lo, v7, v3
	s_or_b32 s1, vcc_lo, s1
	s_andn2_b32 exec_lo, exec_lo, s1
	s_cbranch_execnz .LBB40_82
; %bb.83:
	s_or_b32 exec_lo, exec_lo, s1
.LBB40_84:
	s_or_b32 exec_lo, exec_lo, s0
	v_add_nc_u32_e32 v1, 0x80, v2
	v_lshl_add_u32 v6, v7, 2, v0
	v_cmp_le_i32_e32 vcc_lo, 0x80, v7
	v_sub_nc_u32_e32 v2, v1, v7
                                        ; implicit-def: $vgpr1
	v_lshl_add_u32 v8, v2, 2, v0
	v_cmp_gt_i32_e64 s1, 0x100, v2
	ds_read_b32 v3, v6
	ds_read_b32 v5, v8
	s_waitcnt lgkmcnt(0)
	v_cmp_lt_i32_e64 s0, v5, v3
	s_or_b32 s0, vcc_lo, s0
	s_and_b32 vcc_lo, s1, s0
	s_xor_b32 s0, vcc_lo, -1
	s_and_saveexec_b32 s1, s0
	s_xor_b32 s0, exec_lo, s1
; %bb.85:
	ds_read_b32 v1, v6 offset:4
                                        ; implicit-def: $vgpr8
; %bb.86:
	s_or_saveexec_b32 s0, s0
	v_mov_b32_e32 v6, v5
	s_xor_b32 exec_lo, exec_lo, s0
	s_cbranch_execz .LBB40_88
; %bb.87:
	ds_read_b32 v6, v8 offset:4
	s_waitcnt lgkmcnt(1)
	v_mov_b32_e32 v1, v3
.LBB40_88:
	s_or_b32 exec_lo, exec_lo, s0
	v_add_nc_u32_e32 v8, 1, v7
	v_add_nc_u32_e32 v10, 1, v2
	s_waitcnt lgkmcnt(0)
	v_cmp_lt_i32_e64 s1, v6, v1
	v_cndmask_b32_e32 v9, v8, v7, vcc_lo
	v_cndmask_b32_e32 v2, v2, v10, vcc_lo
                                        ; implicit-def: $vgpr8
	v_cmp_le_i32_e64 s0, 0x80, v9
	v_cmp_gt_i32_e64 s2, 0x100, v2
	s_or_b32 s0, s0, s1
	s_and_b32 s0, s2, s0
	s_xor_b32 s1, s0, -1
	s_and_saveexec_b32 s2, s1
	s_xor_b32 s1, exec_lo, s2
; %bb.89:
	v_lshl_add_u32 v7, v9, 2, v0
	ds_read_b32 v8, v7 offset:4
; %bb.90:
	s_or_saveexec_b32 s1, s1
	v_mov_b32_e32 v7, v6
	s_xor_b32 exec_lo, exec_lo, s1
	s_cbranch_execz .LBB40_92
; %bb.91:
	v_lshl_add_u32 v7, v2, 2, v0
	s_waitcnt lgkmcnt(0)
	v_mov_b32_e32 v8, v1
	ds_read_b32 v7, v7 offset:4
.LBB40_92:
	s_or_b32 exec_lo, exec_lo, s1
	v_add_nc_u32_e32 v10, 1, v9
	v_add_nc_u32_e32 v12, 1, v2
	s_waitcnt lgkmcnt(0)
	v_cmp_ge_i32_e64 s2, v7, v8
	v_cndmask_b32_e64 v11, v10, v9, s0
	v_cndmask_b32_e64 v9, v2, v12, s0
                                        ; implicit-def: $vgpr10
                                        ; implicit-def: $vgpr12
	v_cmp_gt_i32_e64 s1, 0x80, v11
	v_cmp_le_i32_e64 s3, 0x100, v9
	s_and_b32 s1, s1, s2
	s_or_b32 s1, s3, s1
	s_and_saveexec_b32 s2, s1
	s_xor_b32 s1, exec_lo, s2
; %bb.93:
	v_lshl_add_u32 v0, v11, 2, v0
	v_add_nc_u32_e32 v12, 1, v11
                                        ; implicit-def: $vgpr11
	ds_read_b32 v10, v0 offset:4
                                        ; implicit-def: $vgpr0
; %bb.94:
	s_or_saveexec_b32 s1, s1
	v_mov_b32_e32 v2, v8
	s_xor_b32 exec_lo, exec_lo, s1
	s_cbranch_execz .LBB40_96
; %bb.95:
	v_lshl_add_u32 v0, v9, 2, v0
	v_add_nc_u32_e32 v9, 1, v9
	v_mov_b32_e32 v2, v7
	v_mov_b32_e32 v12, v11
	s_waitcnt lgkmcnt(0)
	v_mov_b32_e32 v10, v8
	ds_read_b32 v0, v0 offset:4
	s_waitcnt lgkmcnt(0)
	v_mov_b32_e32 v7, v0
.LBB40_96:
	s_or_b32 exec_lo, exec_lo, s1
	v_cmp_le_i32_e64 s1, 0x80, v12
	s_waitcnt lgkmcnt(0)
	v_cmp_lt_i32_e64 s2, v7, v10
	v_cmp_gt_i32_e64 s3, 0x100, v9
	v_cndmask_b32_e64 v1, v1, v6, s0
	v_cndmask_b32_e32 v0, v3, v5, vcc_lo
	v_lshlrev_b32_e32 v4, 2, v4
	s_or_b32 s0, s1, s2
	s_and_b32 vcc_lo, s3, s0
	s_add_u32 s0, s10, s4
	v_cndmask_b32_e32 v3, v10, v7, vcc_lo
	s_addc_u32 s1, s11, s5
	global_store_dwordx4 v4, v[0:3], s[0:1]
	s_endpgm
	.section	.rodata,"a",@progbits
	.p2align	6, 0x0
	.amdhsa_kernel _Z9sort_keysILj256ELj64ELj4EiN10test_utils4lessEEvPKT2_PS2_T3_
		.amdhsa_group_segment_fixed_size 4112
		.amdhsa_private_segment_fixed_size 0
		.amdhsa_kernarg_size 20
		.amdhsa_user_sgpr_count 6
		.amdhsa_user_sgpr_private_segment_buffer 1
		.amdhsa_user_sgpr_dispatch_ptr 0
		.amdhsa_user_sgpr_queue_ptr 0
		.amdhsa_user_sgpr_kernarg_segment_ptr 1
		.amdhsa_user_sgpr_dispatch_id 0
		.amdhsa_user_sgpr_flat_scratch_init 0
		.amdhsa_user_sgpr_private_segment_size 0
		.amdhsa_wavefront_size32 1
		.amdhsa_uses_dynamic_stack 0
		.amdhsa_system_sgpr_private_segment_wavefront_offset 0
		.amdhsa_system_sgpr_workgroup_id_x 1
		.amdhsa_system_sgpr_workgroup_id_y 0
		.amdhsa_system_sgpr_workgroup_id_z 0
		.amdhsa_system_sgpr_workgroup_info 0
		.amdhsa_system_vgpr_workitem_id 0
		.amdhsa_next_free_vgpr 21
		.amdhsa_next_free_sgpr 12
		.amdhsa_reserve_vcc 1
		.amdhsa_reserve_flat_scratch 0
		.amdhsa_float_round_mode_32 0
		.amdhsa_float_round_mode_16_64 0
		.amdhsa_float_denorm_mode_32 3
		.amdhsa_float_denorm_mode_16_64 3
		.amdhsa_dx10_clamp 1
		.amdhsa_ieee_mode 1
		.amdhsa_fp16_overflow 0
		.amdhsa_workgroup_processor_mode 1
		.amdhsa_memory_ordered 1
		.amdhsa_forward_progress 1
		.amdhsa_shared_vgpr_count 0
		.amdhsa_exception_fp_ieee_invalid_op 0
		.amdhsa_exception_fp_denorm_src 0
		.amdhsa_exception_fp_ieee_div_zero 0
		.amdhsa_exception_fp_ieee_overflow 0
		.amdhsa_exception_fp_ieee_underflow 0
		.amdhsa_exception_fp_ieee_inexact 0
		.amdhsa_exception_int_div_zero 0
	.end_amdhsa_kernel
	.section	.text._Z9sort_keysILj256ELj64ELj4EiN10test_utils4lessEEvPKT2_PS2_T3_,"axG",@progbits,_Z9sort_keysILj256ELj64ELj4EiN10test_utils4lessEEvPKT2_PS2_T3_,comdat
.Lfunc_end40:
	.size	_Z9sort_keysILj256ELj64ELj4EiN10test_utils4lessEEvPKT2_PS2_T3_, .Lfunc_end40-_Z9sort_keysILj256ELj64ELj4EiN10test_utils4lessEEvPKT2_PS2_T3_
                                        ; -- End function
	.set _Z9sort_keysILj256ELj64ELj4EiN10test_utils4lessEEvPKT2_PS2_T3_.num_vgpr, 21
	.set _Z9sort_keysILj256ELj64ELj4EiN10test_utils4lessEEvPKT2_PS2_T3_.num_agpr, 0
	.set _Z9sort_keysILj256ELj64ELj4EiN10test_utils4lessEEvPKT2_PS2_T3_.numbered_sgpr, 12
	.set _Z9sort_keysILj256ELj64ELj4EiN10test_utils4lessEEvPKT2_PS2_T3_.num_named_barrier, 0
	.set _Z9sort_keysILj256ELj64ELj4EiN10test_utils4lessEEvPKT2_PS2_T3_.private_seg_size, 0
	.set _Z9sort_keysILj256ELj64ELj4EiN10test_utils4lessEEvPKT2_PS2_T3_.uses_vcc, 1
	.set _Z9sort_keysILj256ELj64ELj4EiN10test_utils4lessEEvPKT2_PS2_T3_.uses_flat_scratch, 0
	.set _Z9sort_keysILj256ELj64ELj4EiN10test_utils4lessEEvPKT2_PS2_T3_.has_dyn_sized_stack, 0
	.set _Z9sort_keysILj256ELj64ELj4EiN10test_utils4lessEEvPKT2_PS2_T3_.has_recursion, 0
	.set _Z9sort_keysILj256ELj64ELj4EiN10test_utils4lessEEvPKT2_PS2_T3_.has_indirect_call, 0
	.section	.AMDGPU.csdata,"",@progbits
; Kernel info:
; codeLenInByte = 4512
; TotalNumSgprs: 14
; NumVgprs: 21
; ScratchSize: 0
; MemoryBound: 0
; FloatMode: 240
; IeeeMode: 1
; LDSByteSize: 4112 bytes/workgroup (compile time only)
; SGPRBlocks: 0
; VGPRBlocks: 2
; NumSGPRsForWavesPerEU: 14
; NumVGPRsForWavesPerEU: 21
; Occupancy: 16
; WaveLimiterHint : 0
; COMPUTE_PGM_RSRC2:SCRATCH_EN: 0
; COMPUTE_PGM_RSRC2:USER_SGPR: 6
; COMPUTE_PGM_RSRC2:TRAP_HANDLER: 0
; COMPUTE_PGM_RSRC2:TGID_X_EN: 1
; COMPUTE_PGM_RSRC2:TGID_Y_EN: 0
; COMPUTE_PGM_RSRC2:TGID_Z_EN: 0
; COMPUTE_PGM_RSRC2:TIDIG_COMP_CNT: 0
	.section	.text._Z10sort_pairsILj256ELj64ELj4EiN10test_utils4lessEEvPKT2_PS2_T3_,"axG",@progbits,_Z10sort_pairsILj256ELj64ELj4EiN10test_utils4lessEEvPKT2_PS2_T3_,comdat
	.protected	_Z10sort_pairsILj256ELj64ELj4EiN10test_utils4lessEEvPKT2_PS2_T3_ ; -- Begin function _Z10sort_pairsILj256ELj64ELj4EiN10test_utils4lessEEvPKT2_PS2_T3_
	.globl	_Z10sort_pairsILj256ELj64ELj4EiN10test_utils4lessEEvPKT2_PS2_T3_
	.p2align	8
	.type	_Z10sort_pairsILj256ELj64ELj4EiN10test_utils4lessEEvPKT2_PS2_T3_,@function
_Z10sort_pairsILj256ELj64ELj4EiN10test_utils4lessEEvPKT2_PS2_T3_: ; @_Z10sort_pairsILj256ELj64ELj4EiN10test_utils4lessEEvPKT2_PS2_T3_
; %bb.0:
	s_load_dwordx4 s[8:11], s[4:5], 0x0
	s_mov_b32 s7, 0
	s_lshl_b32 s6, s6, 10
	v_lshlrev_b32_e32 v1, 4, v0
	s_lshl_b64 s[12:13], s[6:7], 2
	v_mbcnt_lo_u32_b32 v5, -1, 0
	v_lshrrev_b32_e32 v11, 6, v0
	v_lshlrev_b32_e32 v0, 2, v0
	s_mov_b32 s6, exec_lo
	v_lshlrev_b32_e32 v7, 2, v5
	v_lshlrev_b32_e32 v6, 4, v5
	v_mul_u32_u24_e32 v5, 0x404, v11
	v_and_b32_e32 v12, 0x78, v7
	v_and_b32_e32 v10, 4, v7
	v_mad_u32_u24 v6, 0x404, v11, v6
	v_or_b32_e32 v9, 4, v12
	s_waitcnt lgkmcnt(0)
	s_add_u32 s0, s8, s12
	s_addc_u32 s1, s9, s13
	v_add_nc_u32_e32 v8, 8, v12
	global_load_dwordx4 v[1:4], v1, s[0:1]
	v_lshlrev_b32_e32 v19, 2, v12
	v_sub_nc_u32_e32 v20, v9, v12
	; wave barrier
	v_mad_u32_u24 v11, 0x404, v11, v19
	s_waitcnt vmcnt(0)
	v_cmp_lt_i32_e32 vcc_lo, v2, v1
	v_cmp_lt_i32_e64 s1, v4, v3
	v_min_i32_e32 v14, v4, v3
	v_cndmask_b32_e32 v15, v2, v1, vcc_lo
	v_cndmask_b32_e32 v13, v1, v2, vcc_lo
	v_cndmask_b32_e64 v17, v3, v4, s1
	v_cndmask_b32_e64 v16, v4, v3, s1
	v_cmp_lt_i32_e64 s3, v14, v15
	v_min_i32_e32 v18, v14, v15
	v_cndmask_b32_e64 v17, v17, v15, s3
	v_cndmask_b32_e64 v14, v15, v14, s3
	v_cmp_lt_i32_e64 s0, v18, v13
	v_sub_nc_u32_e32 v15, v8, v9
	v_cmp_lt_i32_e64 s2, v16, v17
	v_min_i32_e32 v21, v16, v17
	v_cndmask_b32_e64 v22, v14, v13, s0
	v_cndmask_b32_e64 v18, v13, v18, s0
	v_sub_nc_u32_e32 v13, v10, v15
	v_cndmask_b32_e64 v19, v16, v17, s2
	v_cndmask_b32_e64 v16, v17, v16, s2
	v_cmp_lt_i32_e64 s4, v21, v22
	v_cmp_ge_i32_e64 s5, v10, v15
	v_min_i32_e32 v14, v10, v20
	v_cndmask_b32_e64 v15, v16, v22, s4
	v_cndmask_b32_e64 v13, 0, v13, s5
	;; [unrolled: 1-line block ×3, first 2 shown]
	ds_write2_b32 v6, v15, v19 offset0:2 offset1:3
	ds_write2_b32 v6, v18, v16 offset1:1
	; wave barrier
	v_cmpx_lt_i32_e64 v13, v14
	s_cbranch_execz .LBB41_4
; %bb.1:
	v_lshlrev_b32_e32 v15, 2, v9
	v_lshlrev_b32_e32 v16, 2, v10
	v_add3_u32 v15, v5, v15, v16
	.p2align	6
.LBB41_2:                               ; =>This Inner Loop Header: Depth=1
	v_sub_nc_u32_e32 v16, v14, v13
	v_lshrrev_b32_e32 v16, 1, v16
	v_add_nc_u32_e32 v16, v16, v13
	v_not_b32_e32 v17, v16
	v_lshl_add_u32 v18, v16, 2, v11
	v_add_nc_u32_e32 v19, 1, v16
	v_lshl_add_u32 v17, v17, 2, v15
	ds_read_b32 v18, v18
	ds_read_b32 v17, v17
	s_waitcnt lgkmcnt(0)
	v_cmp_lt_i32_e64 s5, v17, v18
	v_cndmask_b32_e64 v14, v14, v16, s5
	v_cndmask_b32_e64 v13, v19, v13, s5
	v_cmp_ge_i32_e64 s5, v13, v14
	s_or_b32 s7, s5, s7
	s_andn2_b32 exec_lo, exec_lo, s7
	s_cbranch_execnz .LBB41_2
; %bb.3:
	s_or_b32 exec_lo, exec_lo, s7
.LBB41_4:
	s_or_b32 exec_lo, exec_lo, s6
	v_add_nc_u32_e32 v10, v9, v10
	v_lshl_add_u32 v17, v13, 2, v11
	v_add_nc_u32_e32 v16, v13, v12
                                        ; implicit-def: $vgpr12
	v_sub_nc_u32_e32 v14, v10, v13
	v_cmp_le_i32_e64 s5, v9, v16
	v_lshl_add_u32 v15, v14, 2, v5
	v_cmp_gt_i32_e64 s7, v8, v14
	ds_read_b32 v10, v17
	ds_read_b32 v11, v15
	s_waitcnt lgkmcnt(0)
	v_cmp_lt_i32_e64 s6, v11, v10
	s_or_b32 s5, s5, s6
	s_and_b32 s5, s7, s5
	s_xor_b32 s6, s5, -1
	s_and_saveexec_b32 s7, s6
	s_xor_b32 s6, exec_lo, s7
; %bb.5:
	ds_read_b32 v12, v17 offset:4
                                        ; implicit-def: $vgpr15
; %bb.6:
	s_or_saveexec_b32 s6, s6
	v_mov_b32_e32 v13, v11
	s_xor_b32 exec_lo, exec_lo, s6
	s_cbranch_execz .LBB41_8
; %bb.7:
	ds_read_b32 v13, v15 offset:4
	s_waitcnt lgkmcnt(1)
	v_mov_b32_e32 v12, v10
.LBB41_8:
	s_or_b32 exec_lo, exec_lo, s6
	v_add_nc_u32_e32 v15, 1, v16
	v_add_nc_u32_e32 v17, 1, v14
	s_waitcnt lgkmcnt(0)
	v_cmp_lt_i32_e64 s7, v13, v12
	v_cndmask_b32_e64 v18, v15, v16, s5
	v_cndmask_b32_e64 v19, v14, v17, s5
                                        ; implicit-def: $vgpr15
	v_cmp_ge_i32_e64 s6, v18, v9
	v_cmp_lt_i32_e64 s8, v19, v8
	s_or_b32 s6, s6, s7
	s_and_b32 s6, s8, s6
	s_xor_b32 s7, s6, -1
	s_and_saveexec_b32 s8, s7
	s_xor_b32 s7, exec_lo, s8
; %bb.9:
	v_lshl_add_u32 v15, v18, 2, v5
	ds_read_b32 v15, v15 offset:4
; %bb.10:
	s_or_saveexec_b32 s7, s7
	v_mov_b32_e32 v17, v13
	s_xor_b32 exec_lo, exec_lo, s7
	s_cbranch_execz .LBB41_12
; %bb.11:
	s_waitcnt lgkmcnt(0)
	v_lshl_add_u32 v15, v19, 2, v5
	ds_read_b32 v17, v15 offset:4
	v_mov_b32_e32 v15, v12
.LBB41_12:
	s_or_b32 exec_lo, exec_lo, s7
	v_add_nc_u32_e32 v20, 1, v18
	v_add_nc_u32_e32 v22, 1, v19
	s_waitcnt lgkmcnt(0)
	v_cmp_lt_i32_e64 s8, v17, v15
	v_cndmask_b32_e64 v21, v20, v18, s6
	v_cndmask_b32_e64 v22, v19, v22, s6
                                        ; implicit-def: $vgpr20
	v_cmp_ge_i32_e64 s7, v21, v9
	v_cmp_lt_i32_e64 s9, v22, v8
	s_or_b32 s7, s7, s8
	s_and_b32 s7, s9, s7
	s_xor_b32 s8, s7, -1
	s_and_saveexec_b32 s9, s8
	s_xor_b32 s8, exec_lo, s9
; %bb.13:
	v_lshl_add_u32 v20, v21, 2, v5
	ds_read_b32 v20, v20 offset:4
; %bb.14:
	s_or_saveexec_b32 s8, s8
	v_mov_b32_e32 v23, v17
	s_xor_b32 exec_lo, exec_lo, s8
	s_cbranch_execz .LBB41_16
; %bb.15:
	s_waitcnt lgkmcnt(0)
	v_lshl_add_u32 v20, v22, 2, v5
	ds_read_b32 v23, v20 offset:4
	v_mov_b32_e32 v20, v15
.LBB41_16:
	s_or_b32 exec_lo, exec_lo, s8
	v_add_nc_u32_e32 v1, 1, v1
	v_add_nc_u32_e32 v2, 1, v2
	;; [unrolled: 1-line block ×6, first 2 shown]
	v_cndmask_b32_e32 v26, v2, v1, vcc_lo
	v_cndmask_b32_e32 v1, v1, v2, vcc_lo
	v_cndmask_b32_e64 v27, v3, v4, s1
	v_cndmask_b32_e64 v25, v25, v21, s7
	;; [unrolled: 1-line block ×4, first 2 shown]
	s_waitcnt lgkmcnt(0)
	v_cmp_lt_i32_e64 s1, v23, v20
	v_cndmask_b32_e64 v3, v26, v27, s3
	v_cndmask_b32_e64 v4, v27, v26, s3
	v_cmp_ge_i32_e32 vcc_lo, v25, v9
	v_cndmask_b32_e64 v18, v18, v19, s6
	v_cndmask_b32_e64 v14, v16, v14, s5
	;; [unrolled: 1-line block ×5, first 2 shown]
	v_cmp_lt_i32_e64 s0, v24, v8
	s_or_b32 s1, vcc_lo, s1
	v_cndmask_b32_e64 v2, v2, v4, s2
	v_cndmask_b32_e64 v3, v19, v16, s4
	;; [unrolled: 1-line block ×3, first 2 shown]
	s_and_b32 vcc_lo, s0, s1
	v_cndmask_b32_e64 v21, v21, v22, s7
	v_cndmask_b32_e32 v8, v25, v24, vcc_lo
	; wave barrier
	ds_write2_b32 v6, v3, v2 offset0:2 offset1:3
	v_lshl_add_u32 v3, v14, 2, v5
	ds_write2_b32 v6, v1, v4 offset1:1
	v_lshl_add_u32 v4, v18, 2, v5
	v_and_b32_e32 v16, 0x70, v7
	v_lshl_add_u32 v9, v21, 2, v5
	v_lshl_add_u32 v18, v8, 2, v5
	; wave barrier
	ds_read_b32 v3, v3
	ds_read_b32 v8, v4
	;; [unrolled: 1-line block ×4, first 2 shown]
	v_or_b32_e32 v2, 8, v16
	v_add_nc_u32_e32 v1, 16, v16
	v_cndmask_b32_e32 v19, v20, v23, vcc_lo
	v_and_b32_e32 v14, 12, v7
	v_cndmask_b32_e64 v15, v15, v17, s7
	v_sub_nc_u32_e32 v18, v2, v16
	v_sub_nc_u32_e32 v20, v1, v2
	v_cndmask_b32_e64 v13, v12, v13, s6
	v_cndmask_b32_e64 v10, v10, v11, s5
	v_min_i32_e32 v11, v14, v18
	v_sub_nc_u32_e32 v17, v14, v20
	v_cmp_ge_i32_e32 vcc_lo, v14, v20
	; wave barrier
	ds_write2_b32 v6, v10, v13 offset1:1
	v_lshl_add_u32 v10, v16, 2, v5
	s_mov_b32 s1, 0
	v_cndmask_b32_e32 v12, 0, v17, vcc_lo
	s_mov_b32 s0, exec_lo
	ds_write2_b32 v6, v15, v19 offset0:2 offset1:3
	; wave barrier
	v_cmpx_lt_i32_e64 v12, v11
	s_cbranch_execz .LBB41_20
; %bb.17:
	v_lshlrev_b32_e32 v13, 2, v2
	v_lshlrev_b32_e32 v15, 2, v14
	v_add3_u32 v13, v5, v13, v15
	.p2align	6
.LBB41_18:                              ; =>This Inner Loop Header: Depth=1
	v_sub_nc_u32_e32 v15, v11, v12
	v_lshrrev_b32_e32 v15, 1, v15
	v_add_nc_u32_e32 v15, v15, v12
	v_not_b32_e32 v17, v15
	v_lshl_add_u32 v18, v15, 2, v10
	v_add_nc_u32_e32 v19, 1, v15
	v_lshl_add_u32 v17, v17, 2, v13
	ds_read_b32 v18, v18
	ds_read_b32 v17, v17
	s_waitcnt lgkmcnt(0)
	v_cmp_lt_i32_e32 vcc_lo, v17, v18
	v_cndmask_b32_e32 v11, v11, v15, vcc_lo
	v_cndmask_b32_e32 v12, v19, v12, vcc_lo
	v_cmp_ge_i32_e32 vcc_lo, v12, v11
	s_or_b32 s1, vcc_lo, s1
	s_andn2_b32 exec_lo, exec_lo, s1
	s_cbranch_execnz .LBB41_18
; %bb.19:
	s_or_b32 exec_lo, exec_lo, s1
.LBB41_20:
	s_or_b32 exec_lo, exec_lo, s0
	v_add_nc_u32_e32 v11, v2, v14
	v_lshl_add_u32 v13, v12, 2, v10
	v_add_nc_u32_e32 v15, v12, v16
	v_sub_nc_u32_e32 v14, v11, v12
                                        ; implicit-def: $vgpr12
	v_cmp_le_i32_e32 vcc_lo, v2, v15
	v_lshl_add_u32 v17, v14, 2, v5
	v_cmp_gt_i32_e64 s1, v1, v14
	ds_read_b32 v10, v13
	ds_read_b32 v11, v17
	s_waitcnt lgkmcnt(0)
	v_cmp_lt_i32_e64 s0, v11, v10
	s_or_b32 s0, vcc_lo, s0
	s_and_b32 vcc_lo, s1, s0
	s_xor_b32 s0, vcc_lo, -1
	s_and_saveexec_b32 s1, s0
	s_xor_b32 s0, exec_lo, s1
; %bb.21:
	ds_read_b32 v12, v13 offset:4
                                        ; implicit-def: $vgpr17
; %bb.22:
	s_or_saveexec_b32 s0, s0
	v_mov_b32_e32 v13, v11
	s_xor_b32 exec_lo, exec_lo, s0
	s_cbranch_execz .LBB41_24
; %bb.23:
	ds_read_b32 v13, v17 offset:4
	s_waitcnt lgkmcnt(1)
	v_mov_b32_e32 v12, v10
.LBB41_24:
	s_or_b32 exec_lo, exec_lo, s0
	v_add_nc_u32_e32 v16, 1, v15
	v_add_nc_u32_e32 v17, 1, v14
	s_waitcnt lgkmcnt(0)
	v_cmp_lt_i32_e64 s1, v13, v12
	v_cndmask_b32_e32 v18, v16, v15, vcc_lo
	v_cndmask_b32_e32 v19, v14, v17, vcc_lo
                                        ; implicit-def: $vgpr16
	v_cmp_ge_i32_e64 s0, v18, v2
	v_cmp_lt_i32_e64 s2, v19, v1
	s_or_b32 s0, s0, s1
	s_and_b32 s0, s2, s0
	s_xor_b32 s1, s0, -1
	s_and_saveexec_b32 s2, s1
	s_xor_b32 s1, exec_lo, s2
; %bb.25:
	v_lshl_add_u32 v16, v18, 2, v5
	ds_read_b32 v16, v16 offset:4
; %bb.26:
	s_or_saveexec_b32 s1, s1
	v_mov_b32_e32 v17, v13
	s_xor_b32 exec_lo, exec_lo, s1
	s_cbranch_execz .LBB41_28
; %bb.27:
	s_waitcnt lgkmcnt(0)
	v_lshl_add_u32 v16, v19, 2, v5
	ds_read_b32 v17, v16 offset:4
	v_mov_b32_e32 v16, v12
.LBB41_28:
	s_or_b32 exec_lo, exec_lo, s1
	v_add_nc_u32_e32 v20, 1, v18
	v_add_nc_u32_e32 v21, 1, v19
	s_waitcnt lgkmcnt(0)
	v_cmp_lt_i32_e64 s2, v17, v16
	v_cndmask_b32_e64 v23, v20, v18, s0
	v_cndmask_b32_e64 v22, v19, v21, s0
                                        ; implicit-def: $vgpr20
	v_cmp_ge_i32_e64 s1, v23, v2
	v_cmp_lt_i32_e64 s3, v22, v1
	s_or_b32 s1, s1, s2
	s_and_b32 s1, s3, s1
	s_xor_b32 s2, s1, -1
	s_and_saveexec_b32 s3, s2
	s_xor_b32 s2, exec_lo, s3
; %bb.29:
	v_lshl_add_u32 v20, v23, 2, v5
	ds_read_b32 v20, v20 offset:4
; %bb.30:
	s_or_saveexec_b32 s2, s2
	v_mov_b32_e32 v21, v17
	s_xor_b32 exec_lo, exec_lo, s2
	s_cbranch_execz .LBB41_32
; %bb.31:
	s_waitcnt lgkmcnt(0)
	v_lshl_add_u32 v20, v22, 2, v5
	ds_read_b32 v21, v20 offset:4
	v_mov_b32_e32 v20, v16
.LBB41_32:
	s_or_b32 exec_lo, exec_lo, s2
	v_add_nc_u32_e32 v24, 1, v23
	v_add_nc_u32_e32 v25, 1, v22
	v_cndmask_b32_e64 v18, v18, v19, s0
	v_cndmask_b32_e64 v26, v23, v22, s1
	s_waitcnt lgkmcnt(0)
	v_cmp_lt_i32_e64 s2, v21, v20
	v_cndmask_b32_e64 v19, v24, v23, s1
	v_cndmask_b32_e64 v22, v22, v25, s1
	v_cndmask_b32_e32 v14, v15, v14, vcc_lo
	; wave barrier
	v_cmp_ge_i32_e64 s3, v19, v2
	v_cmp_lt_i32_e64 s4, v22, v1
	ds_write2_b32 v6, v3, v8 offset1:1
	ds_write2_b32 v6, v4, v9 offset0:2 offset1:3
	v_lshl_add_u32 v4, v14, 2, v5
	s_or_b32 s2, s3, s2
	v_lshl_add_u32 v8, v18, 2, v5
	s_and_b32 s2, s4, s2
	v_and_b32_e32 v15, 0x60, v7
	v_cndmask_b32_e64 v3, v19, v22, s2
	v_lshl_add_u32 v9, v26, 2, v5
	; wave barrier
	v_or_b32_e32 v2, 16, v15
	v_lshl_add_u32 v18, v3, 2, v5
	v_add_nc_u32_e32 v1, 32, v15
	ds_read_b32 v3, v4
	ds_read_b32 v8, v8
	ds_read_b32 v4, v9
	ds_read_b32 v9, v18
	v_and_b32_e32 v14, 28, v7
	v_cndmask_b32_e64 v16, v16, v17, s1
	v_sub_nc_u32_e32 v18, v2, v15
	v_sub_nc_u32_e32 v19, v1, v2
	v_cndmask_b32_e64 v13, v12, v13, s0
	v_cndmask_b32_e32 v10, v10, v11, vcc_lo
	v_cndmask_b32_e64 v20, v20, v21, s2
	v_min_i32_e32 v11, v14, v18
	v_sub_nc_u32_e32 v17, v14, v19
	v_cmp_ge_i32_e32 vcc_lo, v14, v19
	; wave barrier
	ds_write2_b32 v6, v10, v13 offset1:1
	v_lshl_add_u32 v10, v15, 2, v5
	v_cndmask_b32_e32 v12, 0, v17, vcc_lo
	s_mov_b32 s1, 0
	s_mov_b32 s0, exec_lo
	ds_write2_b32 v6, v16, v20 offset0:2 offset1:3
	; wave barrier
	v_cmpx_lt_i32_e64 v12, v11
	s_cbranch_execz .LBB41_36
; %bb.33:
	v_lshlrev_b32_e32 v13, 2, v2
	v_lshlrev_b32_e32 v16, 2, v14
	v_add3_u32 v13, v5, v13, v16
	.p2align	6
.LBB41_34:                              ; =>This Inner Loop Header: Depth=1
	v_sub_nc_u32_e32 v16, v11, v12
	v_lshrrev_b32_e32 v16, 1, v16
	v_add_nc_u32_e32 v16, v16, v12
	v_not_b32_e32 v17, v16
	v_lshl_add_u32 v18, v16, 2, v10
	v_add_nc_u32_e32 v19, 1, v16
	v_lshl_add_u32 v17, v17, 2, v13
	ds_read_b32 v18, v18
	ds_read_b32 v17, v17
	s_waitcnt lgkmcnt(0)
	v_cmp_lt_i32_e32 vcc_lo, v17, v18
	v_cndmask_b32_e32 v11, v11, v16, vcc_lo
	v_cndmask_b32_e32 v12, v19, v12, vcc_lo
	v_cmp_ge_i32_e32 vcc_lo, v12, v11
	s_or_b32 s1, vcc_lo, s1
	s_andn2_b32 exec_lo, exec_lo, s1
	s_cbranch_execnz .LBB41_34
; %bb.35:
	s_or_b32 exec_lo, exec_lo, s1
.LBB41_36:
	s_or_b32 exec_lo, exec_lo, s0
	v_add_nc_u32_e32 v11, v2, v14
	v_lshl_add_u32 v13, v12, 2, v10
	v_add_nc_u32_e32 v15, v12, v15
	v_sub_nc_u32_e32 v14, v11, v12
                                        ; implicit-def: $vgpr12
	v_cmp_le_i32_e32 vcc_lo, v2, v15
	v_lshl_add_u32 v16, v14, 2, v5
	v_cmp_gt_i32_e64 s1, v1, v14
	ds_read_b32 v10, v13
	ds_read_b32 v11, v16
	s_waitcnt lgkmcnt(0)
	v_cmp_lt_i32_e64 s0, v11, v10
	s_or_b32 s0, vcc_lo, s0
	s_and_b32 vcc_lo, s1, s0
	s_xor_b32 s0, vcc_lo, -1
	s_and_saveexec_b32 s1, s0
	s_xor_b32 s0, exec_lo, s1
; %bb.37:
	ds_read_b32 v12, v13 offset:4
                                        ; implicit-def: $vgpr16
; %bb.38:
	s_or_saveexec_b32 s0, s0
	v_mov_b32_e32 v13, v11
	s_xor_b32 exec_lo, exec_lo, s0
	s_cbranch_execz .LBB41_40
; %bb.39:
	ds_read_b32 v13, v16 offset:4
	s_waitcnt lgkmcnt(1)
	v_mov_b32_e32 v12, v10
.LBB41_40:
	s_or_b32 exec_lo, exec_lo, s0
	v_add_nc_u32_e32 v16, 1, v15
	v_add_nc_u32_e32 v17, 1, v14
	s_waitcnt lgkmcnt(0)
	v_cmp_lt_i32_e64 s1, v13, v12
	v_cndmask_b32_e32 v18, v16, v15, vcc_lo
	v_cndmask_b32_e32 v19, v14, v17, vcc_lo
                                        ; implicit-def: $vgpr16
	v_cmp_ge_i32_e64 s0, v18, v2
	v_cmp_lt_i32_e64 s2, v19, v1
	s_or_b32 s0, s0, s1
	s_and_b32 s0, s2, s0
	s_xor_b32 s1, s0, -1
	s_and_saveexec_b32 s2, s1
	s_xor_b32 s1, exec_lo, s2
; %bb.41:
	v_lshl_add_u32 v16, v18, 2, v5
	ds_read_b32 v16, v16 offset:4
; %bb.42:
	s_or_saveexec_b32 s1, s1
	v_mov_b32_e32 v17, v13
	s_xor_b32 exec_lo, exec_lo, s1
	s_cbranch_execz .LBB41_44
; %bb.43:
	s_waitcnt lgkmcnt(0)
	v_lshl_add_u32 v16, v19, 2, v5
	ds_read_b32 v17, v16 offset:4
	v_mov_b32_e32 v16, v12
.LBB41_44:
	s_or_b32 exec_lo, exec_lo, s1
	v_add_nc_u32_e32 v20, 1, v18
	v_add_nc_u32_e32 v21, 1, v19
	s_waitcnt lgkmcnt(0)
	v_cmp_lt_i32_e64 s2, v17, v16
	v_cndmask_b32_e64 v23, v20, v18, s0
	v_cndmask_b32_e64 v22, v19, v21, s0
                                        ; implicit-def: $vgpr20
	v_cmp_ge_i32_e64 s1, v23, v2
	v_cmp_lt_i32_e64 s3, v22, v1
	s_or_b32 s1, s1, s2
	s_and_b32 s1, s3, s1
	s_xor_b32 s2, s1, -1
	s_and_saveexec_b32 s3, s2
	s_xor_b32 s2, exec_lo, s3
; %bb.45:
	v_lshl_add_u32 v20, v23, 2, v5
	ds_read_b32 v20, v20 offset:4
; %bb.46:
	s_or_saveexec_b32 s2, s2
	v_mov_b32_e32 v21, v17
	s_xor_b32 exec_lo, exec_lo, s2
	s_cbranch_execz .LBB41_48
; %bb.47:
	s_waitcnt lgkmcnt(0)
	v_lshl_add_u32 v20, v22, 2, v5
	ds_read_b32 v21, v20 offset:4
	v_mov_b32_e32 v20, v16
.LBB41_48:
	s_or_b32 exec_lo, exec_lo, s2
	v_add_nc_u32_e32 v24, 1, v23
	v_add_nc_u32_e32 v25, 1, v22
	v_cndmask_b32_e64 v18, v18, v19, s0
	v_cndmask_b32_e64 v26, v23, v22, s1
	s_waitcnt lgkmcnt(0)
	v_cmp_lt_i32_e64 s2, v21, v20
	v_cndmask_b32_e64 v19, v24, v23, s1
	v_cndmask_b32_e64 v22, v22, v25, s1
	v_cndmask_b32_e32 v14, v15, v14, vcc_lo
	; wave barrier
	v_cmp_ge_i32_e64 s3, v19, v2
	v_cmp_lt_i32_e64 s4, v22, v1
	ds_write2_b32 v6, v3, v8 offset1:1
	v_lshl_add_u32 v3, v14, 2, v5
	ds_write2_b32 v6, v4, v9 offset0:2 offset1:3
	s_or_b32 s2, s3, s2
	v_lshl_add_u32 v4, v18, 2, v5
	s_and_b32 s2, s4, s2
	v_and_b32_e32 v15, 64, v7
	v_cndmask_b32_e64 v2, v19, v22, s2
	v_lshl_add_u32 v8, v26, 2, v5
	; wave barrier
	v_or_b32_e32 v9, 32, v15
	v_lshl_add_u32 v18, v2, 2, v5
	v_add_nc_u32_e32 v1, 64, v15
	ds_read_b32 v2, v3
	ds_read_b32 v4, v4
	;; [unrolled: 1-line block ×4, first 2 shown]
	v_and_b32_e32 v14, 60, v7
	v_cndmask_b32_e64 v16, v16, v17, s1
	v_sub_nc_u32_e32 v18, v9, v15
	v_sub_nc_u32_e32 v19, v1, v9
	v_cndmask_b32_e64 v13, v12, v13, s0
	v_cndmask_b32_e32 v10, v10, v11, vcc_lo
	v_cndmask_b32_e64 v20, v20, v21, s2
	v_min_i32_e32 v11, v14, v18
	v_sub_nc_u32_e32 v17, v14, v19
	v_cmp_ge_i32_e32 vcc_lo, v14, v19
	; wave barrier
	ds_write2_b32 v6, v10, v13 offset1:1
	v_lshl_add_u32 v10, v15, 2, v5
	v_cndmask_b32_e32 v12, 0, v17, vcc_lo
	s_mov_b32 s1, 0
	s_mov_b32 s0, exec_lo
	ds_write2_b32 v6, v16, v20 offset0:2 offset1:3
	; wave barrier
	v_cmpx_lt_i32_e64 v12, v11
	s_cbranch_execz .LBB41_52
; %bb.49:
	v_lshlrev_b32_e32 v13, 2, v9
	v_lshlrev_b32_e32 v16, 2, v14
	v_add3_u32 v13, v5, v13, v16
	.p2align	6
.LBB41_50:                              ; =>This Inner Loop Header: Depth=1
	v_sub_nc_u32_e32 v16, v11, v12
	v_lshrrev_b32_e32 v16, 1, v16
	v_add_nc_u32_e32 v16, v16, v12
	v_not_b32_e32 v17, v16
	v_lshl_add_u32 v18, v16, 2, v10
	v_add_nc_u32_e32 v19, 1, v16
	v_lshl_add_u32 v17, v17, 2, v13
	ds_read_b32 v18, v18
	ds_read_b32 v17, v17
	s_waitcnt lgkmcnt(0)
	v_cmp_lt_i32_e32 vcc_lo, v17, v18
	v_cndmask_b32_e32 v11, v11, v16, vcc_lo
	v_cndmask_b32_e32 v12, v19, v12, vcc_lo
	v_cmp_ge_i32_e32 vcc_lo, v12, v11
	s_or_b32 s1, vcc_lo, s1
	s_andn2_b32 exec_lo, exec_lo, s1
	s_cbranch_execnz .LBB41_50
; %bb.51:
	s_or_b32 exec_lo, exec_lo, s1
.LBB41_52:
	s_or_b32 exec_lo, exec_lo, s0
	v_add_nc_u32_e32 v11, v9, v14
	v_lshl_add_u32 v13, v12, 2, v10
	v_add_nc_u32_e32 v15, v12, v15
	v_sub_nc_u32_e32 v14, v11, v12
                                        ; implicit-def: $vgpr12
	v_cmp_le_i32_e32 vcc_lo, v9, v15
	v_lshl_add_u32 v16, v14, 2, v5
	v_cmp_gt_i32_e64 s1, v1, v14
	ds_read_b32 v10, v13
	ds_read_b32 v11, v16
	s_waitcnt lgkmcnt(0)
	v_cmp_lt_i32_e64 s0, v11, v10
	s_or_b32 s0, vcc_lo, s0
	s_and_b32 vcc_lo, s1, s0
	s_xor_b32 s0, vcc_lo, -1
	s_and_saveexec_b32 s1, s0
	s_xor_b32 s0, exec_lo, s1
; %bb.53:
	ds_read_b32 v12, v13 offset:4
                                        ; implicit-def: $vgpr16
; %bb.54:
	s_or_saveexec_b32 s0, s0
	v_mov_b32_e32 v13, v11
	s_xor_b32 exec_lo, exec_lo, s0
	s_cbranch_execz .LBB41_56
; %bb.55:
	ds_read_b32 v13, v16 offset:4
	s_waitcnt lgkmcnt(1)
	v_mov_b32_e32 v12, v10
.LBB41_56:
	s_or_b32 exec_lo, exec_lo, s0
	v_add_nc_u32_e32 v16, 1, v15
	v_add_nc_u32_e32 v17, 1, v14
	s_waitcnt lgkmcnt(0)
	v_cmp_lt_i32_e64 s1, v13, v12
	v_cndmask_b32_e32 v18, v16, v15, vcc_lo
	v_cndmask_b32_e32 v19, v14, v17, vcc_lo
                                        ; implicit-def: $vgpr16
	v_cmp_ge_i32_e64 s0, v18, v9
	v_cmp_lt_i32_e64 s2, v19, v1
	s_or_b32 s0, s0, s1
	s_and_b32 s0, s2, s0
	s_xor_b32 s1, s0, -1
	s_and_saveexec_b32 s2, s1
	s_xor_b32 s1, exec_lo, s2
; %bb.57:
	v_lshl_add_u32 v16, v18, 2, v5
	ds_read_b32 v16, v16 offset:4
; %bb.58:
	s_or_saveexec_b32 s1, s1
	v_mov_b32_e32 v17, v13
	s_xor_b32 exec_lo, exec_lo, s1
	s_cbranch_execz .LBB41_60
; %bb.59:
	s_waitcnt lgkmcnt(0)
	v_lshl_add_u32 v16, v19, 2, v5
	ds_read_b32 v17, v16 offset:4
	v_mov_b32_e32 v16, v12
.LBB41_60:
	s_or_b32 exec_lo, exec_lo, s1
	v_add_nc_u32_e32 v20, 1, v18
	v_add_nc_u32_e32 v21, 1, v19
	s_waitcnt lgkmcnt(0)
	v_cmp_lt_i32_e64 s2, v17, v16
	v_cndmask_b32_e64 v22, v20, v18, s0
	v_cndmask_b32_e64 v21, v19, v21, s0
                                        ; implicit-def: $vgpr20
	v_cmp_ge_i32_e64 s1, v22, v9
	v_cmp_lt_i32_e64 s3, v21, v1
	s_or_b32 s1, s1, s2
	s_and_b32 s1, s3, s1
	s_xor_b32 s2, s1, -1
	s_and_saveexec_b32 s3, s2
	s_xor_b32 s2, exec_lo, s3
; %bb.61:
	v_lshl_add_u32 v20, v22, 2, v5
	ds_read_b32 v20, v20 offset:4
; %bb.62:
	s_or_saveexec_b32 s2, s2
	v_mov_b32_e32 v23, v17
	s_xor_b32 exec_lo, exec_lo, s2
	s_cbranch_execz .LBB41_64
; %bb.63:
	s_waitcnt lgkmcnt(0)
	v_lshl_add_u32 v20, v21, 2, v5
	ds_read_b32 v23, v20 offset:4
	v_mov_b32_e32 v20, v16
.LBB41_64:
	s_or_b32 exec_lo, exec_lo, s2
	v_add_nc_u32_e32 v24, 1, v22
	v_add_nc_u32_e32 v25, 1, v21
	v_cndmask_b32_e64 v26, v22, v21, s1
	v_cndmask_b32_e64 v18, v18, v19, s0
	s_waitcnt lgkmcnt(0)
	v_cmp_lt_i32_e64 s2, v23, v20
	v_cndmask_b32_e64 v22, v24, v22, s1
	v_cndmask_b32_e64 v19, v21, v25, s1
	v_cndmask_b32_e32 v14, v15, v14, vcc_lo
	; wave barrier
	v_cmp_ge_i32_e64 s3, v22, v9
	v_cmp_lt_i32_e64 s4, v19, v1
	ds_write2_b32 v6, v2, v4 offset1:1
	v_lshl_add_u32 v2, v14, 2, v5
	ds_write2_b32 v6, v3, v8 offset0:2 offset1:3
	s_or_b32 s2, s3, s2
	v_lshl_add_u32 v3, v18, 2, v5
	s_and_b32 s2, s4, s2
	v_lshl_add_u32 v8, v26, 2, v5
	v_cndmask_b32_e64 v1, v22, v19, s2
	; wave barrier
	v_cndmask_b32_e64 v12, v12, v13, s0
	v_cndmask_b32_e32 v10, v10, v11, vcc_lo
	v_lshl_add_u32 v9, v1, 2, v5
	v_and_b32_e32 v1, 0x7c, v7
	ds_read_b32 v4, v2
	ds_read_b32 v7, v3
	;; [unrolled: 1-line block ×4, first 2 shown]
	v_cndmask_b32_e64 v15, v20, v23, s2
	v_cndmask_b32_e64 v11, v16, v17, s1
	v_subrev_nc_u32_e32 v8, 64, v1
	v_cmp_lt_i32_e64 s0, 63, v1
	v_min_i32_e32 v9, 64, v1
	; wave barrier
	ds_write2_b32 v6, v10, v12 offset1:1
	ds_write2_b32 v6, v11, v15 offset0:2 offset1:3
	v_cndmask_b32_e64 v8, 0, v8, s0
	s_mov_b32 s0, exec_lo
	; wave barrier
	v_cmpx_lt_i32_e64 v8, v9
	s_cbranch_execz .LBB41_68
; %bb.65:
	v_lshlrev_b32_e32 v10, 2, v1
	s_mov_b32 s1, 0
	v_add3_u32 v10, 0x100, v5, v10
	.p2align	6
.LBB41_66:                              ; =>This Inner Loop Header: Depth=1
	v_sub_nc_u32_e32 v11, v9, v8
	v_lshrrev_b32_e32 v11, 1, v11
	v_add_nc_u32_e32 v11, v11, v8
	v_not_b32_e32 v12, v11
	v_lshl_add_u32 v13, v11, 2, v5
	v_add_nc_u32_e32 v14, 1, v11
	v_lshl_add_u32 v12, v12, 2, v10
	ds_read_b32 v13, v13
	ds_read_b32 v12, v12
	s_waitcnt lgkmcnt(0)
	v_cmp_lt_i32_e32 vcc_lo, v12, v13
	v_cndmask_b32_e32 v9, v9, v11, vcc_lo
	v_cndmask_b32_e32 v8, v14, v8, vcc_lo
	v_cmp_ge_i32_e32 vcc_lo, v8, v9
	s_or_b32 s1, vcc_lo, s1
	s_andn2_b32 exec_lo, exec_lo, s1
	s_cbranch_execnz .LBB41_66
; %bb.67:
	s_or_b32 exec_lo, exec_lo, s1
.LBB41_68:
	s_or_b32 exec_lo, exec_lo, s0
	v_add_nc_u32_e32 v9, 64, v1
	v_lshl_add_u32 v12, v8, 2, v5
	v_cmp_le_i32_e32 vcc_lo, 64, v8
                                        ; implicit-def: $vgpr11
	v_sub_nc_u32_e32 v13, v9, v8
	v_lshl_add_u32 v14, v13, 2, v5
	v_cmp_gt_i32_e64 s1, 0x80, v13
	ds_read_b32 v9, v12
	ds_read_b32 v10, v14
	s_waitcnt lgkmcnt(0)
	v_cmp_lt_i32_e64 s0, v10, v9
	s_or_b32 s0, vcc_lo, s0
	s_and_b32 vcc_lo, s1, s0
	s_xor_b32 s0, vcc_lo, -1
	s_and_saveexec_b32 s1, s0
	s_xor_b32 s0, exec_lo, s1
; %bb.69:
	ds_read_b32 v11, v12 offset:4
                                        ; implicit-def: $vgpr14
; %bb.70:
	s_or_saveexec_b32 s0, s0
	v_mov_b32_e32 v12, v10
	s_xor_b32 exec_lo, exec_lo, s0
	s_cbranch_execz .LBB41_72
; %bb.71:
	ds_read_b32 v12, v14 offset:4
	s_waitcnt lgkmcnt(1)
	v_mov_b32_e32 v11, v9
.LBB41_72:
	s_or_b32 exec_lo, exec_lo, s0
	v_add_nc_u32_e32 v14, 1, v8
	v_add_nc_u32_e32 v15, 1, v13
	s_waitcnt lgkmcnt(0)
	v_cmp_lt_i32_e64 s1, v12, v11
	v_cndmask_b32_e32 v16, v14, v8, vcc_lo
	v_cndmask_b32_e32 v17, v13, v15, vcc_lo
                                        ; implicit-def: $vgpr14
	v_cmp_le_i32_e64 s0, 64, v16
	v_cmp_gt_i32_e64 s2, 0x80, v17
	s_or_b32 s0, s0, s1
	s_and_b32 s0, s2, s0
	s_xor_b32 s1, s0, -1
	s_and_saveexec_b32 s2, s1
	s_xor_b32 s1, exec_lo, s2
; %bb.73:
	v_lshl_add_u32 v14, v16, 2, v5
	ds_read_b32 v14, v14 offset:4
; %bb.74:
	s_or_saveexec_b32 s1, s1
	v_mov_b32_e32 v15, v12
	s_xor_b32 exec_lo, exec_lo, s1
	s_cbranch_execz .LBB41_76
; %bb.75:
	s_waitcnt lgkmcnt(0)
	v_lshl_add_u32 v14, v17, 2, v5
	ds_read_b32 v15, v14 offset:4
	v_mov_b32_e32 v14, v11
.LBB41_76:
	s_or_b32 exec_lo, exec_lo, s1
	v_add_nc_u32_e32 v18, 1, v16
	v_add_nc_u32_e32 v19, 1, v17
	s_waitcnt lgkmcnt(0)
	v_cmp_lt_i32_e64 s2, v15, v14
	v_cndmask_b32_e64 v20, v18, v16, s0
	v_cndmask_b32_e64 v19, v17, v19, s0
                                        ; implicit-def: $vgpr18
	v_cmp_le_i32_e64 s1, 64, v20
	v_cmp_gt_i32_e64 s3, 0x80, v19
	s_or_b32 s1, s1, s2
	s_and_b32 s1, s3, s1
	s_xor_b32 s2, s1, -1
	s_and_saveexec_b32 s3, s2
	s_xor_b32 s2, exec_lo, s3
; %bb.77:
	v_lshl_add_u32 v18, v20, 2, v5
	ds_read_b32 v18, v18 offset:4
; %bb.78:
	s_or_saveexec_b32 s2, s2
	v_mov_b32_e32 v21, v15
	s_xor_b32 exec_lo, exec_lo, s2
	s_cbranch_execz .LBB41_80
; %bb.79:
	s_waitcnt lgkmcnt(0)
	v_lshl_add_u32 v18, v19, 2, v5
	ds_read_b32 v21, v18 offset:4
	v_mov_b32_e32 v18, v14
.LBB41_80:
	s_or_b32 exec_lo, exec_lo, s2
	v_add_nc_u32_e32 v22, 1, v20
	v_add_nc_u32_e32 v23, 1, v19
	s_waitcnt lgkmcnt(0)
	v_cmp_lt_i32_e64 s2, v21, v18
	v_cndmask_b32_e32 v8, v8, v13, vcc_lo
	v_cndmask_b32_e64 v16, v16, v17, s0
	v_cndmask_b32_e64 v22, v22, v20, s1
	v_cndmask_b32_e64 v20, v20, v19, s1
	v_cndmask_b32_e64 v19, v19, v23, s1
	; wave barrier
	v_cmp_le_i32_e64 s3, 64, v22
	ds_write2_b32 v6, v4, v7 offset1:1
	v_cmp_gt_i32_e64 s4, 0x80, v19
	ds_write2_b32 v6, v2, v3 offset0:2 offset1:3
	v_lshl_add_u32 v2, v8, 2, v5
	s_or_b32 s2, s3, s2
	v_lshl_add_u32 v3, v16, 2, v5
	s_and_b32 s2, s4, s2
	v_lshl_add_u32 v7, v20, 2, v5
	v_cndmask_b32_e64 v4, v22, v19, s2
	; wave barrier
	v_cndmask_b32_e64 v11, v11, v12, s0
	v_cmp_lt_i32_e64 s0, 0x7f, v1
	v_lshl_add_u32 v8, v4, 2, v5
	v_cndmask_b32_e32 v9, v9, v10, vcc_lo
	ds_read_b32 v2, v2
	ds_read_b32 v3, v3
	;; [unrolled: 1-line block ×4, first 2 shown]
	v_or_b32_e32 v8, 0xffffff80, v1
	v_cndmask_b32_e64 v13, v18, v21, s2
	v_cndmask_b32_e64 v10, v14, v15, s1
	; wave barrier
	v_cndmask_b32_e64 v8, 0, v8, s0
	s_mov_b32 s0, exec_lo
	ds_write2_b32 v6, v9, v11 offset1:1
	ds_write2_b32 v6, v10, v13 offset0:2 offset1:3
	; wave barrier
	v_cmpx_lt_i32_e64 v8, v1
	s_cbranch_execz .LBB41_84
; %bb.81:
	v_lshlrev_b32_e32 v9, 2, v1
	v_mov_b32_e32 v10, v1
	s_mov_b32 s1, 0
	v_add3_u32 v9, 0x200, v5, v9
	.p2align	6
.LBB41_82:                              ; =>This Inner Loop Header: Depth=1
	v_sub_nc_u32_e32 v11, v10, v8
	v_lshrrev_b32_e32 v11, 1, v11
	v_add_nc_u32_e32 v11, v11, v8
	v_not_b32_e32 v12, v11
	v_lshl_add_u32 v13, v11, 2, v5
	v_add_nc_u32_e32 v14, 1, v11
	v_lshl_add_u32 v12, v12, 2, v9
	ds_read_b32 v13, v13
	ds_read_b32 v12, v12
	s_waitcnt lgkmcnt(0)
	v_cmp_lt_i32_e32 vcc_lo, v12, v13
	v_cndmask_b32_e32 v10, v10, v11, vcc_lo
	v_cndmask_b32_e32 v8, v14, v8, vcc_lo
	v_cmp_ge_i32_e32 vcc_lo, v8, v10
	s_or_b32 s1, vcc_lo, s1
	s_andn2_b32 exec_lo, exec_lo, s1
	s_cbranch_execnz .LBB41_82
; %bb.83:
	s_or_b32 exec_lo, exec_lo, s1
.LBB41_84:
	s_or_b32 exec_lo, exec_lo, s0
	v_add_nc_u32_e32 v1, 0x80, v1
	v_lshl_add_u32 v12, v8, 2, v5
	v_cmp_le_i32_e32 vcc_lo, 0x80, v8
                                        ; implicit-def: $vgpr10
	v_sub_nc_u32_e32 v11, v1, v8
	v_lshl_add_u32 v13, v11, 2, v5
	v_cmp_gt_i32_e64 s1, 0x100, v11
	ds_read_b32 v1, v12
	ds_read_b32 v9, v13
	s_waitcnt lgkmcnt(0)
	v_cmp_lt_i32_e64 s0, v9, v1
	s_or_b32 s0, vcc_lo, s0
	s_and_b32 vcc_lo, s1, s0
	s_xor_b32 s0, vcc_lo, -1
	s_and_saveexec_b32 s1, s0
	s_xor_b32 s0, exec_lo, s1
; %bb.85:
	ds_read_b32 v10, v12 offset:4
                                        ; implicit-def: $vgpr13
; %bb.86:
	s_or_saveexec_b32 s0, s0
	v_mov_b32_e32 v12, v9
	s_xor_b32 exec_lo, exec_lo, s0
	s_cbranch_execz .LBB41_88
; %bb.87:
	ds_read_b32 v12, v13 offset:4
	s_waitcnt lgkmcnt(1)
	v_mov_b32_e32 v10, v1
.LBB41_88:
	s_or_b32 exec_lo, exec_lo, s0
	v_add_nc_u32_e32 v13, 1, v8
	v_add_nc_u32_e32 v14, 1, v11
	s_waitcnt lgkmcnt(0)
	v_cmp_lt_i32_e64 s1, v12, v10
                                        ; implicit-def: $vgpr16
	v_cndmask_b32_e32 v13, v13, v8, vcc_lo
	v_cndmask_b32_e32 v14, v11, v14, vcc_lo
	v_cmp_le_i32_e64 s0, 0x80, v13
	v_cmp_gt_i32_e64 s2, 0x100, v14
	s_or_b32 s0, s0, s1
	s_and_b32 s0, s2, s0
	s_xor_b32 s1, s0, -1
	s_and_saveexec_b32 s2, s1
	s_xor_b32 s1, exec_lo, s2
; %bb.89:
	v_lshl_add_u32 v15, v13, 2, v5
	ds_read_b32 v16, v15 offset:4
; %bb.90:
	s_or_saveexec_b32 s1, s1
	v_mov_b32_e32 v15, v12
	s_xor_b32 exec_lo, exec_lo, s1
	s_cbranch_execz .LBB41_92
; %bb.91:
	v_lshl_add_u32 v15, v14, 2, v5
	s_waitcnt lgkmcnt(0)
	v_mov_b32_e32 v16, v10
	ds_read_b32 v15, v15 offset:4
.LBB41_92:
	s_or_b32 exec_lo, exec_lo, s1
	v_add_nc_u32_e32 v17, 1, v13
	v_add_nc_u32_e32 v18, 1, v14
	s_waitcnt lgkmcnt(0)
	v_cmp_ge_i32_e64 s2, v15, v16
                                        ; implicit-def: $vgpr20
                                        ; implicit-def: $vgpr19
	v_cndmask_b32_e64 v22, v17, v13, s0
	v_cndmask_b32_e64 v17, v14, v18, s0
	v_cmp_gt_i32_e64 s1, 0x80, v22
	v_cmp_le_i32_e64 s3, 0x100, v17
	s_and_b32 s1, s1, s2
	s_or_b32 s1, s3, s1
	s_and_saveexec_b32 s2, s1
	s_xor_b32 s1, exec_lo, s2
; %bb.93:
	v_lshl_add_u32 v18, v22, 2, v5
	v_add_nc_u32_e32 v19, 1, v22
	ds_read_b32 v20, v18 offset:4
; %bb.94:
	s_or_saveexec_b32 s1, s1
	v_mov_b32_e32 v18, v16
	v_mov_b32_e32 v21, v22
	s_xor_b32 exec_lo, exec_lo, s1
	s_cbranch_execz .LBB41_96
; %bb.95:
	v_lshl_add_u32 v18, v17, 2, v5
	s_waitcnt lgkmcnt(0)
	v_add_nc_u32_e32 v20, 1, v17
	v_mov_b32_e32 v21, v17
	v_mov_b32_e32 v19, v22
	ds_read_b32 v23, v18 offset:4
	v_mov_b32_e32 v18, v15
	v_mov_b32_e32 v17, v20
	;; [unrolled: 1-line block ×3, first 2 shown]
	s_waitcnt lgkmcnt(0)
	v_mov_b32_e32 v15, v23
.LBB41_96:
	s_or_b32 exec_lo, exec_lo, s1
	v_cmp_le_i32_e64 s1, 0x80, v19
	s_waitcnt lgkmcnt(0)
	v_cmp_lt_i32_e64 s2, v15, v20
	v_cmp_gt_i32_e64 s3, 0x100, v17
	v_cndmask_b32_e32 v8, v8, v11, vcc_lo
	v_cndmask_b32_e64 v13, v13, v14, s0
	s_or_b32 s1, s1, s2
	; wave barrier
	s_and_b32 s1, s3, s1
	ds_write2_b32 v6, v2, v3 offset1:1
	ds_write2_b32 v6, v4, v7 offset0:2 offset1:3
	v_cndmask_b32_e64 v14, v19, v17, s1
	v_lshl_add_u32 v2, v8, 2, v5
	v_lshl_add_u32 v3, v13, 2, v5
	;; [unrolled: 1-line block ×4, first 2 shown]
	; wave barrier
	ds_read_b32 v2, v2
	ds_read_b32 v3, v3
	ds_read_b32 v4, v4
	ds_read_b32 v5, v5
	v_cndmask_b32_e64 v11, v20, v15, s1
	v_cndmask_b32_e32 v1, v1, v9, vcc_lo
	v_cndmask_b32_e64 v6, v10, v12, s0
	v_lshlrev_b32_e32 v0, 2, v0
	s_add_u32 s0, s10, s12
	s_addc_u32 s1, s11, s13
	s_waitcnt lgkmcnt(3)
	v_add_nc_u32_e32 v1, v2, v1
	s_waitcnt lgkmcnt(2)
	v_add_nc_u32_e32 v2, v3, v6
	;; [unrolled: 2-line block ×4, first 2 shown]
	global_store_dwordx4 v0, v[1:4], s[0:1]
	s_endpgm
	.section	.rodata,"a",@progbits
	.p2align	6, 0x0
	.amdhsa_kernel _Z10sort_pairsILj256ELj64ELj4EiN10test_utils4lessEEvPKT2_PS2_T3_
		.amdhsa_group_segment_fixed_size 4112
		.amdhsa_private_segment_fixed_size 0
		.amdhsa_kernarg_size 20
		.amdhsa_user_sgpr_count 6
		.amdhsa_user_sgpr_private_segment_buffer 1
		.amdhsa_user_sgpr_dispatch_ptr 0
		.amdhsa_user_sgpr_queue_ptr 0
		.amdhsa_user_sgpr_kernarg_segment_ptr 1
		.amdhsa_user_sgpr_dispatch_id 0
		.amdhsa_user_sgpr_flat_scratch_init 0
		.amdhsa_user_sgpr_private_segment_size 0
		.amdhsa_wavefront_size32 1
		.amdhsa_uses_dynamic_stack 0
		.amdhsa_system_sgpr_private_segment_wavefront_offset 0
		.amdhsa_system_sgpr_workgroup_id_x 1
		.amdhsa_system_sgpr_workgroup_id_y 0
		.amdhsa_system_sgpr_workgroup_id_z 0
		.amdhsa_system_sgpr_workgroup_info 0
		.amdhsa_system_vgpr_workitem_id 0
		.amdhsa_next_free_vgpr 28
		.amdhsa_next_free_sgpr 14
		.amdhsa_reserve_vcc 1
		.amdhsa_reserve_flat_scratch 0
		.amdhsa_float_round_mode_32 0
		.amdhsa_float_round_mode_16_64 0
		.amdhsa_float_denorm_mode_32 3
		.amdhsa_float_denorm_mode_16_64 3
		.amdhsa_dx10_clamp 1
		.amdhsa_ieee_mode 1
		.amdhsa_fp16_overflow 0
		.amdhsa_workgroup_processor_mode 1
		.amdhsa_memory_ordered 1
		.amdhsa_forward_progress 1
		.amdhsa_shared_vgpr_count 0
		.amdhsa_exception_fp_ieee_invalid_op 0
		.amdhsa_exception_fp_denorm_src 0
		.amdhsa_exception_fp_ieee_div_zero 0
		.amdhsa_exception_fp_ieee_overflow 0
		.amdhsa_exception_fp_ieee_underflow 0
		.amdhsa_exception_fp_ieee_inexact 0
		.amdhsa_exception_int_div_zero 0
	.end_amdhsa_kernel
	.section	.text._Z10sort_pairsILj256ELj64ELj4EiN10test_utils4lessEEvPKT2_PS2_T3_,"axG",@progbits,_Z10sort_pairsILj256ELj64ELj4EiN10test_utils4lessEEvPKT2_PS2_T3_,comdat
.Lfunc_end41:
	.size	_Z10sort_pairsILj256ELj64ELj4EiN10test_utils4lessEEvPKT2_PS2_T3_, .Lfunc_end41-_Z10sort_pairsILj256ELj64ELj4EiN10test_utils4lessEEvPKT2_PS2_T3_
                                        ; -- End function
	.set _Z10sort_pairsILj256ELj64ELj4EiN10test_utils4lessEEvPKT2_PS2_T3_.num_vgpr, 28
	.set _Z10sort_pairsILj256ELj64ELj4EiN10test_utils4lessEEvPKT2_PS2_T3_.num_agpr, 0
	.set _Z10sort_pairsILj256ELj64ELj4EiN10test_utils4lessEEvPKT2_PS2_T3_.numbered_sgpr, 14
	.set _Z10sort_pairsILj256ELj64ELj4EiN10test_utils4lessEEvPKT2_PS2_T3_.num_named_barrier, 0
	.set _Z10sort_pairsILj256ELj64ELj4EiN10test_utils4lessEEvPKT2_PS2_T3_.private_seg_size, 0
	.set _Z10sort_pairsILj256ELj64ELj4EiN10test_utils4lessEEvPKT2_PS2_T3_.uses_vcc, 1
	.set _Z10sort_pairsILj256ELj64ELj4EiN10test_utils4lessEEvPKT2_PS2_T3_.uses_flat_scratch, 0
	.set _Z10sort_pairsILj256ELj64ELj4EiN10test_utils4lessEEvPKT2_PS2_T3_.has_dyn_sized_stack, 0
	.set _Z10sort_pairsILj256ELj64ELj4EiN10test_utils4lessEEvPKT2_PS2_T3_.has_recursion, 0
	.set _Z10sort_pairsILj256ELj64ELj4EiN10test_utils4lessEEvPKT2_PS2_T3_.has_indirect_call, 0
	.section	.AMDGPU.csdata,"",@progbits
; Kernel info:
; codeLenInByte = 5364
; TotalNumSgprs: 16
; NumVgprs: 28
; ScratchSize: 0
; MemoryBound: 0
; FloatMode: 240
; IeeeMode: 1
; LDSByteSize: 4112 bytes/workgroup (compile time only)
; SGPRBlocks: 0
; VGPRBlocks: 3
; NumSGPRsForWavesPerEU: 16
; NumVGPRsForWavesPerEU: 28
; Occupancy: 16
; WaveLimiterHint : 0
; COMPUTE_PGM_RSRC2:SCRATCH_EN: 0
; COMPUTE_PGM_RSRC2:USER_SGPR: 6
; COMPUTE_PGM_RSRC2:TRAP_HANDLER: 0
; COMPUTE_PGM_RSRC2:TGID_X_EN: 1
; COMPUTE_PGM_RSRC2:TGID_Y_EN: 0
; COMPUTE_PGM_RSRC2:TGID_Z_EN: 0
; COMPUTE_PGM_RSRC2:TIDIG_COMP_CNT: 0
	.section	.text._Z19sort_keys_segmentedILj256ELj64ELj4EiN10test_utils4lessEEvPKT2_PS2_PKjT3_,"axG",@progbits,_Z19sort_keys_segmentedILj256ELj64ELj4EiN10test_utils4lessEEvPKT2_PS2_PKjT3_,comdat
	.protected	_Z19sort_keys_segmentedILj256ELj64ELj4EiN10test_utils4lessEEvPKT2_PS2_PKjT3_ ; -- Begin function _Z19sort_keys_segmentedILj256ELj64ELj4EiN10test_utils4lessEEvPKT2_PS2_PKjT3_
	.globl	_Z19sort_keys_segmentedILj256ELj64ELj4EiN10test_utils4lessEEvPKT2_PS2_PKjT3_
	.p2align	8
	.type	_Z19sort_keys_segmentedILj256ELj64ELj4EiN10test_utils4lessEEvPKT2_PS2_PKjT3_,@function
_Z19sort_keys_segmentedILj256ELj64ELj4EiN10test_utils4lessEEvPKT2_PS2_PKjT3_: ; @_Z19sort_keys_segmentedILj256ELj64ELj4EiN10test_utils4lessEEvPKT2_PS2_PKjT3_
; %bb.0:
	s_clause 0x1
	s_load_dwordx2 s[0:1], s[4:5], 0x10
	s_load_dwordx4 s[8:11], s[4:5], 0x0
	v_lshrrev_b32_e32 v9, 6, v0
	v_mov_b32_e32 v2, 0
	v_lshl_or_b32 v1, s6, 2, v9
	v_mov_b32_e32 v11, v2
	v_mov_b32_e32 v13, v2
	;; [unrolled: 1-line block ×3, first 2 shown]
	v_lshlrev_b64 v[3:4], 2, v[1:2]
	v_lshlrev_b32_e32 v1, 8, v1
	v_lshlrev_b64 v[0:1], 2, v[1:2]
	s_waitcnt lgkmcnt(0)
	v_add_co_u32 v3, vcc_lo, s0, v3
	v_add_co_ci_u32_e64 v4, null, s1, v4, vcc_lo
	global_load_dword v5, v[3:4], off
	v_mbcnt_lo_u32_b32 v3, -1, 0
	v_add_co_u32 v4, vcc_lo, s8, v0
	v_add_co_ci_u32_e64 v6, null, s9, v1, vcc_lo
	v_lshlrev_b32_e32 v7, 2, v3
	v_lshlrev_b32_e32 v3, 4, v3
	v_add_co_u32 v3, vcc_lo, v4, v3
	v_add_co_ci_u32_e64 v4, null, 0, v6, vcc_lo
	s_waitcnt vmcnt(0)
	v_cmp_lt_u32_e32 vcc_lo, v7, v5
	s_and_saveexec_b32 s0, vcc_lo
	s_cbranch_execz .LBB42_2
; %bb.1:
	global_load_dword v11, v[3:4], off
	v_mov_b32_e32 v13, v2
	v_mov_b32_e32 v12, v2
.LBB42_2:
	s_or_b32 exec_lo, exec_lo, s0
	v_or_b32_e32 v6, 1, v7
	v_cmp_lt_u32_e64 s0, v6, v5
	s_and_saveexec_b32 s1, s0
	s_cbranch_execz .LBB42_4
; %bb.3:
	global_load_dword v2, v[3:4], off offset:4
.LBB42_4:
	s_or_b32 exec_lo, exec_lo, s1
	v_or_b32_e32 v8, 2, v7
	v_cmp_lt_u32_e64 s1, v8, v5
	s_and_saveexec_b32 s2, s1
	s_cbranch_execz .LBB42_6
; %bb.5:
	global_load_dword v13, v[3:4], off offset:8
.LBB42_6:
	;; [unrolled: 8-line block ×3, first 2 shown]
	s_or_b32 exec_lo, exec_lo, s3
	v_cmp_lt_i32_e64 s3, v6, v5
	v_cmp_lt_i32_e64 s4, v8, v5
	;; [unrolled: 1-line block ×3, first 2 shown]
	s_brev_b32 s6, -2
	s_or_b32 s3, s4, s3
	s_waitcnt vmcnt(0)
	v_cndmask_b32_e64 v13, 0x7fffffff, v13, s4
	v_cndmask_b32_e64 v2, 0x7fffffff, v2, s3
	s_mov_b32 s4, exec_lo
	v_cmpx_ge_i32_e64 v10, v5
; %bb.9:
	v_cmp_lt_i32_e64 s3, v7, v5
	v_mov_b32_e32 v12, s6
	s_andn2_b32 s5, s5, exec_lo
	s_and_b32 s3, s3, exec_lo
	s_or_b32 s5, s5, s3
; %bb.10:
	s_or_b32 exec_lo, exec_lo, s4
	s_and_saveexec_b32 s6, s5
	s_cbranch_execz .LBB42_14
; %bb.11:
	v_cmp_lt_i32_e64 s3, v12, v13
	v_cmp_lt_i32_e64 s4, v2, v11
	v_max_i32_e32 v4, v2, v11
	v_min_i32_e32 v8, v12, v13
	v_cndmask_b32_e64 v6, v12, v13, s3
	v_cndmask_b32_e64 v3, v11, v2, s4
	;; [unrolled: 1-line block ×4, first 2 shown]
	v_min_i32_e32 v2, v2, v11
	v_max_i32_e32 v13, v12, v13
	v_cmp_lt_i32_e64 s3, v8, v4
	v_min_i32_e32 v12, v8, v4
	v_max_i32_e32 v15, v8, v4
	v_cmp_lt_i32_e64 s4, v8, v2
	v_cmp_gt_i32_e64 s5, v4, v13
	v_cndmask_b32_e64 v10, v10, v4, s3
	v_cndmask_b32_e64 v8, v14, v8, s3
	;; [unrolled: 1-line block ×8, first 2 shown]
	s_mov_b32 s4, exec_lo
	v_cmpx_lt_i32_e64 v4, v3
; %bb.12:
	v_mov_b32_e32 v2, v4
	v_mov_b32_e32 v13, v3
; %bb.13:
	s_or_b32 exec_lo, exec_lo, s4
.LBB42_14:
	s_or_b32 exec_lo, exec_lo, s6
	v_and_b32_e32 v3, 0x78, v7
	v_and_b32_e32 v4, 4, v7
	; wave barrier
	s_mov_b32 s5, 0
	v_min_i32_e32 v14, v5, v3
	v_min_i32_e32 v15, v5, v4
	v_mul_u32_u24_e32 v4, 0x404, v9
	s_mov_b32 s4, exec_lo
	v_add_nc_u32_e32 v3, 4, v14
	v_lshlrev_b32_e32 v19, 2, v14
	v_min_i32_e32 v10, v5, v3
	v_add_nc_u32_e32 v3, 4, v10
	v_sub_nc_u32_e32 v18, v10, v14
	v_min_i32_e32 v8, v5, v3
	v_lshlrev_b32_e32 v3, 2, v7
	v_sub_nc_u32_e32 v16, v8, v10
	v_mad_u32_u24 v6, 0x404, v9, v3
	v_sub_nc_u32_e32 v17, v15, v16
	v_cmp_ge_i32_e64 s3, v15, v16
	ds_write2_b32 v6, v11, v2 offset1:1
	v_mad_u32_u24 v2, 0x404, v9, v19
	ds_write2_b32 v6, v13, v12 offset0:2 offset1:3
	v_cndmask_b32_e64 v16, 0, v17, s3
	v_min_i32_e32 v17, v15, v18
	; wave barrier
	v_cmpx_lt_i32_e64 v16, v17
	s_cbranch_execz .LBB42_18
; %bb.15:
	v_lshlrev_b32_e32 v9, 2, v10
	v_lshlrev_b32_e32 v11, 2, v15
	v_add3_u32 v9, v4, v9, v11
	.p2align	6
.LBB42_16:                              ; =>This Inner Loop Header: Depth=1
	v_sub_nc_u32_e32 v11, v17, v16
	v_lshrrev_b32_e32 v11, 1, v11
	v_add_nc_u32_e32 v11, v11, v16
	v_not_b32_e32 v12, v11
	v_lshl_add_u32 v13, v11, 2, v2
	v_add_nc_u32_e32 v18, 1, v11
	v_lshl_add_u32 v12, v12, 2, v9
	ds_read_b32 v13, v13
	ds_read_b32 v12, v12
	s_waitcnt lgkmcnt(0)
	v_cmp_lt_i32_e64 s3, v12, v13
	v_cndmask_b32_e64 v17, v17, v11, s3
	v_cndmask_b32_e64 v16, v18, v16, s3
	v_cmp_ge_i32_e64 s3, v16, v17
	s_or_b32 s5, s3, s5
	s_andn2_b32 exec_lo, exec_lo, s5
	s_cbranch_execnz .LBB42_16
; %bb.17:
	s_or_b32 exec_lo, exec_lo, s5
.LBB42_18:
	s_or_b32 exec_lo, exec_lo, s4
	v_add_nc_u32_e32 v9, v10, v15
	v_lshl_add_u32 v17, v16, 2, v2
	v_add_nc_u32_e32 v2, v16, v14
                                        ; implicit-def: $vgpr13
	v_sub_nc_u32_e32 v9, v9, v16
	v_cmp_le_i32_e64 s3, v10, v2
	v_lshl_add_u32 v15, v9, 2, v4
	v_cmp_gt_i32_e64 s5, v8, v9
	ds_read_b32 v11, v17
	ds_read_b32 v12, v15
	s_waitcnt lgkmcnt(0)
	v_cmp_lt_i32_e64 s4, v12, v11
	s_or_b32 s3, s3, s4
	s_and_b32 s3, s5, s3
	s_xor_b32 s4, s3, -1
	s_and_saveexec_b32 s5, s4
	s_xor_b32 s4, exec_lo, s5
; %bb.19:
	ds_read_b32 v13, v17 offset:4
                                        ; implicit-def: $vgpr15
; %bb.20:
	s_or_saveexec_b32 s4, s4
	v_mov_b32_e32 v14, v12
	s_xor_b32 exec_lo, exec_lo, s4
	s_cbranch_execz .LBB42_22
; %bb.21:
	ds_read_b32 v14, v15 offset:4
	s_waitcnt lgkmcnt(1)
	v_mov_b32_e32 v13, v11
.LBB42_22:
	s_or_b32 exec_lo, exec_lo, s4
	v_add_nc_u32_e32 v15, 1, v2
	v_add_nc_u32_e32 v16, 1, v9
	s_waitcnt lgkmcnt(0)
	v_cmp_lt_i32_e64 s5, v14, v13
	v_cndmask_b32_e64 v15, v15, v2, s3
	v_cndmask_b32_e64 v2, v9, v16, s3
                                        ; implicit-def: $vgpr9
	v_cmp_ge_i32_e64 s4, v15, v10
	v_cmp_lt_i32_e64 s6, v2, v8
	s_or_b32 s4, s4, s5
	s_and_b32 s4, s6, s4
	s_xor_b32 s5, s4, -1
	s_and_saveexec_b32 s6, s5
	s_xor_b32 s5, exec_lo, s6
; %bb.23:
	v_lshl_add_u32 v9, v15, 2, v4
	ds_read_b32 v9, v9 offset:4
; %bb.24:
	s_or_saveexec_b32 s5, s5
	v_mov_b32_e32 v16, v14
	s_xor_b32 exec_lo, exec_lo, s5
	s_cbranch_execz .LBB42_26
; %bb.25:
	s_waitcnt lgkmcnt(0)
	v_lshl_add_u32 v9, v2, 2, v4
	ds_read_b32 v16, v9 offset:4
	v_mov_b32_e32 v9, v13
.LBB42_26:
	s_or_b32 exec_lo, exec_lo, s5
	v_add_nc_u32_e32 v17, 1, v15
	v_add_nc_u32_e32 v18, 1, v2
	s_waitcnt lgkmcnt(0)
	v_cmp_lt_i32_e64 s6, v16, v9
	v_cndmask_b32_e64 v19, v17, v15, s4
	v_cndmask_b32_e64 v17, v2, v18, s4
                                        ; implicit-def: $vgpr18
	v_cmp_ge_i32_e64 s5, v19, v10
	v_cmp_lt_i32_e64 s7, v17, v8
	s_or_b32 s5, s5, s6
	s_and_b32 s5, s7, s5
	s_xor_b32 s6, s5, -1
	s_and_saveexec_b32 s7, s6
	s_xor_b32 s6, exec_lo, s7
; %bb.27:
	v_lshl_add_u32 v2, v19, 2, v4
	ds_read_b32 v18, v2 offset:4
; %bb.28:
	s_or_saveexec_b32 s6, s6
	v_mov_b32_e32 v20, v16
	s_xor_b32 exec_lo, exec_lo, s6
	s_cbranch_execz .LBB42_30
; %bb.29:
	v_lshl_add_u32 v2, v17, 2, v4
	s_waitcnt lgkmcnt(0)
	v_mov_b32_e32 v18, v9
	ds_read_b32 v20, v2 offset:4
.LBB42_30:
	s_or_b32 exec_lo, exec_lo, s6
	v_and_b32_e32 v2, 0x70, v7
	v_add_nc_u32_e32 v21, 1, v19
	v_cndmask_b32_e64 v23, v9, v16, s5
	v_add_nc_u32_e32 v16, 1, v17
	v_and_b32_e32 v24, 12, v7
	v_min_i32_e32 v15, v5, v2
	v_cndmask_b32_e64 v19, v21, v19, s5
	s_waitcnt lgkmcnt(0)
	v_cmp_lt_i32_e64 s6, v20, v18
	v_cndmask_b32_e64 v17, v17, v16, s5
	v_cndmask_b32_e64 v13, v13, v14, s4
	v_add_nc_u32_e32 v2, 8, v15
	v_cmp_ge_i32_e64 s5, v19, v10
	v_min_i32_e32 v16, v5, v24
	v_cmp_lt_i32_e64 s4, v17, v8
	v_cndmask_b32_e64 v12, v11, v12, s3
	v_min_i32_e32 v2, v5, v2
	s_or_b32 s3, s5, s6
	s_mov_b32 s5, 0
	s_and_b32 s3, s4, s3
	s_mov_b32 s4, exec_lo
	v_add_nc_u32_e32 v22, 8, v2
	v_sub_nc_u32_e32 v11, v2, v15
	v_cndmask_b32_e64 v14, v18, v20, s3
	; wave barrier
	v_min_i32_e32 v9, v5, v22
	v_min_i32_e32 v11, v16, v11
	ds_write2_b32 v6, v12, v13 offset1:1
	ds_write2_b32 v6, v23, v14 offset0:2 offset1:3
	v_sub_nc_u32_e32 v10, v9, v2
	; wave barrier
	v_sub_nc_u32_e32 v8, v16, v10
	v_cmp_ge_i32_e64 s3, v16, v10
	v_lshl_add_u32 v10, v15, 2, v4
	v_cndmask_b32_e64 v8, 0, v8, s3
	v_cmpx_lt_i32_e64 v8, v11
	s_cbranch_execz .LBB42_34
; %bb.31:
	v_lshlrev_b32_e32 v12, 2, v2
	v_lshlrev_b32_e32 v13, 2, v16
	v_add3_u32 v12, v4, v12, v13
	.p2align	6
.LBB42_32:                              ; =>This Inner Loop Header: Depth=1
	v_sub_nc_u32_e32 v13, v11, v8
	v_lshrrev_b32_e32 v13, 1, v13
	v_add_nc_u32_e32 v13, v13, v8
	v_not_b32_e32 v14, v13
	v_lshl_add_u32 v17, v13, 2, v10
	v_add_nc_u32_e32 v18, 1, v13
	v_lshl_add_u32 v14, v14, 2, v12
	ds_read_b32 v17, v17
	ds_read_b32 v14, v14
	s_waitcnt lgkmcnt(0)
	v_cmp_lt_i32_e64 s3, v14, v17
	v_cndmask_b32_e64 v11, v11, v13, s3
	v_cndmask_b32_e64 v8, v18, v8, s3
	v_cmp_ge_i32_e64 s3, v8, v11
	s_or_b32 s5, s3, s5
	s_andn2_b32 exec_lo, exec_lo, s5
	s_cbranch_execnz .LBB42_32
; %bb.33:
	s_or_b32 exec_lo, exec_lo, s5
.LBB42_34:
	s_or_b32 exec_lo, exec_lo, s4
	v_add_nc_u32_e32 v11, v2, v16
	v_lshl_add_u32 v14, v8, 2, v10
                                        ; implicit-def: $vgpr13
	v_sub_nc_u32_e32 v16, v11, v8
	v_add_nc_u32_e32 v8, v8, v15
	v_lshl_add_u32 v10, v16, 2, v4
	v_cmp_le_i32_e64 s3, v2, v8
	v_cmp_gt_i32_e64 s5, v9, v16
	ds_read_b32 v11, v14
	ds_read_b32 v12, v10
	s_waitcnt lgkmcnt(0)
	v_cmp_lt_i32_e64 s4, v12, v11
	s_or_b32 s3, s3, s4
	s_and_b32 s3, s5, s3
	s_xor_b32 s4, s3, -1
	s_and_saveexec_b32 s5, s4
	s_xor_b32 s4, exec_lo, s5
; %bb.35:
	ds_read_b32 v13, v14 offset:4
                                        ; implicit-def: $vgpr10
; %bb.36:
	s_or_saveexec_b32 s4, s4
	v_mov_b32_e32 v14, v12
	s_xor_b32 exec_lo, exec_lo, s4
	s_cbranch_execz .LBB42_38
; %bb.37:
	ds_read_b32 v14, v10 offset:4
	s_waitcnt lgkmcnt(1)
	v_mov_b32_e32 v13, v11
.LBB42_38:
	s_or_b32 exec_lo, exec_lo, s4
	v_add_nc_u32_e32 v10, 1, v8
	v_add_nc_u32_e32 v17, 1, v16
	s_waitcnt lgkmcnt(0)
	v_cmp_lt_i32_e64 s5, v14, v13
	v_cndmask_b32_e64 v15, v10, v8, s3
	v_cndmask_b32_e64 v8, v16, v17, s3
                                        ; implicit-def: $vgpr10
	v_cmp_ge_i32_e64 s4, v15, v2
	v_cmp_lt_i32_e64 s6, v8, v9
	s_or_b32 s4, s4, s5
	s_and_b32 s4, s6, s4
	s_xor_b32 s5, s4, -1
	s_and_saveexec_b32 s6, s5
	s_xor_b32 s5, exec_lo, s6
; %bb.39:
	v_lshl_add_u32 v10, v15, 2, v4
	ds_read_b32 v10, v10 offset:4
; %bb.40:
	s_or_saveexec_b32 s5, s5
	v_mov_b32_e32 v16, v14
	s_xor_b32 exec_lo, exec_lo, s5
	s_cbranch_execz .LBB42_42
; %bb.41:
	s_waitcnt lgkmcnt(0)
	v_lshl_add_u32 v10, v8, 2, v4
	ds_read_b32 v16, v10 offset:4
	v_mov_b32_e32 v10, v13
.LBB42_42:
	s_or_b32 exec_lo, exec_lo, s5
	v_add_nc_u32_e32 v17, 1, v15
	v_add_nc_u32_e32 v18, 1, v8
	s_waitcnt lgkmcnt(0)
	v_cmp_lt_i32_e64 s6, v16, v10
	v_cndmask_b32_e64 v19, v17, v15, s4
	v_cndmask_b32_e64 v17, v8, v18, s4
                                        ; implicit-def: $vgpr18
	v_cmp_ge_i32_e64 s5, v19, v2
	v_cmp_lt_i32_e64 s7, v17, v9
	s_or_b32 s5, s5, s6
	s_and_b32 s5, s7, s5
	s_xor_b32 s6, s5, -1
	s_and_saveexec_b32 s7, s6
	s_xor_b32 s6, exec_lo, s7
; %bb.43:
	v_lshl_add_u32 v8, v19, 2, v4
	ds_read_b32 v18, v8 offset:4
; %bb.44:
	s_or_saveexec_b32 s6, s6
	v_mov_b32_e32 v20, v16
	s_xor_b32 exec_lo, exec_lo, s6
	s_cbranch_execz .LBB42_46
; %bb.45:
	v_lshl_add_u32 v8, v17, 2, v4
	s_waitcnt lgkmcnt(0)
	v_mov_b32_e32 v18, v10
	ds_read_b32 v20, v8 offset:4
.LBB42_46:
	s_or_b32 exec_lo, exec_lo, s6
	v_and_b32_e32 v8, 0x60, v7
	v_add_nc_u32_e32 v21, 1, v19
	v_cndmask_b32_e64 v23, v10, v16, s5
	v_add_nc_u32_e32 v16, 1, v17
	v_and_b32_e32 v24, 28, v7
	v_min_i32_e32 v15, v5, v8
	v_cndmask_b32_e64 v19, v21, v19, s5
	s_waitcnt lgkmcnt(0)
	v_cmp_lt_i32_e64 s6, v20, v18
	v_cndmask_b32_e64 v17, v17, v16, s5
	v_cndmask_b32_e64 v13, v13, v14, s4
	v_add_nc_u32_e32 v8, 16, v15
	v_cmp_ge_i32_e64 s5, v19, v2
	v_min_i32_e32 v16, v5, v24
	v_cmp_lt_i32_e64 s4, v17, v9
	v_cndmask_b32_e64 v12, v11, v12, s3
	v_min_i32_e32 v8, v5, v8
	s_or_b32 s3, s5, s6
	s_mov_b32 s5, 0
	s_and_b32 s3, s4, s3
	s_mov_b32 s4, exec_lo
	v_add_nc_u32_e32 v22, 16, v8
	v_sub_nc_u32_e32 v11, v8, v15
	v_cndmask_b32_e64 v14, v18, v20, s3
	; wave barrier
	v_min_i32_e32 v10, v5, v22
	v_min_i32_e32 v11, v16, v11
	ds_write2_b32 v6, v12, v13 offset1:1
	ds_write2_b32 v6, v23, v14 offset0:2 offset1:3
	v_sub_nc_u32_e32 v2, v10, v8
	; wave barrier
	v_sub_nc_u32_e32 v9, v16, v2
	v_cmp_ge_i32_e64 s3, v16, v2
	v_lshl_add_u32 v2, v15, 2, v4
	v_cndmask_b32_e64 v9, 0, v9, s3
	v_cmpx_lt_i32_e64 v9, v11
	s_cbranch_execz .LBB42_50
; %bb.47:
	v_lshlrev_b32_e32 v12, 2, v8
	v_lshlrev_b32_e32 v13, 2, v16
	v_add3_u32 v12, v4, v12, v13
	.p2align	6
.LBB42_48:                              ; =>This Inner Loop Header: Depth=1
	v_sub_nc_u32_e32 v13, v11, v9
	v_lshrrev_b32_e32 v13, 1, v13
	v_add_nc_u32_e32 v13, v13, v9
	v_not_b32_e32 v14, v13
	v_lshl_add_u32 v17, v13, 2, v2
	v_add_nc_u32_e32 v18, 1, v13
	v_lshl_add_u32 v14, v14, 2, v12
	ds_read_b32 v17, v17
	ds_read_b32 v14, v14
	s_waitcnt lgkmcnt(0)
	v_cmp_lt_i32_e64 s3, v14, v17
	v_cndmask_b32_e64 v11, v11, v13, s3
	v_cndmask_b32_e64 v9, v18, v9, s3
	v_cmp_ge_i32_e64 s3, v9, v11
	s_or_b32 s5, s3, s5
	s_andn2_b32 exec_lo, exec_lo, s5
	s_cbranch_execnz .LBB42_48
; %bb.49:
	s_or_b32 exec_lo, exec_lo, s5
.LBB42_50:
	s_or_b32 exec_lo, exec_lo, s4
	v_add_nc_u32_e32 v11, v8, v16
	v_lshl_add_u32 v14, v9, 2, v2
                                        ; implicit-def: $vgpr13
	v_sub_nc_u32_e32 v11, v11, v9
	v_add_nc_u32_e32 v9, v9, v15
	v_lshl_add_u32 v16, v11, 2, v4
	v_cmp_le_i32_e64 s3, v8, v9
	v_cmp_gt_i32_e64 s5, v10, v11
	ds_read_b32 v2, v14
	ds_read_b32 v12, v16
	s_waitcnt lgkmcnt(0)
	v_cmp_lt_i32_e64 s4, v12, v2
	s_or_b32 s3, s3, s4
	s_and_b32 s3, s5, s3
	s_xor_b32 s4, s3, -1
	s_and_saveexec_b32 s5, s4
	s_xor_b32 s4, exec_lo, s5
; %bb.51:
	ds_read_b32 v13, v14 offset:4
                                        ; implicit-def: $vgpr16
; %bb.52:
	s_or_saveexec_b32 s4, s4
	v_mov_b32_e32 v14, v12
	s_xor_b32 exec_lo, exec_lo, s4
	s_cbranch_execz .LBB42_54
; %bb.53:
	ds_read_b32 v14, v16 offset:4
	s_waitcnt lgkmcnt(1)
	v_mov_b32_e32 v13, v2
.LBB42_54:
	s_or_b32 exec_lo, exec_lo, s4
	v_add_nc_u32_e32 v15, 1, v9
	v_add_nc_u32_e32 v16, 1, v11
	s_waitcnt lgkmcnt(0)
	v_cmp_lt_i32_e64 s5, v14, v13
	v_cndmask_b32_e64 v15, v15, v9, s3
	v_cndmask_b32_e64 v9, v11, v16, s3
                                        ; implicit-def: $vgpr11
	v_cmp_ge_i32_e64 s4, v15, v8
	v_cmp_lt_i32_e64 s6, v9, v10
	s_or_b32 s4, s4, s5
	s_and_b32 s4, s6, s4
	s_xor_b32 s5, s4, -1
	s_and_saveexec_b32 s6, s5
	s_xor_b32 s5, exec_lo, s6
; %bb.55:
	v_lshl_add_u32 v11, v15, 2, v4
	ds_read_b32 v11, v11 offset:4
; %bb.56:
	s_or_saveexec_b32 s5, s5
	v_mov_b32_e32 v16, v14
	s_xor_b32 exec_lo, exec_lo, s5
	s_cbranch_execz .LBB42_58
; %bb.57:
	s_waitcnt lgkmcnt(0)
	v_lshl_add_u32 v11, v9, 2, v4
	ds_read_b32 v16, v11 offset:4
	v_mov_b32_e32 v11, v13
.LBB42_58:
	s_or_b32 exec_lo, exec_lo, s5
	v_add_nc_u32_e32 v17, 1, v15
	v_add_nc_u32_e32 v18, 1, v9
	s_waitcnt lgkmcnt(0)
	v_cmp_lt_i32_e64 s6, v16, v11
	v_cndmask_b32_e64 v19, v17, v15, s4
	v_cndmask_b32_e64 v17, v9, v18, s4
                                        ; implicit-def: $vgpr18
	v_cmp_ge_i32_e64 s5, v19, v8
	v_cmp_lt_i32_e64 s7, v17, v10
	s_or_b32 s5, s5, s6
	s_and_b32 s5, s7, s5
	s_xor_b32 s6, s5, -1
	s_and_saveexec_b32 s7, s6
	s_xor_b32 s6, exec_lo, s7
; %bb.59:
	v_lshl_add_u32 v9, v19, 2, v4
	ds_read_b32 v18, v9 offset:4
; %bb.60:
	s_or_saveexec_b32 s6, s6
	v_mov_b32_e32 v20, v16
	s_xor_b32 exec_lo, exec_lo, s6
	s_cbranch_execz .LBB42_62
; %bb.61:
	v_lshl_add_u32 v9, v17, 2, v4
	s_waitcnt lgkmcnt(0)
	v_mov_b32_e32 v18, v11
	ds_read_b32 v20, v9 offset:4
.LBB42_62:
	s_or_b32 exec_lo, exec_lo, s6
	v_and_b32_e32 v9, 64, v7
	v_add_nc_u32_e32 v21, 1, v19
	v_cndmask_b32_e64 v23, v11, v16, s5
	v_add_nc_u32_e32 v16, 1, v17
	v_and_b32_e32 v24, 60, v7
	v_min_i32_e32 v15, v5, v9
	v_cndmask_b32_e64 v19, v21, v19, s5
	s_waitcnt lgkmcnt(0)
	v_cmp_lt_i32_e64 s6, v20, v18
	v_cndmask_b32_e64 v17, v17, v16, s5
	v_cndmask_b32_e64 v13, v13, v14, s4
	v_add_nc_u32_e32 v9, 32, v15
	v_cmp_ge_i32_e64 s5, v19, v8
	v_min_i32_e32 v16, v5, v24
	v_cmp_lt_i32_e64 s4, v17, v10
	v_cndmask_b32_e64 v12, v2, v12, s3
	v_min_i32_e32 v9, v5, v9
	s_or_b32 s3, s5, s6
	s_mov_b32 s5, 0
	s_and_b32 s3, s4, s3
	s_mov_b32 s4, exec_lo
	v_add_nc_u32_e32 v22, 32, v9
	v_sub_nc_u32_e32 v10, v9, v15
	v_cndmask_b32_e64 v14, v18, v20, s3
	; wave barrier
	v_min_i32_e32 v11, v5, v22
	v_min_i32_e32 v10, v16, v10
	ds_write2_b32 v6, v12, v13 offset1:1
	ds_write2_b32 v6, v23, v14 offset0:2 offset1:3
	v_sub_nc_u32_e32 v8, v11, v9
	; wave barrier
	v_sub_nc_u32_e32 v2, v16, v8
	v_cmp_ge_i32_e64 s3, v16, v8
	v_lshl_add_u32 v8, v15, 2, v4
	v_cndmask_b32_e64 v2, 0, v2, s3
	v_cmpx_lt_i32_e64 v2, v10
	s_cbranch_execz .LBB42_66
; %bb.63:
	v_lshlrev_b32_e32 v12, 2, v9
	v_lshlrev_b32_e32 v13, 2, v16
	v_add3_u32 v12, v4, v12, v13
	.p2align	6
.LBB42_64:                              ; =>This Inner Loop Header: Depth=1
	v_sub_nc_u32_e32 v13, v10, v2
	v_lshrrev_b32_e32 v13, 1, v13
	v_add_nc_u32_e32 v13, v13, v2
	v_not_b32_e32 v14, v13
	v_lshl_add_u32 v17, v13, 2, v8
	v_add_nc_u32_e32 v18, 1, v13
	v_lshl_add_u32 v14, v14, 2, v12
	ds_read_b32 v17, v17
	ds_read_b32 v14, v14
	s_waitcnt lgkmcnt(0)
	v_cmp_lt_i32_e64 s3, v14, v17
	v_cndmask_b32_e64 v10, v10, v13, s3
	v_cndmask_b32_e64 v2, v18, v2, s3
	v_cmp_ge_i32_e64 s3, v2, v10
	s_or_b32 s5, s3, s5
	s_andn2_b32 exec_lo, exec_lo, s5
	s_cbranch_execnz .LBB42_64
; %bb.65:
	s_or_b32 exec_lo, exec_lo, s5
.LBB42_66:
	s_or_b32 exec_lo, exec_lo, s4
	v_add_nc_u32_e32 v10, v9, v16
	v_lshl_add_u32 v16, v2, 2, v8
                                        ; implicit-def: $vgpr14
	v_sub_nc_u32_e32 v10, v10, v2
	v_add_nc_u32_e32 v2, v2, v15
	v_lshl_add_u32 v12, v10, 2, v4
	v_cmp_le_i32_e64 s3, v9, v2
	v_cmp_gt_i32_e64 s5, v11, v10
	ds_read_b32 v8, v16
	ds_read_b32 v13, v12
	s_waitcnt lgkmcnt(0)
	v_cmp_lt_i32_e64 s4, v13, v8
	s_or_b32 s3, s3, s4
	s_and_b32 s3, s5, s3
	s_xor_b32 s4, s3, -1
	s_and_saveexec_b32 s5, s4
	s_xor_b32 s4, exec_lo, s5
; %bb.67:
	ds_read_b32 v14, v16 offset:4
                                        ; implicit-def: $vgpr12
; %bb.68:
	s_or_saveexec_b32 s4, s4
	v_mov_b32_e32 v15, v13
	s_xor_b32 exec_lo, exec_lo, s4
	s_cbranch_execz .LBB42_70
; %bb.69:
	ds_read_b32 v15, v12 offset:4
	s_waitcnt lgkmcnt(1)
	v_mov_b32_e32 v14, v8
.LBB42_70:
	s_or_b32 exec_lo, exec_lo, s4
	v_add_nc_u32_e32 v12, 1, v2
	v_add_nc_u32_e32 v16, 1, v10
	s_waitcnt lgkmcnt(0)
	v_cmp_lt_i32_e64 s5, v15, v14
	v_cndmask_b32_e64 v17, v12, v2, s3
	v_cndmask_b32_e64 v2, v10, v16, s3
                                        ; implicit-def: $vgpr12
	v_cmp_ge_i32_e64 s4, v17, v9
	v_cmp_lt_i32_e64 s6, v2, v11
	s_or_b32 s4, s4, s5
	s_and_b32 s4, s6, s4
	s_xor_b32 s5, s4, -1
	s_and_saveexec_b32 s6, s5
	s_xor_b32 s5, exec_lo, s6
; %bb.71:
	v_lshl_add_u32 v10, v17, 2, v4
	ds_read_b32 v12, v10 offset:4
; %bb.72:
	s_or_saveexec_b32 s5, s5
	v_mov_b32_e32 v16, v15
	s_xor_b32 exec_lo, exec_lo, s5
	s_cbranch_execz .LBB42_74
; %bb.73:
	v_lshl_add_u32 v10, v2, 2, v4
	s_waitcnt lgkmcnt(0)
	v_mov_b32_e32 v12, v14
	ds_read_b32 v16, v10 offset:4
.LBB42_74:
	s_or_b32 exec_lo, exec_lo, s5
	v_add_nc_u32_e32 v10, 1, v17
	v_add_nc_u32_e32 v18, 1, v2
	s_waitcnt lgkmcnt(0)
	v_cmp_lt_i32_e64 s6, v16, v12
	v_cndmask_b32_e64 v19, v10, v17, s4
	v_cndmask_b32_e64 v17, v2, v18, s4
                                        ; implicit-def: $vgpr18
	v_cmp_ge_i32_e64 s5, v19, v9
	v_cmp_lt_i32_e64 s7, v17, v11
	s_or_b32 s5, s5, s6
	s_and_b32 s5, s7, s5
	s_xor_b32 s6, s5, -1
	s_and_saveexec_b32 s7, s6
	s_xor_b32 s6, exec_lo, s7
; %bb.75:
	v_lshl_add_u32 v2, v19, 2, v4
	ds_read_b32 v18, v2 offset:4
; %bb.76:
	s_or_saveexec_b32 s6, s6
	v_mov_b32_e32 v20, v16
	s_xor_b32 exec_lo, exec_lo, s6
	s_cbranch_execz .LBB42_78
; %bb.77:
	v_lshl_add_u32 v2, v17, 2, v4
	s_waitcnt lgkmcnt(0)
	v_mov_b32_e32 v18, v12
	ds_read_b32 v20, v2 offset:4
.LBB42_78:
	s_or_b32 exec_lo, exec_lo, s6
	v_min_i32_e32 v2, 0, v5
	v_add_nc_u32_e32 v21, 1, v19
	v_add_nc_u32_e32 v23, 1, v17
	v_cndmask_b32_e64 v16, v12, v16, s5
	v_and_b32_e32 v7, 0x7c, v7
	v_add_nc_u32_e32 v10, 64, v2
	v_cndmask_b32_e64 v19, v21, v19, s5
	v_cndmask_b32_e64 v17, v17, v23, s5
	s_waitcnt lgkmcnt(0)
	v_cmp_lt_i32_e64 s6, v20, v18
	v_cndmask_b32_e64 v14, v14, v15, s4
	v_min_i32_e32 v10, v5, v10
	v_cmp_ge_i32_e64 s5, v19, v9
	v_cmp_lt_i32_e64 s4, v17, v11
	v_min_i32_e32 v7, v5, v7
	v_cndmask_b32_e64 v8, v8, v13, s3
	v_add_nc_u32_e32 v22, 64, v10
	s_or_b32 s3, s5, s6
	v_sub_nc_u32_e32 v13, v10, v2
	s_and_b32 s3, s4, s3
	v_min_i32_e32 v12, v5, v22
	v_cndmask_b32_e64 v15, v18, v20, s3
	; wave barrier
	ds_write2_b32 v6, v8, v14 offset1:1
	v_lshl_add_u32 v8, v2, 2, v4
	v_sub_nc_u32_e32 v9, v12, v10
	s_mov_b32 s5, 0
	s_mov_b32 s4, exec_lo
	ds_write2_b32 v6, v16, v15 offset0:2 offset1:3
	v_sub_nc_u32_e32 v11, v7, v9
	v_cmp_ge_i32_e64 s3, v7, v9
	; wave barrier
	v_cndmask_b32_e64 v9, 0, v11, s3
	v_min_i32_e32 v11, v7, v13
	v_cmpx_lt_i32_e64 v9, v11
	s_cbranch_execz .LBB42_82
; %bb.79:
	v_lshlrev_b32_e32 v13, 2, v10
	v_lshlrev_b32_e32 v14, 2, v7
	v_add3_u32 v13, v4, v13, v14
	.p2align	6
.LBB42_80:                              ; =>This Inner Loop Header: Depth=1
	v_sub_nc_u32_e32 v14, v11, v9
	v_lshrrev_b32_e32 v14, 1, v14
	v_add_nc_u32_e32 v14, v14, v9
	v_not_b32_e32 v15, v14
	v_lshl_add_u32 v16, v14, 2, v8
	v_add_nc_u32_e32 v17, 1, v14
	v_lshl_add_u32 v15, v15, 2, v13
	ds_read_b32 v16, v16
	ds_read_b32 v15, v15
	s_waitcnt lgkmcnt(0)
	v_cmp_lt_i32_e64 s3, v15, v16
	v_cndmask_b32_e64 v11, v11, v14, s3
	v_cndmask_b32_e64 v9, v17, v9, s3
	v_cmp_ge_i32_e64 s3, v9, v11
	s_or_b32 s5, s3, s5
	s_andn2_b32 exec_lo, exec_lo, s5
	s_cbranch_execnz .LBB42_80
; %bb.81:
	s_or_b32 exec_lo, exec_lo, s5
.LBB42_82:
	s_or_b32 exec_lo, exec_lo, s4
	v_add_nc_u32_e32 v11, v10, v7
	v_lshl_add_u32 v15, v9, 2, v8
                                        ; implicit-def: $vgpr14
	v_sub_nc_u32_e32 v16, v11, v9
	v_add_nc_u32_e32 v9, v9, v2
	v_lshl_add_u32 v17, v16, 2, v4
	v_cmp_le_i32_e64 s3, v10, v9
	v_cmp_gt_i32_e64 s5, v12, v16
	ds_read_b32 v11, v15
	ds_read_b32 v13, v17
	s_waitcnt lgkmcnt(0)
	v_cmp_lt_i32_e64 s4, v13, v11
	s_or_b32 s3, s3, s4
	s_and_b32 s3, s5, s3
	s_xor_b32 s4, s3, -1
	s_and_saveexec_b32 s5, s4
	s_xor_b32 s4, exec_lo, s5
; %bb.83:
	ds_read_b32 v14, v15 offset:4
                                        ; implicit-def: $vgpr17
; %bb.84:
	s_or_saveexec_b32 s4, s4
	v_mov_b32_e32 v15, v13
	s_xor_b32 exec_lo, exec_lo, s4
	s_cbranch_execz .LBB42_86
; %bb.85:
	ds_read_b32 v15, v17 offset:4
	s_waitcnt lgkmcnt(1)
	v_mov_b32_e32 v14, v11
.LBB42_86:
	s_or_b32 exec_lo, exec_lo, s4
	v_add_nc_u32_e32 v17, 1, v9
	v_add_nc_u32_e32 v19, 1, v16
	s_waitcnt lgkmcnt(0)
	v_cmp_lt_i32_e64 s5, v15, v14
	v_cndmask_b32_e64 v18, v17, v9, s3
	v_cndmask_b32_e64 v9, v16, v19, s3
                                        ; implicit-def: $vgpr16
	v_cmp_ge_i32_e64 s4, v18, v10
	v_cmp_lt_i32_e64 s6, v9, v12
	s_or_b32 s4, s4, s5
	s_and_b32 s4, s6, s4
	s_xor_b32 s5, s4, -1
	s_and_saveexec_b32 s6, s5
	s_xor_b32 s5, exec_lo, s6
; %bb.87:
	v_lshl_add_u32 v16, v18, 2, v4
	ds_read_b32 v16, v16 offset:4
; %bb.88:
	s_or_saveexec_b32 s5, s5
	v_mov_b32_e32 v17, v15
	s_xor_b32 exec_lo, exec_lo, s5
	s_cbranch_execz .LBB42_90
; %bb.89:
	s_waitcnt lgkmcnt(0)
	v_lshl_add_u32 v16, v9, 2, v4
	ds_read_b32 v17, v16 offset:4
	v_mov_b32_e32 v16, v14
.LBB42_90:
	s_or_b32 exec_lo, exec_lo, s5
	v_add_nc_u32_e32 v19, 1, v18
	v_add_nc_u32_e32 v21, 1, v9
	s_waitcnt lgkmcnt(0)
	v_cmp_lt_i32_e64 s6, v17, v16
	v_cndmask_b32_e64 v20, v19, v18, s4
	v_cndmask_b32_e64 v18, v9, v21, s4
                                        ; implicit-def: $vgpr19
	v_cmp_ge_i32_e64 s5, v20, v10
	v_cmp_lt_i32_e64 s7, v18, v12
	s_or_b32 s5, s5, s6
	s_and_b32 s5, s7, s5
	s_xor_b32 s6, s5, -1
	s_and_saveexec_b32 s7, s6
	s_xor_b32 s6, exec_lo, s7
; %bb.91:
	v_lshl_add_u32 v9, v20, 2, v4
	ds_read_b32 v19, v9 offset:4
; %bb.92:
	s_or_saveexec_b32 s6, s6
	v_mov_b32_e32 v21, v17
	s_xor_b32 exec_lo, exec_lo, s6
	s_cbranch_execz .LBB42_94
; %bb.93:
	v_lshl_add_u32 v9, v18, 2, v4
	s_waitcnt lgkmcnt(0)
	v_mov_b32_e32 v19, v16
	ds_read_b32 v21, v9 offset:4
.LBB42_94:
	s_or_b32 exec_lo, exec_lo, s6
	v_add_nc_u32_e32 v9, 0x80, v2
	v_add_nc_u32_e32 v23, 1, v20
	v_cndmask_b32_e64 v16, v16, v17, s5
	v_add_nc_u32_e32 v17, 1, v18
	v_cndmask_b32_e64 v14, v14, v15, s4
	v_min_i32_e32 v9, v5, v9
	v_cndmask_b32_e64 v20, v23, v20, s5
	s_waitcnt lgkmcnt(0)
	v_cmp_lt_i32_e64 s4, v21, v19
	v_cndmask_b32_e64 v17, v18, v17, s5
	v_cndmask_b32_e64 v13, v11, v13, s3
	v_add_nc_u32_e32 v22, 0x80, v9
	v_cmp_ge_i32_e64 s5, v20, v10
	v_sub_nc_u32_e32 v10, v9, v2
	v_cmp_lt_i32_e64 s3, v17, v12
	v_min_i32_e32 v5, v5, v22
	s_or_b32 s5, s5, s4
	v_min_i32_e32 v11, v7, v10
	s_and_b32 s3, s3, s5
	s_mov_b32 s5, 0
	v_sub_nc_u32_e32 v15, v5, v9
	v_cndmask_b32_e64 v12, v19, v21, s3
	; wave barrier
	ds_write2_b32 v6, v13, v14 offset1:1
	ds_write2_b32 v6, v16, v12 offset0:2 offset1:3
	v_sub_nc_u32_e32 v18, v7, v15
	v_cmp_ge_i32_e64 s4, v7, v15
	; wave barrier
	v_cndmask_b32_e64 v10, 0, v18, s4
	s_mov_b32 s4, exec_lo
	v_cmpx_lt_i32_e64 v10, v11
	s_cbranch_execz .LBB42_98
; %bb.95:
	v_lshlrev_b32_e32 v6, 2, v9
	v_lshlrev_b32_e32 v12, 2, v7
	v_add3_u32 v6, v4, v6, v12
	.p2align	6
.LBB42_96:                              ; =>This Inner Loop Header: Depth=1
	v_sub_nc_u32_e32 v12, v11, v10
	v_lshrrev_b32_e32 v12, 1, v12
	v_add_nc_u32_e32 v12, v12, v10
	v_not_b32_e32 v13, v12
	v_lshl_add_u32 v14, v12, 2, v8
	v_add_nc_u32_e32 v15, 1, v12
	v_lshl_add_u32 v13, v13, 2, v6
	ds_read_b32 v14, v14
	ds_read_b32 v13, v13
	s_waitcnt lgkmcnt(0)
	v_cmp_lt_i32_e64 s3, v13, v14
	v_cndmask_b32_e64 v11, v11, v12, s3
	v_cndmask_b32_e64 v10, v15, v10, s3
	v_cmp_ge_i32_e64 s3, v10, v11
	s_or_b32 s5, s3, s5
	s_andn2_b32 exec_lo, exec_lo, s5
	s_cbranch_execnz .LBB42_96
; %bb.97:
	s_or_b32 exec_lo, exec_lo, s5
.LBB42_98:
	s_or_b32 exec_lo, exec_lo, s4
	v_add_nc_u32_e32 v6, v9, v7
	v_lshl_add_u32 v8, v10, 2, v8
	v_sub_nc_u32_e32 v11, v6, v10
	v_add_nc_u32_e32 v10, v10, v2
                                        ; implicit-def: $vgpr2
	v_lshl_add_u32 v12, v11, 2, v4
	v_cmp_le_i32_e64 s3, v9, v10
	v_cmp_gt_i32_e64 s5, v5, v11
	ds_read_b32 v6, v8
	ds_read_b32 v7, v12
	s_waitcnt lgkmcnt(0)
	v_cmp_lt_i32_e64 s4, v7, v6
	s_or_b32 s3, s3, s4
	s_and_b32 s3, s5, s3
	s_xor_b32 s4, s3, -1
	s_and_saveexec_b32 s5, s4
	s_xor_b32 s4, exec_lo, s5
; %bb.99:
	ds_read_b32 v2, v8 offset:4
                                        ; implicit-def: $vgpr12
; %bb.100:
	s_or_saveexec_b32 s4, s4
	v_mov_b32_e32 v8, v7
	s_xor_b32 exec_lo, exec_lo, s4
	s_cbranch_execz .LBB42_102
; %bb.101:
	ds_read_b32 v8, v12 offset:4
	s_waitcnt lgkmcnt(1)
	v_mov_b32_e32 v2, v6
.LBB42_102:
	s_or_b32 exec_lo, exec_lo, s4
	v_add_nc_u32_e32 v12, 1, v10
	v_add_nc_u32_e32 v14, 1, v11
	s_waitcnt lgkmcnt(0)
	v_cmp_lt_i32_e64 s5, v8, v2
	v_cndmask_b32_e64 v13, v12, v10, s3
	v_cndmask_b32_e64 v12, v11, v14, s3
                                        ; implicit-def: $vgpr10
	v_cmp_ge_i32_e64 s4, v13, v9
	v_cmp_lt_i32_e64 s6, v12, v5
	s_or_b32 s4, s4, s5
	s_and_b32 s4, s6, s4
	s_xor_b32 s5, s4, -1
	s_and_saveexec_b32 s6, s5
	s_xor_b32 s5, exec_lo, s6
; %bb.103:
	v_lshl_add_u32 v10, v13, 2, v4
	ds_read_b32 v10, v10 offset:4
; %bb.104:
	s_or_saveexec_b32 s5, s5
	v_mov_b32_e32 v11, v8
	s_xor_b32 exec_lo, exec_lo, s5
	s_cbranch_execz .LBB42_106
; %bb.105:
	s_waitcnt lgkmcnt(0)
	v_lshl_add_u32 v10, v12, 2, v4
	ds_read_b32 v11, v10 offset:4
	v_mov_b32_e32 v10, v2
.LBB42_106:
	s_or_b32 exec_lo, exec_lo, s5
	v_add_nc_u32_e32 v14, 1, v13
	v_add_nc_u32_e32 v15, 1, v12
	s_waitcnt lgkmcnt(0)
	v_cmp_lt_i32_e64 s6, v11, v10
	v_cndmask_b32_e64 v16, v14, v13, s4
	v_cndmask_b32_e64 v12, v12, v15, s4
                                        ; implicit-def: $vgpr13
                                        ; implicit-def: $vgpr14
	v_cmp_ge_i32_e64 s5, v16, v9
	v_cmp_lt_i32_e64 s7, v12, v5
	s_or_b32 s5, s5, s6
	s_and_b32 s5, s7, s5
	s_xor_b32 s6, s5, -1
	s_and_saveexec_b32 s7, s6
	s_xor_b32 s6, exec_lo, s7
; %bb.107:
	v_lshl_add_u32 v4, v16, 2, v4
	v_add_nc_u32_e32 v14, 1, v16
                                        ; implicit-def: $vgpr16
	ds_read_b32 v13, v4 offset:4
                                        ; implicit-def: $vgpr4
; %bb.108:
	s_or_saveexec_b32 s6, s6
	v_mov_b32_e32 v15, v11
	s_xor_b32 exec_lo, exec_lo, s6
	s_cbranch_execz .LBB42_110
; %bb.109:
	v_lshl_add_u32 v4, v12, 2, v4
	v_add_nc_u32_e32 v12, 1, v12
	v_mov_b32_e32 v14, v16
	s_waitcnt lgkmcnt(0)
	v_mov_b32_e32 v13, v10
	ds_read_b32 v15, v4 offset:4
.LBB42_110:
	s_or_b32 exec_lo, exec_lo, s6
	v_add_co_u32 v0, s6, s10, v0
	v_add_co_ci_u32_e64 v1, null, s11, v1, s6
	v_add_co_u32 v0, s6, v0, v3
	v_add_co_ci_u32_e64 v1, null, 0, v1, s6
	s_and_saveexec_b32 s6, vcc_lo
	s_cbranch_execnz .LBB42_115
; %bb.111:
	s_or_b32 exec_lo, exec_lo, s6
	s_and_saveexec_b32 s3, s0
	s_cbranch_execnz .LBB42_116
.LBB42_112:
	s_or_b32 exec_lo, exec_lo, s3
	s_and_saveexec_b32 s0, s1
	s_cbranch_execnz .LBB42_117
.LBB42_113:
	s_or_b32 exec_lo, exec_lo, s0
	s_and_saveexec_b32 s0, s2
	s_cbranch_execnz .LBB42_118
.LBB42_114:
	s_endpgm
.LBB42_115:
	v_cndmask_b32_e64 v3, v6, v7, s3
	global_store_dword v[0:1], v3, off
	s_or_b32 exec_lo, exec_lo, s6
	s_and_saveexec_b32 s3, s0
	s_cbranch_execz .LBB42_112
.LBB42_116:
	v_cndmask_b32_e64 v2, v2, v8, s4
	global_store_dword v[0:1], v2, off offset:4
	s_or_b32 exec_lo, exec_lo, s3
	s_and_saveexec_b32 s0, s1
	s_cbranch_execz .LBB42_113
.LBB42_117:
	v_cndmask_b32_e64 v2, v10, v11, s5
	global_store_dword v[0:1], v2, off offset:8
	s_or_b32 exec_lo, exec_lo, s0
	s_and_saveexec_b32 s0, s2
	s_cbranch_execz .LBB42_114
.LBB42_118:
	v_cmp_ge_i32_e32 vcc_lo, v14, v9
	s_waitcnt lgkmcnt(0)
	v_cmp_lt_i32_e64 s0, v15, v13
	v_cmp_lt_i32_e64 s1, v12, v5
	s_or_b32 s0, vcc_lo, s0
	s_and_b32 vcc_lo, s1, s0
	v_cndmask_b32_e32 v2, v13, v15, vcc_lo
	global_store_dword v[0:1], v2, off offset:12
	s_endpgm
	.section	.rodata,"a",@progbits
	.p2align	6, 0x0
	.amdhsa_kernel _Z19sort_keys_segmentedILj256ELj64ELj4EiN10test_utils4lessEEvPKT2_PS2_PKjT3_
		.amdhsa_group_segment_fixed_size 4112
		.amdhsa_private_segment_fixed_size 0
		.amdhsa_kernarg_size 28
		.amdhsa_user_sgpr_count 6
		.amdhsa_user_sgpr_private_segment_buffer 1
		.amdhsa_user_sgpr_dispatch_ptr 0
		.amdhsa_user_sgpr_queue_ptr 0
		.amdhsa_user_sgpr_kernarg_segment_ptr 1
		.amdhsa_user_sgpr_dispatch_id 0
		.amdhsa_user_sgpr_flat_scratch_init 0
		.amdhsa_user_sgpr_private_segment_size 0
		.amdhsa_wavefront_size32 1
		.amdhsa_uses_dynamic_stack 0
		.amdhsa_system_sgpr_private_segment_wavefront_offset 0
		.amdhsa_system_sgpr_workgroup_id_x 1
		.amdhsa_system_sgpr_workgroup_id_y 0
		.amdhsa_system_sgpr_workgroup_id_z 0
		.amdhsa_system_sgpr_workgroup_info 0
		.amdhsa_system_vgpr_workitem_id 0
		.amdhsa_next_free_vgpr 25
		.amdhsa_next_free_sgpr 12
		.amdhsa_reserve_vcc 1
		.amdhsa_reserve_flat_scratch 0
		.amdhsa_float_round_mode_32 0
		.amdhsa_float_round_mode_16_64 0
		.amdhsa_float_denorm_mode_32 3
		.amdhsa_float_denorm_mode_16_64 3
		.amdhsa_dx10_clamp 1
		.amdhsa_ieee_mode 1
		.amdhsa_fp16_overflow 0
		.amdhsa_workgroup_processor_mode 1
		.amdhsa_memory_ordered 1
		.amdhsa_forward_progress 1
		.amdhsa_shared_vgpr_count 0
		.amdhsa_exception_fp_ieee_invalid_op 0
		.amdhsa_exception_fp_denorm_src 0
		.amdhsa_exception_fp_ieee_div_zero 0
		.amdhsa_exception_fp_ieee_overflow 0
		.amdhsa_exception_fp_ieee_underflow 0
		.amdhsa_exception_fp_ieee_inexact 0
		.amdhsa_exception_int_div_zero 0
	.end_amdhsa_kernel
	.section	.text._Z19sort_keys_segmentedILj256ELj64ELj4EiN10test_utils4lessEEvPKT2_PS2_PKjT3_,"axG",@progbits,_Z19sort_keys_segmentedILj256ELj64ELj4EiN10test_utils4lessEEvPKT2_PS2_PKjT3_,comdat
.Lfunc_end42:
	.size	_Z19sort_keys_segmentedILj256ELj64ELj4EiN10test_utils4lessEEvPKT2_PS2_PKjT3_, .Lfunc_end42-_Z19sort_keys_segmentedILj256ELj64ELj4EiN10test_utils4lessEEvPKT2_PS2_PKjT3_
                                        ; -- End function
	.set _Z19sort_keys_segmentedILj256ELj64ELj4EiN10test_utils4lessEEvPKT2_PS2_PKjT3_.num_vgpr, 25
	.set _Z19sort_keys_segmentedILj256ELj64ELj4EiN10test_utils4lessEEvPKT2_PS2_PKjT3_.num_agpr, 0
	.set _Z19sort_keys_segmentedILj256ELj64ELj4EiN10test_utils4lessEEvPKT2_PS2_PKjT3_.numbered_sgpr, 12
	.set _Z19sort_keys_segmentedILj256ELj64ELj4EiN10test_utils4lessEEvPKT2_PS2_PKjT3_.num_named_barrier, 0
	.set _Z19sort_keys_segmentedILj256ELj64ELj4EiN10test_utils4lessEEvPKT2_PS2_PKjT3_.private_seg_size, 0
	.set _Z19sort_keys_segmentedILj256ELj64ELj4EiN10test_utils4lessEEvPKT2_PS2_PKjT3_.uses_vcc, 1
	.set _Z19sort_keys_segmentedILj256ELj64ELj4EiN10test_utils4lessEEvPKT2_PS2_PKjT3_.uses_flat_scratch, 0
	.set _Z19sort_keys_segmentedILj256ELj64ELj4EiN10test_utils4lessEEvPKT2_PS2_PKjT3_.has_dyn_sized_stack, 0
	.set _Z19sort_keys_segmentedILj256ELj64ELj4EiN10test_utils4lessEEvPKT2_PS2_PKjT3_.has_recursion, 0
	.set _Z19sort_keys_segmentedILj256ELj64ELj4EiN10test_utils4lessEEvPKT2_PS2_PKjT3_.has_indirect_call, 0
	.section	.AMDGPU.csdata,"",@progbits
; Kernel info:
; codeLenInByte = 5340
; TotalNumSgprs: 14
; NumVgprs: 25
; ScratchSize: 0
; MemoryBound: 0
; FloatMode: 240
; IeeeMode: 1
; LDSByteSize: 4112 bytes/workgroup (compile time only)
; SGPRBlocks: 0
; VGPRBlocks: 3
; NumSGPRsForWavesPerEU: 14
; NumVGPRsForWavesPerEU: 25
; Occupancy: 16
; WaveLimiterHint : 0
; COMPUTE_PGM_RSRC2:SCRATCH_EN: 0
; COMPUTE_PGM_RSRC2:USER_SGPR: 6
; COMPUTE_PGM_RSRC2:TRAP_HANDLER: 0
; COMPUTE_PGM_RSRC2:TGID_X_EN: 1
; COMPUTE_PGM_RSRC2:TGID_Y_EN: 0
; COMPUTE_PGM_RSRC2:TGID_Z_EN: 0
; COMPUTE_PGM_RSRC2:TIDIG_COMP_CNT: 0
	.section	.text._Z20sort_pairs_segmentedILj256ELj64ELj4EiN10test_utils4lessEEvPKT2_PS2_PKjT3_,"axG",@progbits,_Z20sort_pairs_segmentedILj256ELj64ELj4EiN10test_utils4lessEEvPKT2_PS2_PKjT3_,comdat
	.protected	_Z20sort_pairs_segmentedILj256ELj64ELj4EiN10test_utils4lessEEvPKT2_PS2_PKjT3_ ; -- Begin function _Z20sort_pairs_segmentedILj256ELj64ELj4EiN10test_utils4lessEEvPKT2_PS2_PKjT3_
	.globl	_Z20sort_pairs_segmentedILj256ELj64ELj4EiN10test_utils4lessEEvPKT2_PS2_PKjT3_
	.p2align	8
	.type	_Z20sort_pairs_segmentedILj256ELj64ELj4EiN10test_utils4lessEEvPKT2_PS2_PKjT3_,@function
_Z20sort_pairs_segmentedILj256ELj64ELj4EiN10test_utils4lessEEvPKT2_PS2_PKjT3_: ; @_Z20sort_pairs_segmentedILj256ELj64ELj4EiN10test_utils4lessEEvPKT2_PS2_PKjT3_
; %bb.0:
	s_clause 0x1
	s_load_dwordx2 s[0:1], s[4:5], 0x10
	s_load_dwordx4 s[8:11], s[4:5], 0x0
	v_lshrrev_b32_e32 v12, 6, v0
	v_mov_b32_e32 v2, 0
	v_lshl_or_b32 v1, s6, 2, v12
	v_mov_b32_e32 v13, v2
	v_mov_b32_e32 v14, v2
	v_lshlrev_b64 v[3:4], 2, v[1:2]
	v_lshlrev_b32_e32 v1, 8, v1
	v_lshlrev_b64 v[0:1], 2, v[1:2]
	s_waitcnt lgkmcnt(0)
	v_add_co_u32 v3, vcc_lo, s0, v3
	v_add_co_ci_u32_e64 v4, null, s1, v4, vcc_lo
	global_load_dword v5, v[3:4], off
	v_mbcnt_lo_u32_b32 v3, -1, 0
	v_add_co_u32 v4, vcc_lo, s8, v0
	v_add_co_ci_u32_e64 v6, null, s9, v1, vcc_lo
	v_lshlrev_b32_e32 v7, 2, v3
	v_lshlrev_b32_e32 v3, 4, v3
	v_add_co_u32 v3, vcc_lo, v4, v3
	v_add_co_ci_u32_e64 v4, null, 0, v6, vcc_lo
	v_mov_b32_e32 v6, v2
	s_waitcnt vmcnt(0)
	v_cmp_lt_u32_e32 vcc_lo, v7, v5
	s_and_saveexec_b32 s0, vcc_lo
	s_cbranch_execz .LBB43_2
; %bb.1:
	global_load_dword v13, v[3:4], off
	v_mov_b32_e32 v14, v2
	v_mov_b32_e32 v6, v2
.LBB43_2:
	s_or_b32 exec_lo, exec_lo, s0
	v_or_b32_e32 v8, 1, v7
	v_cmp_lt_u32_e64 s0, v8, v5
	s_and_saveexec_b32 s1, s0
	s_cbranch_execz .LBB43_4
; %bb.3:
	global_load_dword v2, v[3:4], off offset:4
.LBB43_4:
	s_or_b32 exec_lo, exec_lo, s1
	v_or_b32_e32 v9, 2, v7
	v_cmp_lt_u32_e64 s1, v9, v5
	s_and_saveexec_b32 s2, s1
	s_cbranch_execz .LBB43_6
; %bb.5:
	global_load_dword v14, v[3:4], off offset:8
.LBB43_6:
	;; [unrolled: 8-line block ×3, first 2 shown]
	s_or_b32 exec_lo, exec_lo, s3
	v_cmp_lt_i32_e64 s3, v8, v5
	v_cmp_lt_i32_e64 s4, v9, v5
	s_waitcnt vmcnt(0)
	v_add_nc_u32_e32 v3, 1, v13
	v_add_nc_u32_e32 v4, 1, v2
	;; [unrolled: 1-line block ×4, first 2 shown]
	s_or_b32 s3, s4, s3
	v_cndmask_b32_e32 v8, 0, v3, vcc_lo
	v_cndmask_b32_e64 v9, 0, v4, s0
	v_cndmask_b32_e64 v11, 0, v10, s1
	;; [unrolled: 1-line block ×5, first 2 shown]
	s_mov_b32 s4, 0
	s_brev_b32 s6, -2
	s_mov_b32 s5, exec_lo
	v_cmpx_ge_i32_e64 v15, v5
	s_xor_b32 s5, exec_lo, s5
	s_cbranch_execnz .LBB43_11
; %bb.9:
	s_andn2_saveexec_b32 s3, s5
	s_cbranch_execnz .LBB43_12
.LBB43_10:
	s_or_b32 exec_lo, exec_lo, s3
	v_bfrev_b32_e32 v17, -2
	s_and_saveexec_b32 s5, s4
	s_cbranch_execnz .LBB43_13
	s_branch .LBB43_16
.LBB43_11:
	v_cmp_lt_i32_e64 s3, v7, v5
	v_mov_b32_e32 v6, s6
	s_and_b32 s4, s3, exec_lo
	s_andn2_saveexec_b32 s3, s5
	s_cbranch_execz .LBB43_10
.LBB43_12:
	s_or_b32 s4, s4, exec_lo
	s_or_b32 exec_lo, exec_lo, s3
	v_bfrev_b32_e32 v17, -2
	s_and_saveexec_b32 s5, s4
	s_cbranch_execz .LBB43_16
.LBB43_13:
	v_cmp_lt_i32_e64 s3, v2, v13
	v_cmp_lt_i32_e64 s4, v6, v14
	v_min_i32_e32 v4, v6, v14
	v_cndmask_b32_e64 v15, v2, v13, s3
	v_cndmask_b32_e64 v3, v8, v9, s3
	;; [unrolled: 1-line block ×5, first 2 shown]
	v_cmp_lt_i32_e64 s3, v4, v15
	v_cndmask_b32_e64 v16, v10, v11, s4
	v_cndmask_b32_e64 v2, v11, v10, s4
	v_min_i32_e32 v10, v4, v15
	v_cndmask_b32_e64 v6, v6, v14, s4
	v_cndmask_b32_e64 v14, v9, v15, s3
	;; [unrolled: 1-line block ×5, first 2 shown]
	v_cmp_lt_i32_e64 s4, v10, v13
	v_cmp_lt_i32_e64 s3, v6, v14
	v_cndmask_b32_e64 v9, v2, v3, s4
	v_cndmask_b32_e64 v8, v3, v2, s4
	v_cndmask_b32_e64 v2, v4, v13, s4
	v_cndmask_b32_e64 v13, v13, v10, s4
	v_min_i32_e32 v3, v6, v14
	v_cndmask_b32_e64 v10, v16, v11, s3
	v_cndmask_b32_e64 v11, v11, v16, s3
	;; [unrolled: 1-line block ×4, first 2 shown]
	s_mov_b32 s4, exec_lo
	v_cmpx_lt_i32_e64 v3, v2
; %bb.14:
	v_mov_b32_e32 v4, v11
	v_swap_b32 v11, v9
	v_mov_b32_e32 v14, v2
	v_mov_b32_e32 v2, v3
; %bb.15:
	s_or_b32 exec_lo, exec_lo, s4
.LBB43_16:
	s_or_b32 exec_lo, exec_lo, s5
	v_and_b32_e32 v3, 0x78, v7
	v_and_b32_e32 v4, 4, v7
	s_mov_b32 s5, 0
	s_mov_b32 s4, exec_lo
	v_min_i32_e32 v18, v5, v3
	v_min_i32_e32 v19, v5, v4
	v_mul_u32_u24_e32 v4, 0x404, v12
	; wave barrier
	v_add_nc_u32_e32 v3, 4, v18
	v_lshlrev_b32_e32 v23, 2, v18
	v_min_i32_e32 v15, v5, v3
	v_add_nc_u32_e32 v3, 4, v15
	v_sub_nc_u32_e32 v22, v15, v18
	v_min_i32_e32 v16, v5, v3
	v_lshlrev_b32_e32 v3, 2, v7
	v_sub_nc_u32_e32 v20, v16, v15
	v_mad_u32_u24 v6, 0x404, v12, v3
	v_mad_u32_u24 v12, 0x404, v12, v23
	v_sub_nc_u32_e32 v21, v19, v20
	v_cmp_ge_i32_e64 s3, v19, v20
	ds_write2_b32 v6, v13, v2 offset1:1
	ds_write2_b32 v6, v14, v17 offset0:2 offset1:3
	; wave barrier
	v_cndmask_b32_e64 v20, 0, v21, s3
	v_min_i32_e32 v21, v19, v22
	v_cmpx_lt_i32_e64 v20, v21
	s_cbranch_execz .LBB43_20
; %bb.17:
	v_lshlrev_b32_e32 v2, 2, v15
	v_lshlrev_b32_e32 v13, 2, v19
	v_add3_u32 v2, v4, v2, v13
	.p2align	6
.LBB43_18:                              ; =>This Inner Loop Header: Depth=1
	v_sub_nc_u32_e32 v13, v21, v20
	v_lshrrev_b32_e32 v13, 1, v13
	v_add_nc_u32_e32 v13, v13, v20
	v_not_b32_e32 v14, v13
	v_lshl_add_u32 v17, v13, 2, v12
	v_add_nc_u32_e32 v22, 1, v13
	v_lshl_add_u32 v14, v14, 2, v2
	ds_read_b32 v17, v17
	ds_read_b32 v14, v14
	s_waitcnt lgkmcnt(0)
	v_cmp_lt_i32_e64 s3, v14, v17
	v_cndmask_b32_e64 v21, v21, v13, s3
	v_cndmask_b32_e64 v20, v22, v20, s3
	v_cmp_ge_i32_e64 s3, v20, v21
	s_or_b32 s5, s3, s5
	s_andn2_b32 exec_lo, exec_lo, s5
	s_cbranch_execnz .LBB43_18
; %bb.19:
	s_or_b32 exec_lo, exec_lo, s5
.LBB43_20:
	s_or_b32 exec_lo, exec_lo, s4
	v_add_nc_u32_e32 v2, v15, v19
	v_lshl_add_u32 v21, v20, 2, v12
	v_add_nc_u32_e32 v12, v20, v18
                                        ; implicit-def: $vgpr17
	v_sub_nc_u32_e32 v2, v2, v20
	v_cmp_le_i32_e64 s3, v15, v12
	v_lshl_add_u32 v19, v2, 2, v4
	v_cmp_gt_i32_e64 s5, v16, v2
	ds_read_b32 v13, v21
	ds_read_b32 v14, v19
	s_waitcnt lgkmcnt(0)
	v_cmp_lt_i32_e64 s4, v14, v13
	s_or_b32 s3, s3, s4
	s_and_b32 s3, s5, s3
	s_xor_b32 s4, s3, -1
	s_and_saveexec_b32 s5, s4
	s_xor_b32 s4, exec_lo, s5
; %bb.21:
	ds_read_b32 v17, v21 offset:4
                                        ; implicit-def: $vgpr19
; %bb.22:
	s_or_saveexec_b32 s4, s4
	v_mov_b32_e32 v18, v14
	s_xor_b32 exec_lo, exec_lo, s4
	s_cbranch_execz .LBB43_24
; %bb.23:
	ds_read_b32 v18, v19 offset:4
	s_waitcnt lgkmcnt(1)
	v_mov_b32_e32 v17, v13
.LBB43_24:
	s_or_b32 exec_lo, exec_lo, s4
	v_add_nc_u32_e32 v19, 1, v12
	v_add_nc_u32_e32 v20, 1, v2
	s_waitcnt lgkmcnt(0)
	v_cmp_lt_i32_e64 s5, v18, v17
	v_cndmask_b32_e64 v21, v19, v12, s3
	v_cndmask_b32_e64 v22, v2, v20, s3
                                        ; implicit-def: $vgpr19
	v_cmp_ge_i32_e64 s4, v21, v15
	v_cmp_lt_i32_e64 s6, v22, v16
	s_or_b32 s4, s4, s5
	s_and_b32 s4, s6, s4
	s_xor_b32 s5, s4, -1
	s_and_saveexec_b32 s6, s5
	s_xor_b32 s5, exec_lo, s6
; %bb.25:
	v_lshl_add_u32 v19, v21, 2, v4
	ds_read_b32 v19, v19 offset:4
; %bb.26:
	s_or_saveexec_b32 s5, s5
	v_mov_b32_e32 v20, v18
	s_xor_b32 exec_lo, exec_lo, s5
	s_cbranch_execz .LBB43_28
; %bb.27:
	s_waitcnt lgkmcnt(0)
	v_lshl_add_u32 v19, v22, 2, v4
	ds_read_b32 v20, v19 offset:4
	v_mov_b32_e32 v19, v17
.LBB43_28:
	s_or_b32 exec_lo, exec_lo, s5
	v_add_nc_u32_e32 v23, 1, v21
	v_add_nc_u32_e32 v24, 1, v22
	s_waitcnt lgkmcnt(0)
	v_cmp_lt_i32_e64 s6, v20, v19
	v_cndmask_b32_e64 v25, v23, v21, s4
	v_cndmask_b32_e64 v23, v22, v24, s4
                                        ; implicit-def: $vgpr24
	v_cmp_ge_i32_e64 s5, v25, v15
	v_cmp_lt_i32_e64 s7, v23, v16
	s_or_b32 s5, s5, s6
	s_and_b32 s5, s7, s5
	s_xor_b32 s6, s5, -1
	s_and_saveexec_b32 s7, s6
	s_xor_b32 s6, exec_lo, s7
; %bb.29:
	v_lshl_add_u32 v24, v25, 2, v4
	ds_read_b32 v24, v24 offset:4
; %bb.30:
	s_or_saveexec_b32 s6, s6
	v_mov_b32_e32 v26, v20
	s_xor_b32 exec_lo, exec_lo, s6
	s_cbranch_execz .LBB43_32
; %bb.31:
	s_waitcnt lgkmcnt(0)
	v_lshl_add_u32 v24, v23, 2, v4
	ds_read_b32 v26, v24 offset:4
	v_mov_b32_e32 v24, v19
.LBB43_32:
	s_or_b32 exec_lo, exec_lo, s6
	v_add_nc_u32_e32 v27, 1, v25
	v_and_b32_e32 v28, 0x70, v7
	v_add_nc_u32_e32 v29, 1, v23
	v_cndmask_b32_e64 v30, v25, v23, s5
	v_cndmask_b32_e64 v22, v21, v22, s4
	;; [unrolled: 1-line block ×3, first 2 shown]
	v_min_i32_e32 v21, v5, v28
	v_cndmask_b32_e64 v23, v23, v29, s5
	s_waitcnt lgkmcnt(0)
	v_cmp_lt_i32_e64 s6, v26, v24
	v_cndmask_b32_e64 v12, v12, v2, s3
	v_cmp_ge_i32_e64 s7, v25, v15
	v_add_nc_u32_e32 v2, 8, v21
	v_cmp_lt_i32_e64 s8, v23, v16
	; wave barrier
	s_or_b32 s6, s7, s6
	v_min_i32_e32 v2, v5, v2
	s_and_b32 s6, s8, s6
	ds_write2_b32 v6, v8, v9 offset1:1
	ds_write2_b32 v6, v11, v10 offset0:2 offset1:3
	v_cndmask_b32_e64 v15, v25, v23, s6
	v_lshl_add_u32 v9, v12, 2, v4
	v_add_nc_u32_e32 v8, 8, v2
	v_and_b32_e32 v10, 12, v7
	v_lshl_add_u32 v11, v22, 2, v4
	v_lshl_add_u32 v16, v30, 2, v4
	;; [unrolled: 1-line block ×3, first 2 shown]
	; wave barrier
	v_min_i32_e32 v12, v5, v8
	v_min_i32_e32 v15, v5, v10
	ds_read_b32 v8, v9
	ds_read_b32 v9, v11
	;; [unrolled: 1-line block ×4, first 2 shown]
	v_cndmask_b32_e64 v19, v19, v20, s5
	v_sub_nc_u32_e32 v20, v2, v21
	v_sub_nc_u32_e32 v23, v12, v2
	v_cndmask_b32_e64 v17, v17, v18, s4
	v_cndmask_b32_e64 v13, v13, v14, s3
	;; [unrolled: 1-line block ×3, first 2 shown]
	v_min_i32_e32 v14, v15, v20
	v_sub_nc_u32_e32 v16, v15, v23
	v_cmp_ge_i32_e64 s3, v15, v23
	; wave barrier
	ds_write2_b32 v6, v13, v17 offset1:1
	v_lshl_add_u32 v13, v21, 2, v4
	v_cndmask_b32_e64 v16, 0, v16, s3
	s_mov_b32 s5, 0
	s_mov_b32 s4, exec_lo
	ds_write2_b32 v6, v19, v24 offset0:2 offset1:3
	; wave barrier
	v_cmpx_lt_i32_e64 v16, v14
	s_cbranch_execz .LBB43_36
; %bb.33:
	v_lshlrev_b32_e32 v17, 2, v2
	v_lshlrev_b32_e32 v18, 2, v15
	v_add3_u32 v17, v4, v17, v18
	.p2align	6
.LBB43_34:                              ; =>This Inner Loop Header: Depth=1
	v_sub_nc_u32_e32 v18, v14, v16
	v_lshrrev_b32_e32 v18, 1, v18
	v_add_nc_u32_e32 v18, v18, v16
	v_not_b32_e32 v19, v18
	v_lshl_add_u32 v20, v18, 2, v13
	v_add_nc_u32_e32 v22, 1, v18
	v_lshl_add_u32 v19, v19, 2, v17
	ds_read_b32 v20, v20
	ds_read_b32 v19, v19
	s_waitcnt lgkmcnt(0)
	v_cmp_lt_i32_e64 s3, v19, v20
	v_cndmask_b32_e64 v14, v14, v18, s3
	v_cndmask_b32_e64 v16, v22, v16, s3
	v_cmp_ge_i32_e64 s3, v16, v14
	s_or_b32 s5, s3, s5
	s_andn2_b32 exec_lo, exec_lo, s5
	s_cbranch_execnz .LBB43_34
; %bb.35:
	s_or_b32 exec_lo, exec_lo, s5
.LBB43_36:
	s_or_b32 exec_lo, exec_lo, s4
	v_add_nc_u32_e32 v14, v2, v15
	v_lshl_add_u32 v20, v16, 2, v13
	v_add_nc_u32_e32 v18, v16, v21
                                        ; implicit-def: $vgpr15
	v_sub_nc_u32_e32 v17, v14, v16
	v_cmp_le_i32_e64 s3, v2, v18
	v_lshl_add_u32 v19, v17, 2, v4
	v_cmp_gt_i32_e64 s5, v12, v17
	ds_read_b32 v13, v20
	ds_read_b32 v14, v19
	s_waitcnt lgkmcnt(0)
	v_cmp_lt_i32_e64 s4, v14, v13
	s_or_b32 s3, s3, s4
	s_and_b32 s3, s5, s3
	s_xor_b32 s4, s3, -1
	s_and_saveexec_b32 s5, s4
	s_xor_b32 s4, exec_lo, s5
; %bb.37:
	ds_read_b32 v15, v20 offset:4
                                        ; implicit-def: $vgpr19
; %bb.38:
	s_or_saveexec_b32 s4, s4
	v_mov_b32_e32 v16, v14
	s_xor_b32 exec_lo, exec_lo, s4
	s_cbranch_execz .LBB43_40
; %bb.39:
	ds_read_b32 v16, v19 offset:4
	s_waitcnt lgkmcnt(1)
	v_mov_b32_e32 v15, v13
.LBB43_40:
	s_or_b32 exec_lo, exec_lo, s4
	v_add_nc_u32_e32 v19, 1, v18
	v_add_nc_u32_e32 v20, 1, v17
	s_waitcnt lgkmcnt(0)
	v_cmp_lt_i32_e64 s5, v16, v15
	v_cndmask_b32_e64 v21, v19, v18, s3
	v_cndmask_b32_e64 v22, v17, v20, s3
                                        ; implicit-def: $vgpr19
	v_cmp_ge_i32_e64 s4, v21, v2
	v_cmp_lt_i32_e64 s6, v22, v12
	s_or_b32 s4, s4, s5
	s_and_b32 s4, s6, s4
	s_xor_b32 s5, s4, -1
	s_and_saveexec_b32 s6, s5
	s_xor_b32 s5, exec_lo, s6
; %bb.41:
	v_lshl_add_u32 v19, v21, 2, v4
	ds_read_b32 v19, v19 offset:4
; %bb.42:
	s_or_saveexec_b32 s5, s5
	v_mov_b32_e32 v20, v16
	s_xor_b32 exec_lo, exec_lo, s5
	s_cbranch_execz .LBB43_44
; %bb.43:
	s_waitcnt lgkmcnt(0)
	v_lshl_add_u32 v19, v22, 2, v4
	ds_read_b32 v20, v19 offset:4
	v_mov_b32_e32 v19, v15
.LBB43_44:
	s_or_b32 exec_lo, exec_lo, s5
	v_add_nc_u32_e32 v23, 1, v21
	v_add_nc_u32_e32 v24, 1, v22
	s_waitcnt lgkmcnt(0)
	v_cmp_lt_i32_e64 s6, v20, v19
	v_cndmask_b32_e64 v25, v23, v21, s4
	v_cndmask_b32_e64 v23, v22, v24, s4
                                        ; implicit-def: $vgpr24
	v_cmp_ge_i32_e64 s5, v25, v2
	v_cmp_lt_i32_e64 s7, v23, v12
	s_or_b32 s5, s5, s6
	s_and_b32 s5, s7, s5
	s_xor_b32 s6, s5, -1
	s_and_saveexec_b32 s7, s6
	s_xor_b32 s6, exec_lo, s7
; %bb.45:
	v_lshl_add_u32 v24, v25, 2, v4
	ds_read_b32 v24, v24 offset:4
; %bb.46:
	s_or_saveexec_b32 s6, s6
	v_mov_b32_e32 v26, v20
	s_xor_b32 exec_lo, exec_lo, s6
	s_cbranch_execz .LBB43_48
; %bb.47:
	s_waitcnt lgkmcnt(0)
	v_lshl_add_u32 v24, v23, 2, v4
	ds_read_b32 v26, v24 offset:4
	v_mov_b32_e32 v24, v19
.LBB43_48:
	s_or_b32 exec_lo, exec_lo, s6
	v_add_nc_u32_e32 v27, 1, v25
	v_add_nc_u32_e32 v29, 1, v23
	v_and_b32_e32 v28, 0x60, v7
	v_cndmask_b32_e64 v30, v25, v23, s5
	v_cndmask_b32_e64 v22, v21, v22, s4
	;; [unrolled: 1-line block ×4, first 2 shown]
	v_min_i32_e32 v21, v5, v28
	s_waitcnt lgkmcnt(0)
	v_cmp_lt_i32_e64 s6, v26, v24
	v_cndmask_b32_e64 v17, v18, v17, s3
	v_cmp_ge_i32_e64 s7, v25, v2
	v_cmp_lt_i32_e64 s8, v23, v12
	v_add_nc_u32_e32 v2, 16, v21
	; wave barrier
	s_or_b32 s6, s7, s6
	ds_write2_b32 v6, v8, v9 offset1:1
	ds_write2_b32 v6, v10, v11 offset0:2 offset1:3
	s_and_b32 s6, s8, s6
	v_min_i32_e32 v2, v5, v2
	v_cndmask_b32_e64 v12, v25, v23, s6
	v_lshl_add_u32 v9, v17, 2, v4
	v_and_b32_e32 v10, 28, v7
	v_lshl_add_u32 v11, v22, 2, v4
	v_add_nc_u32_e32 v8, 16, v2
	v_lshl_add_u32 v22, v30, 2, v4
	v_lshl_add_u32 v12, v12, 2, v4
	; wave barrier
	v_min_i32_e32 v17, v5, v10
	ds_read_b32 v9, v9
	ds_read_b32 v10, v11
	;; [unrolled: 1-line block ×4, first 2 shown]
	v_min_i32_e32 v8, v5, v8
	v_cndmask_b32_e64 v19, v19, v20, s5
	v_sub_nc_u32_e32 v22, v2, v21
	v_cndmask_b32_e64 v15, v15, v16, s4
	v_cndmask_b32_e64 v14, v13, v14, s3
	v_sub_nc_u32_e32 v23, v8, v2
	v_cndmask_b32_e64 v18, v24, v26, s6
	v_min_i32_e32 v13, v17, v22
	; wave barrier
	v_sub_nc_u32_e32 v20, v17, v23
	v_cmp_ge_i32_e64 s3, v17, v23
	ds_write2_b32 v6, v14, v15 offset1:1
	v_lshl_add_u32 v14, v21, 2, v4
	s_mov_b32 s5, 0
	s_mov_b32 s4, exec_lo
	v_cndmask_b32_e64 v16, 0, v20, s3
	ds_write2_b32 v6, v19, v18 offset0:2 offset1:3
	; wave barrier
	v_cmpx_lt_i32_e64 v16, v13
	s_cbranch_execz .LBB43_52
; %bb.49:
	v_lshlrev_b32_e32 v15, 2, v2
	v_lshlrev_b32_e32 v18, 2, v17
	v_add3_u32 v15, v4, v15, v18
	.p2align	6
.LBB43_50:                              ; =>This Inner Loop Header: Depth=1
	v_sub_nc_u32_e32 v18, v13, v16
	v_lshrrev_b32_e32 v18, 1, v18
	v_add_nc_u32_e32 v18, v18, v16
	v_not_b32_e32 v19, v18
	v_lshl_add_u32 v20, v18, 2, v14
	v_add_nc_u32_e32 v22, 1, v18
	v_lshl_add_u32 v19, v19, 2, v15
	ds_read_b32 v20, v20
	ds_read_b32 v19, v19
	s_waitcnt lgkmcnt(0)
	v_cmp_lt_i32_e64 s3, v19, v20
	v_cndmask_b32_e64 v13, v13, v18, s3
	v_cndmask_b32_e64 v16, v22, v16, s3
	v_cmp_ge_i32_e64 s3, v16, v13
	s_or_b32 s5, s3, s5
	s_andn2_b32 exec_lo, exec_lo, s5
	s_cbranch_execnz .LBB43_50
; %bb.51:
	s_or_b32 exec_lo, exec_lo, s5
.LBB43_52:
	s_or_b32 exec_lo, exec_lo, s4
	v_add_nc_u32_e32 v13, v2, v17
	v_lshl_add_u32 v17, v16, 2, v14
	v_add_nc_u32_e32 v18, v16, v21
	v_sub_nc_u32_e32 v13, v13, v16
                                        ; implicit-def: $vgpr16
	v_cmp_le_i32_e64 s3, v2, v18
	v_lshl_add_u32 v19, v13, 2, v4
	v_cmp_gt_i32_e64 s5, v8, v13
	ds_read_b32 v14, v17
	ds_read_b32 v15, v19
	s_waitcnt lgkmcnt(0)
	v_cmp_lt_i32_e64 s4, v15, v14
	s_or_b32 s3, s3, s4
	s_and_b32 s3, s5, s3
	s_xor_b32 s4, s3, -1
	s_and_saveexec_b32 s5, s4
	s_xor_b32 s4, exec_lo, s5
; %bb.53:
	ds_read_b32 v16, v17 offset:4
                                        ; implicit-def: $vgpr19
; %bb.54:
	s_or_saveexec_b32 s4, s4
	v_mov_b32_e32 v17, v15
	s_xor_b32 exec_lo, exec_lo, s4
	s_cbranch_execz .LBB43_56
; %bb.55:
	ds_read_b32 v17, v19 offset:4
	s_waitcnt lgkmcnt(1)
	v_mov_b32_e32 v16, v14
.LBB43_56:
	s_or_b32 exec_lo, exec_lo, s4
	v_add_nc_u32_e32 v19, 1, v18
	v_add_nc_u32_e32 v20, 1, v13
	s_waitcnt lgkmcnt(0)
	v_cmp_lt_i32_e64 s5, v17, v16
	v_cndmask_b32_e64 v21, v19, v18, s3
	v_cndmask_b32_e64 v22, v13, v20, s3
                                        ; implicit-def: $vgpr19
	v_cmp_ge_i32_e64 s4, v21, v2
	v_cmp_lt_i32_e64 s6, v22, v8
	s_or_b32 s4, s4, s5
	s_and_b32 s4, s6, s4
	s_xor_b32 s5, s4, -1
	s_and_saveexec_b32 s6, s5
	s_xor_b32 s5, exec_lo, s6
; %bb.57:
	v_lshl_add_u32 v19, v21, 2, v4
	ds_read_b32 v19, v19 offset:4
; %bb.58:
	s_or_saveexec_b32 s5, s5
	v_mov_b32_e32 v20, v17
	s_xor_b32 exec_lo, exec_lo, s5
	s_cbranch_execz .LBB43_60
; %bb.59:
	s_waitcnt lgkmcnt(0)
	v_lshl_add_u32 v19, v22, 2, v4
	ds_read_b32 v20, v19 offset:4
	v_mov_b32_e32 v19, v16
.LBB43_60:
	s_or_b32 exec_lo, exec_lo, s5
	v_add_nc_u32_e32 v23, 1, v21
	v_add_nc_u32_e32 v24, 1, v22
	s_waitcnt lgkmcnt(0)
	v_cmp_lt_i32_e64 s6, v20, v19
	v_cndmask_b32_e64 v25, v23, v21, s4
	v_cndmask_b32_e64 v23, v22, v24, s4
                                        ; implicit-def: $vgpr24
	v_cmp_ge_i32_e64 s5, v25, v2
	v_cmp_lt_i32_e64 s7, v23, v8
	s_or_b32 s5, s5, s6
	s_and_b32 s5, s7, s5
	s_xor_b32 s6, s5, -1
	s_and_saveexec_b32 s7, s6
	s_xor_b32 s6, exec_lo, s7
; %bb.61:
	v_lshl_add_u32 v24, v25, 2, v4
	ds_read_b32 v24, v24 offset:4
; %bb.62:
	s_or_saveexec_b32 s6, s6
	v_mov_b32_e32 v26, v20
	s_xor_b32 exec_lo, exec_lo, s6
	s_cbranch_execz .LBB43_64
; %bb.63:
	s_waitcnt lgkmcnt(0)
	v_lshl_add_u32 v24, v23, 2, v4
	ds_read_b32 v26, v24 offset:4
	v_mov_b32_e32 v24, v19
.LBB43_64:
	s_or_b32 exec_lo, exec_lo, s6
	v_add_nc_u32_e32 v27, 1, v25
	v_add_nc_u32_e32 v29, 1, v23
	v_and_b32_e32 v28, 64, v7
	v_cndmask_b32_e64 v30, v25, v23, s5
	v_cndmask_b32_e64 v22, v21, v22, s4
	v_cndmask_b32_e64 v25, v27, v25, s5
	v_cndmask_b32_e64 v23, v23, v29, s5
	v_min_i32_e32 v21, v5, v28
	s_waitcnt lgkmcnt(0)
	v_cmp_lt_i32_e64 s6, v26, v24
	v_cndmask_b32_e64 v13, v18, v13, s3
	v_cmp_ge_i32_e64 s7, v25, v2
	v_cmp_lt_i32_e64 s8, v23, v8
	v_add_nc_u32_e32 v2, 32, v21
	; wave barrier
	s_or_b32 s6, s7, s6
	ds_write2_b32 v6, v9, v10 offset1:1
	ds_write2_b32 v6, v11, v12 offset0:2 offset1:3
	s_and_b32 s6, s8, s6
	v_min_i32_e32 v8, v5, v2
	v_cndmask_b32_e64 v2, v25, v23, s6
	v_lshl_add_u32 v10, v13, 2, v4
	v_and_b32_e32 v11, 60, v7
	v_lshl_add_u32 v13, v22, 2, v4
	v_add_nc_u32_e32 v9, 32, v8
	v_lshl_add_u32 v22, v30, 2, v4
	v_lshl_add_u32 v23, v2, 2, v4
	; wave barrier
	v_min_i32_e32 v2, v5, v11
	ds_read_b32 v12, v10
	ds_read_b32 v13, v13
	;; [unrolled: 1-line block ×4, first 2 shown]
	v_min_i32_e32 v9, v5, v9
	v_cndmask_b32_e64 v18, v24, v26, s6
	v_cndmask_b32_e64 v19, v19, v20, s5
	v_sub_nc_u32_e32 v22, v8, v21
	v_cndmask_b32_e64 v17, v16, v17, s4
	v_sub_nc_u32_e32 v24, v9, v8
	v_cndmask_b32_e64 v15, v14, v15, s3
	v_min_i32_e32 v16, v2, v22
	; wave barrier
	v_sub_nc_u32_e32 v20, v2, v24
	v_cmp_ge_i32_e64 s3, v2, v24
	ds_write2_b32 v6, v15, v17 offset1:1
	v_lshl_add_u32 v15, v21, 2, v4
	s_mov_b32 s5, 0
	s_mov_b32 s4, exec_lo
	v_cndmask_b32_e64 v14, 0, v20, s3
	ds_write2_b32 v6, v19, v18 offset0:2 offset1:3
	; wave barrier
	v_cmpx_lt_i32_e64 v14, v16
	s_cbranch_execz .LBB43_68
; %bb.65:
	v_lshlrev_b32_e32 v17, 2, v8
	v_lshlrev_b32_e32 v18, 2, v2
	v_add3_u32 v17, v4, v17, v18
	.p2align	6
.LBB43_66:                              ; =>This Inner Loop Header: Depth=1
	v_sub_nc_u32_e32 v18, v16, v14
	v_lshrrev_b32_e32 v18, 1, v18
	v_add_nc_u32_e32 v18, v18, v14
	v_not_b32_e32 v19, v18
	v_lshl_add_u32 v20, v18, 2, v15
	v_add_nc_u32_e32 v22, 1, v18
	v_lshl_add_u32 v19, v19, 2, v17
	ds_read_b32 v20, v20
	ds_read_b32 v19, v19
	s_waitcnt lgkmcnt(0)
	v_cmp_lt_i32_e64 s3, v19, v20
	v_cndmask_b32_e64 v16, v16, v18, s3
	v_cndmask_b32_e64 v14, v22, v14, s3
	v_cmp_ge_i32_e64 s3, v14, v16
	s_or_b32 s5, s3, s5
	s_andn2_b32 exec_lo, exec_lo, s5
	s_cbranch_execnz .LBB43_66
; %bb.67:
	s_or_b32 exec_lo, exec_lo, s5
.LBB43_68:
	s_or_b32 exec_lo, exec_lo, s4
	v_add_nc_u32_e32 v2, v8, v2
	v_lshl_add_u32 v18, v14, 2, v15
                                        ; implicit-def: $vgpr17
	v_sub_nc_u32_e32 v2, v2, v14
	v_add_nc_u32_e32 v14, v14, v21
	v_lshl_add_u32 v19, v2, 2, v4
	v_cmp_le_i32_e64 s3, v8, v14
	v_cmp_gt_i32_e64 s5, v9, v2
	ds_read_b32 v15, v18
	ds_read_b32 v16, v19
	s_waitcnt lgkmcnt(0)
	v_cmp_lt_i32_e64 s4, v16, v15
	s_or_b32 s3, s3, s4
	s_and_b32 s3, s5, s3
	s_xor_b32 s4, s3, -1
	s_and_saveexec_b32 s5, s4
	s_xor_b32 s4, exec_lo, s5
; %bb.69:
	ds_read_b32 v17, v18 offset:4
                                        ; implicit-def: $vgpr19
; %bb.70:
	s_or_saveexec_b32 s4, s4
	v_mov_b32_e32 v18, v16
	s_xor_b32 exec_lo, exec_lo, s4
	s_cbranch_execz .LBB43_72
; %bb.71:
	ds_read_b32 v18, v19 offset:4
	s_waitcnt lgkmcnt(1)
	v_mov_b32_e32 v17, v15
.LBB43_72:
	s_or_b32 exec_lo, exec_lo, s4
	v_add_nc_u32_e32 v19, 1, v14
	v_add_nc_u32_e32 v20, 1, v2
	s_waitcnt lgkmcnt(0)
	v_cmp_lt_i32_e64 s5, v18, v17
	v_cndmask_b32_e64 v21, v19, v14, s3
	v_cndmask_b32_e64 v22, v2, v20, s3
                                        ; implicit-def: $vgpr19
	v_cmp_ge_i32_e64 s4, v21, v8
	v_cmp_lt_i32_e64 s6, v22, v9
	s_or_b32 s4, s4, s5
	s_and_b32 s4, s6, s4
	s_xor_b32 s5, s4, -1
	s_and_saveexec_b32 s6, s5
	s_xor_b32 s5, exec_lo, s6
; %bb.73:
	v_lshl_add_u32 v19, v21, 2, v4
	ds_read_b32 v19, v19 offset:4
; %bb.74:
	s_or_saveexec_b32 s5, s5
	v_mov_b32_e32 v20, v18
	s_xor_b32 exec_lo, exec_lo, s5
	s_cbranch_execz .LBB43_76
; %bb.75:
	s_waitcnt lgkmcnt(0)
	v_lshl_add_u32 v19, v22, 2, v4
	ds_read_b32 v20, v19 offset:4
	v_mov_b32_e32 v19, v17
.LBB43_76:
	s_or_b32 exec_lo, exec_lo, s5
	v_add_nc_u32_e32 v23, 1, v21
	v_add_nc_u32_e32 v24, 1, v22
	s_waitcnt lgkmcnt(0)
	v_cmp_lt_i32_e64 s6, v20, v19
	v_cndmask_b32_e64 v26, v23, v21, s4
	v_cndmask_b32_e64 v23, v22, v24, s4
                                        ; implicit-def: $vgpr24
	v_cmp_ge_i32_e64 s5, v26, v8
	v_cmp_lt_i32_e64 s7, v23, v9
	s_or_b32 s5, s5, s6
	s_and_b32 s5, s7, s5
	s_xor_b32 s6, s5, -1
	s_and_saveexec_b32 s7, s6
	s_xor_b32 s6, exec_lo, s7
; %bb.77:
	v_lshl_add_u32 v24, v26, 2, v4
	ds_read_b32 v24, v24 offset:4
; %bb.78:
	s_or_saveexec_b32 s6, s6
	v_mov_b32_e32 v25, v20
	s_xor_b32 exec_lo, exec_lo, s6
	s_cbranch_execz .LBB43_80
; %bb.79:
	s_waitcnt lgkmcnt(0)
	v_lshl_add_u32 v24, v23, 2, v4
	ds_read_b32 v25, v24 offset:4
	v_mov_b32_e32 v24, v19
.LBB43_80:
	s_or_b32 exec_lo, exec_lo, s6
	v_add_nc_u32_e32 v27, 1, v26
	v_add_nc_u32_e32 v28, 1, v23
	v_cndmask_b32_e64 v21, v21, v22, s4
	v_cndmask_b32_e64 v29, v26, v23, s5
	;; [unrolled: 1-line block ×5, first 2 shown]
	v_min_i32_e32 v2, 0, v5
	s_waitcnt lgkmcnt(0)
	v_cmp_lt_i32_e64 s6, v25, v24
	v_cmp_ge_i32_e64 s7, v22, v8
	v_cmp_lt_i32_e64 s8, v23, v9
	v_add_nc_u32_e32 v8, 64, v2
	; wave barrier
	ds_write2_b32 v6, v10, v11 offset0:2 offset1:3
	s_or_b32 s6, s7, s6
	v_lshl_add_u32 v11, v14, 2, v4
	s_and_b32 s6, s8, s6
	v_min_i32_e32 v9, v5, v8
	v_cndmask_b32_e64 v8, v22, v23, s6
	ds_write2_b32 v6, v12, v13 offset1:1
	v_lshl_add_u32 v12, v21, 2, v4
	v_lshl_add_u32 v21, v29, 2, v4
	v_add_nc_u32_e32 v10, 64, v9
	v_lshl_add_u32 v8, v8, 2, v4
	; wave barrier
	ds_read_b32 v13, v11
	ds_read_b32 v14, v12
	;; [unrolled: 1-line block ×4, first 2 shown]
	v_and_b32_e32 v7, 0x7c, v7
	v_min_i32_e32 v10, v5, v10
	v_cndmask_b32_e64 v19, v19, v20, s5
	v_sub_nc_u32_e32 v20, v9, v2
	v_cndmask_b32_e64 v16, v15, v16, s3
	v_min_i32_e32 v7, v5, v7
	v_sub_nc_u32_e32 v22, v10, v9
	v_cndmask_b32_e64 v24, v24, v25, s6
	v_cndmask_b32_e64 v18, v17, v18, s4
	s_mov_b32 s5, 0
	v_min_i32_e32 v15, v7, v20
	v_sub_nc_u32_e32 v8, v7, v22
	v_cmp_ge_i32_e64 s3, v7, v22
	s_mov_b32 s4, exec_lo
	; wave barrier
	ds_write2_b32 v6, v16, v18 offset1:1
	v_cndmask_b32_e64 v17, 0, v8, s3
	v_lshl_add_u32 v8, v2, 2, v4
	ds_write2_b32 v6, v19, v24 offset0:2 offset1:3
	; wave barrier
	v_cmpx_lt_i32_e64 v17, v15
	s_cbranch_execz .LBB43_84
; %bb.81:
	v_lshlrev_b32_e32 v16, 2, v9
	v_lshlrev_b32_e32 v18, 2, v7
	v_add3_u32 v16, v4, v16, v18
	.p2align	6
.LBB43_82:                              ; =>This Inner Loop Header: Depth=1
	v_sub_nc_u32_e32 v18, v15, v17
	v_lshrrev_b32_e32 v18, 1, v18
	v_add_nc_u32_e32 v18, v18, v17
	v_not_b32_e32 v19, v18
	v_lshl_add_u32 v20, v18, 2, v8
	v_add_nc_u32_e32 v21, 1, v18
	v_lshl_add_u32 v19, v19, 2, v16
	ds_read_b32 v20, v20
	ds_read_b32 v19, v19
	s_waitcnt lgkmcnt(0)
	v_cmp_lt_i32_e64 s3, v19, v20
	v_cndmask_b32_e64 v15, v15, v18, s3
	v_cndmask_b32_e64 v17, v21, v17, s3
	v_cmp_ge_i32_e64 s3, v17, v15
	s_or_b32 s5, s3, s5
	s_andn2_b32 exec_lo, exec_lo, s5
	s_cbranch_execnz .LBB43_82
; %bb.83:
	s_or_b32 exec_lo, exec_lo, s5
.LBB43_84:
	s_or_b32 exec_lo, exec_lo, s4
	v_add_nc_u32_e32 v15, v9, v7
	v_lshl_add_u32 v18, v17, 2, v8
	v_add_nc_u32_e32 v22, v17, v2
	v_sub_nc_u32_e32 v20, v15, v17
                                        ; implicit-def: $vgpr17
	v_cmp_le_i32_e64 s3, v9, v22
	v_lshl_add_u32 v19, v20, 2, v4
	v_cmp_gt_i32_e64 s5, v10, v20
	ds_read_b32 v15, v18
	ds_read_b32 v16, v19
	s_waitcnt lgkmcnt(0)
	v_cmp_lt_i32_e64 s4, v16, v15
	s_or_b32 s3, s3, s4
	s_and_b32 s3, s5, s3
	s_xor_b32 s4, s3, -1
	s_and_saveexec_b32 s5, s4
	s_xor_b32 s4, exec_lo, s5
; %bb.85:
	ds_read_b32 v17, v18 offset:4
                                        ; implicit-def: $vgpr19
; %bb.86:
	s_or_saveexec_b32 s4, s4
	v_mov_b32_e32 v18, v16
	s_xor_b32 exec_lo, exec_lo, s4
	s_cbranch_execz .LBB43_88
; %bb.87:
	ds_read_b32 v18, v19 offset:4
	s_waitcnt lgkmcnt(1)
	v_mov_b32_e32 v17, v15
.LBB43_88:
	s_or_b32 exec_lo, exec_lo, s4
	v_add_nc_u32_e32 v19, 1, v22
	v_add_nc_u32_e32 v21, 1, v20
	s_waitcnt lgkmcnt(0)
	v_cmp_lt_i32_e64 s5, v18, v17
	v_cndmask_b32_e64 v23, v19, v22, s3
	v_cndmask_b32_e64 v24, v20, v21, s3
                                        ; implicit-def: $vgpr19
	v_cmp_ge_i32_e64 s4, v23, v9
	v_cmp_lt_i32_e64 s6, v24, v10
	s_or_b32 s4, s4, s5
	s_and_b32 s4, s6, s4
	s_xor_b32 s5, s4, -1
	s_and_saveexec_b32 s6, s5
	s_xor_b32 s5, exec_lo, s6
; %bb.89:
	v_lshl_add_u32 v19, v23, 2, v4
	ds_read_b32 v19, v19 offset:4
; %bb.90:
	s_or_saveexec_b32 s5, s5
	v_mov_b32_e32 v21, v18
	s_xor_b32 exec_lo, exec_lo, s5
	s_cbranch_execz .LBB43_92
; %bb.91:
	s_waitcnt lgkmcnt(0)
	v_lshl_add_u32 v19, v24, 2, v4
	ds_read_b32 v21, v19 offset:4
	v_mov_b32_e32 v19, v17
.LBB43_92:
	s_or_b32 exec_lo, exec_lo, s5
	v_add_nc_u32_e32 v25, 1, v23
	v_add_nc_u32_e32 v26, 1, v24
	s_waitcnt lgkmcnt(0)
	v_cmp_lt_i32_e64 s6, v21, v19
	v_cndmask_b32_e64 v28, v25, v23, s4
	v_cndmask_b32_e64 v25, v24, v26, s4
                                        ; implicit-def: $vgpr26
	v_cmp_ge_i32_e64 s5, v28, v9
	v_cmp_lt_i32_e64 s7, v25, v10
	s_or_b32 s5, s5, s6
	s_and_b32 s5, s7, s5
	s_xor_b32 s6, s5, -1
	s_and_saveexec_b32 s7, s6
	s_xor_b32 s6, exec_lo, s7
; %bb.93:
	v_lshl_add_u32 v26, v28, 2, v4
	ds_read_b32 v26, v26 offset:4
; %bb.94:
	s_or_saveexec_b32 s6, s6
	v_mov_b32_e32 v27, v21
	s_xor_b32 exec_lo, exec_lo, s6
	s_cbranch_execz .LBB43_96
; %bb.95:
	s_waitcnt lgkmcnt(0)
	v_lshl_add_u32 v26, v25, 2, v4
	ds_read_b32 v27, v26 offset:4
	v_mov_b32_e32 v26, v19
.LBB43_96:
	s_or_b32 exec_lo, exec_lo, s6
	v_add_nc_u32_e32 v29, 1, v28
	v_add_nc_u32_e32 v30, 1, v25
	v_cndmask_b32_e64 v20, v22, v20, s3
	v_cndmask_b32_e64 v23, v23, v24, s4
	v_add_nc_u32_e32 v24, 0x80, v2
	v_cndmask_b32_e64 v22, v29, v28, s5
	v_cndmask_b32_e64 v31, v28, v25, s5
	;; [unrolled: 1-line block ×3, first 2 shown]
	s_waitcnt lgkmcnt(0)
	v_cmp_lt_i32_e64 s6, v27, v26
	v_cmp_ge_i32_e64 s7, v22, v9
	v_min_i32_e32 v9, v5, v24
	v_cmp_lt_i32_e64 s8, v25, v10
	; wave barrier
	ds_write2_b32 v6, v13, v14 offset1:1
	s_or_b32 s6, s7, s6
	v_add_nc_u32_e32 v10, 0x80, v9
	s_and_b32 s6, s8, s6
	ds_write2_b32 v6, v11, v12 offset0:2 offset1:3
	v_cndmask_b32_e64 v14, v22, v25, s6
	v_lshl_add_u32 v11, v31, 2, v4
	v_min_i32_e32 v13, v5, v10
	v_lshl_add_u32 v5, v20, 2, v4
	v_lshl_add_u32 v10, v23, 2, v4
	;; [unrolled: 1-line block ×3, first 2 shown]
	; wave barrier
	ds_read_b32 v5, v5
	ds_read_b32 v10, v10
	;; [unrolled: 1-line block ×4, first 2 shown]
	v_sub_nc_u32_e32 v14, v13, v9
	v_sub_nc_u32_e32 v22, v9, v2
	v_cndmask_b32_e64 v16, v15, v16, s3
	v_cndmask_b32_e64 v17, v17, v18, s4
	;; [unrolled: 1-line block ×3, first 2 shown]
	v_sub_nc_u32_e32 v20, v7, v14
	v_cmp_ge_i32_e64 s3, v7, v14
	v_min_i32_e32 v14, v7, v22
	v_cndmask_b32_e64 v18, v19, v21, s5
	s_mov_b32 s5, 0
	s_mov_b32 s4, exec_lo
	v_cndmask_b32_e64 v15, 0, v20, s3
	; wave barrier
	ds_write2_b32 v6, v16, v17 offset1:1
	ds_write2_b32 v6, v18, v24 offset0:2 offset1:3
	; wave barrier
	v_cmpx_lt_i32_e64 v15, v14
	s_cbranch_execz .LBB43_100
; %bb.97:
	v_lshlrev_b32_e32 v16, 2, v9
	v_lshlrev_b32_e32 v17, 2, v7
	v_add3_u32 v16, v4, v16, v17
	.p2align	6
.LBB43_98:                              ; =>This Inner Loop Header: Depth=1
	v_sub_nc_u32_e32 v17, v14, v15
	v_lshrrev_b32_e32 v17, 1, v17
	v_add_nc_u32_e32 v17, v17, v15
	v_not_b32_e32 v18, v17
	v_lshl_add_u32 v19, v17, 2, v8
	v_add_nc_u32_e32 v20, 1, v17
	v_lshl_add_u32 v18, v18, 2, v16
	ds_read_b32 v19, v19
	ds_read_b32 v18, v18
	s_waitcnt lgkmcnt(0)
	v_cmp_lt_i32_e64 s3, v18, v19
	v_cndmask_b32_e64 v14, v14, v17, s3
	v_cndmask_b32_e64 v15, v20, v15, s3
	v_cmp_ge_i32_e64 s3, v15, v14
	s_or_b32 s5, s3, s5
	s_andn2_b32 exec_lo, exec_lo, s5
	s_cbranch_execnz .LBB43_98
; %bb.99:
	s_or_b32 exec_lo, exec_lo, s5
.LBB43_100:
	s_or_b32 exec_lo, exec_lo, s4
	v_add_nc_u32_e32 v7, v9, v7
	v_lshl_add_u32 v18, v15, 2, v8
	v_add_nc_u32_e32 v16, v15, v2
                                        ; implicit-def: $vgpr2
	v_sub_nc_u32_e32 v14, v7, v15
	v_cmp_le_i32_e64 s3, v9, v16
	v_lshl_add_u32 v17, v14, 2, v4
	v_cmp_gt_i32_e64 s5, v13, v14
	ds_read_b32 v7, v18
	ds_read_b32 v8, v17
	s_waitcnt lgkmcnt(0)
	v_cmp_lt_i32_e64 s4, v8, v7
	s_or_b32 s3, s3, s4
	s_and_b32 s3, s5, s3
	s_xor_b32 s4, s3, -1
	s_and_saveexec_b32 s5, s4
	s_xor_b32 s4, exec_lo, s5
; %bb.101:
	ds_read_b32 v2, v18 offset:4
                                        ; implicit-def: $vgpr17
; %bb.102:
	s_or_saveexec_b32 s4, s4
	v_mov_b32_e32 v15, v8
	s_xor_b32 exec_lo, exec_lo, s4
	s_cbranch_execz .LBB43_104
; %bb.103:
	ds_read_b32 v15, v17 offset:4
	s_waitcnt lgkmcnt(1)
	v_mov_b32_e32 v2, v7
.LBB43_104:
	s_or_b32 exec_lo, exec_lo, s4
	v_add_nc_u32_e32 v17, 1, v16
	v_add_nc_u32_e32 v18, 1, v14
	s_waitcnt lgkmcnt(0)
	v_cmp_lt_i32_e64 s5, v15, v2
	v_cndmask_b32_e64 v19, v17, v16, s3
	v_cndmask_b32_e64 v20, v14, v18, s3
                                        ; implicit-def: $vgpr17
	v_cmp_ge_i32_e64 s4, v19, v9
	v_cmp_lt_i32_e64 s6, v20, v13
	s_or_b32 s4, s4, s5
	s_and_b32 s4, s6, s4
	s_xor_b32 s5, s4, -1
	s_and_saveexec_b32 s6, s5
	s_xor_b32 s5, exec_lo, s6
; %bb.105:
	v_lshl_add_u32 v17, v19, 2, v4
	ds_read_b32 v17, v17 offset:4
; %bb.106:
	s_or_saveexec_b32 s5, s5
	v_mov_b32_e32 v18, v15
	s_xor_b32 exec_lo, exec_lo, s5
	s_cbranch_execz .LBB43_108
; %bb.107:
	s_waitcnt lgkmcnt(0)
	v_lshl_add_u32 v17, v20, 2, v4
	ds_read_b32 v18, v17 offset:4
	v_mov_b32_e32 v17, v2
.LBB43_108:
	s_or_b32 exec_lo, exec_lo, s5
	v_add_nc_u32_e32 v21, 1, v19
	v_add_nc_u32_e32 v22, 1, v20
	s_waitcnt lgkmcnt(0)
	v_cmp_lt_i32_e64 s6, v18, v17
                                        ; implicit-def: $vgpr23
	v_cndmask_b32_e64 v25, v21, v19, s4
	v_cndmask_b32_e64 v21, v20, v22, s4
                                        ; implicit-def: $vgpr22
	v_cmp_ge_i32_e64 s5, v25, v9
	v_cmp_lt_i32_e64 s7, v21, v13
	s_or_b32 s5, s5, s6
	s_and_b32 s5, s7, s5
	s_xor_b32 s6, s5, -1
	s_and_saveexec_b32 s7, s6
	s_xor_b32 s6, exec_lo, s7
; %bb.109:
	v_lshl_add_u32 v22, v25, 2, v4
	ds_read_b32 v23, v22 offset:4
	v_add_nc_u32_e32 v22, 1, v25
; %bb.110:
	s_or_saveexec_b32 s6, s6
	v_mov_b32_e32 v24, v25
	v_mov_b32_e32 v26, v18
	s_xor_b32 exec_lo, exec_lo, s6
	s_cbranch_execz .LBB43_112
; %bb.111:
	v_lshl_add_u32 v22, v21, 2, v4
	s_waitcnt lgkmcnt(0)
	v_add_nc_u32_e32 v23, 1, v21
	v_mov_b32_e32 v24, v21
	ds_read_b32 v26, v22 offset:4
	v_mov_b32_e32 v22, v25
	v_mov_b32_e32 v21, v23
	v_mov_b32_e32 v23, v17
.LBB43_112:
	s_or_b32 exec_lo, exec_lo, s6
	v_cmp_ge_i32_e64 s6, v22, v9
	s_waitcnt lgkmcnt(0)
	v_cmp_lt_i32_e64 s7, v26, v23
	v_cmp_lt_i32_e64 s8, v21, v13
	v_cndmask_b32_e64 v13, v16, v14, s3
	v_cndmask_b32_e64 v9, v19, v20, s4
	s_or_b32 s6, s6, s7
	; wave barrier
	s_and_b32 s6, s8, s6
	ds_write2_b32 v6, v5, v10 offset1:1
	ds_write2_b32 v6, v11, v12 offset0:2 offset1:3
	v_cndmask_b32_e64 v16, v22, v21, s6
	v_lshl_add_u32 v5, v13, 2, v4
	v_lshl_add_u32 v6, v9, 2, v4
	;; [unrolled: 1-line block ×4, first 2 shown]
	; wave barrier
	ds_read_b32 v5, v5
	ds_read_b32 v6, v6
	;; [unrolled: 1-line block ×4, first 2 shown]
	v_cndmask_b32_e64 v14, v23, v26, s6
	v_cndmask_b32_e64 v7, v7, v8, s3
	;; [unrolled: 1-line block ×4, first 2 shown]
	v_add_co_u32 v0, s3, s10, v0
	v_add_co_ci_u32_e64 v1, null, s11, v1, s3
	v_add_co_u32 v0, s3, v0, v3
	v_add_co_ci_u32_e64 v1, null, 0, v1, s3
	s_waitcnt lgkmcnt(3)
	v_add_nc_u32_e32 v5, v5, v7
	s_waitcnt lgkmcnt(2)
	v_add_nc_u32_e32 v10, v2, v6
	;; [unrolled: 2-line block ×4, first 2 shown]
	v_cndmask_b32_e32 v6, v7, v5, vcc_lo
	v_cndmask_b32_e64 v5, v2, v10, s0
	v_cndmask_b32_e64 v4, v8, v9, s1
	;; [unrolled: 1-line block ×3, first 2 shown]
	s_and_saveexec_b32 s3, vcc_lo
	s_cbranch_execnz .LBB43_117
; %bb.113:
	s_or_b32 exec_lo, exec_lo, s3
	s_and_saveexec_b32 s3, s0
	s_cbranch_execnz .LBB43_118
.LBB43_114:
	s_or_b32 exec_lo, exec_lo, s3
	s_and_saveexec_b32 s0, s1
	s_cbranch_execnz .LBB43_119
.LBB43_115:
	s_or_b32 exec_lo, exec_lo, s0
	s_and_saveexec_b32 s0, s2
	s_cbranch_execnz .LBB43_120
.LBB43_116:
	s_endpgm
.LBB43_117:
	global_store_dword v[0:1], v6, off
	s_or_b32 exec_lo, exec_lo, s3
	s_and_saveexec_b32 s3, s0
	s_cbranch_execz .LBB43_114
.LBB43_118:
	global_store_dword v[0:1], v5, off offset:4
	s_or_b32 exec_lo, exec_lo, s3
	s_and_saveexec_b32 s0, s1
	s_cbranch_execz .LBB43_115
.LBB43_119:
	global_store_dword v[0:1], v4, off offset:8
	s_or_b32 exec_lo, exec_lo, s0
	s_and_saveexec_b32 s0, s2
	s_cbranch_execz .LBB43_116
.LBB43_120:
	global_store_dword v[0:1], v2, off offset:12
	s_endpgm
	.section	.rodata,"a",@progbits
	.p2align	6, 0x0
	.amdhsa_kernel _Z20sort_pairs_segmentedILj256ELj64ELj4EiN10test_utils4lessEEvPKT2_PS2_PKjT3_
		.amdhsa_group_segment_fixed_size 4112
		.amdhsa_private_segment_fixed_size 0
		.amdhsa_kernarg_size 28
		.amdhsa_user_sgpr_count 6
		.amdhsa_user_sgpr_private_segment_buffer 1
		.amdhsa_user_sgpr_dispatch_ptr 0
		.amdhsa_user_sgpr_queue_ptr 0
		.amdhsa_user_sgpr_kernarg_segment_ptr 1
		.amdhsa_user_sgpr_dispatch_id 0
		.amdhsa_user_sgpr_flat_scratch_init 0
		.amdhsa_user_sgpr_private_segment_size 0
		.amdhsa_wavefront_size32 1
		.amdhsa_uses_dynamic_stack 0
		.amdhsa_system_sgpr_private_segment_wavefront_offset 0
		.amdhsa_system_sgpr_workgroup_id_x 1
		.amdhsa_system_sgpr_workgroup_id_y 0
		.amdhsa_system_sgpr_workgroup_id_z 0
		.amdhsa_system_sgpr_workgroup_info 0
		.amdhsa_system_vgpr_workitem_id 0
		.amdhsa_next_free_vgpr 32
		.amdhsa_next_free_sgpr 12
		.amdhsa_reserve_vcc 1
		.amdhsa_reserve_flat_scratch 0
		.amdhsa_float_round_mode_32 0
		.amdhsa_float_round_mode_16_64 0
		.amdhsa_float_denorm_mode_32 3
		.amdhsa_float_denorm_mode_16_64 3
		.amdhsa_dx10_clamp 1
		.amdhsa_ieee_mode 1
		.amdhsa_fp16_overflow 0
		.amdhsa_workgroup_processor_mode 1
		.amdhsa_memory_ordered 1
		.amdhsa_forward_progress 1
		.amdhsa_shared_vgpr_count 0
		.amdhsa_exception_fp_ieee_invalid_op 0
		.amdhsa_exception_fp_denorm_src 0
		.amdhsa_exception_fp_ieee_div_zero 0
		.amdhsa_exception_fp_ieee_overflow 0
		.amdhsa_exception_fp_ieee_underflow 0
		.amdhsa_exception_fp_ieee_inexact 0
		.amdhsa_exception_int_div_zero 0
	.end_amdhsa_kernel
	.section	.text._Z20sort_pairs_segmentedILj256ELj64ELj4EiN10test_utils4lessEEvPKT2_PS2_PKjT3_,"axG",@progbits,_Z20sort_pairs_segmentedILj256ELj64ELj4EiN10test_utils4lessEEvPKT2_PS2_PKjT3_,comdat
.Lfunc_end43:
	.size	_Z20sort_pairs_segmentedILj256ELj64ELj4EiN10test_utils4lessEEvPKT2_PS2_PKjT3_, .Lfunc_end43-_Z20sort_pairs_segmentedILj256ELj64ELj4EiN10test_utils4lessEEvPKT2_PS2_PKjT3_
                                        ; -- End function
	.set _Z20sort_pairs_segmentedILj256ELj64ELj4EiN10test_utils4lessEEvPKT2_PS2_PKjT3_.num_vgpr, 32
	.set _Z20sort_pairs_segmentedILj256ELj64ELj4EiN10test_utils4lessEEvPKT2_PS2_PKjT3_.num_agpr, 0
	.set _Z20sort_pairs_segmentedILj256ELj64ELj4EiN10test_utils4lessEEvPKT2_PS2_PKjT3_.numbered_sgpr, 12
	.set _Z20sort_pairs_segmentedILj256ELj64ELj4EiN10test_utils4lessEEvPKT2_PS2_PKjT3_.num_named_barrier, 0
	.set _Z20sort_pairs_segmentedILj256ELj64ELj4EiN10test_utils4lessEEvPKT2_PS2_PKjT3_.private_seg_size, 0
	.set _Z20sort_pairs_segmentedILj256ELj64ELj4EiN10test_utils4lessEEvPKT2_PS2_PKjT3_.uses_vcc, 1
	.set _Z20sort_pairs_segmentedILj256ELj64ELj4EiN10test_utils4lessEEvPKT2_PS2_PKjT3_.uses_flat_scratch, 0
	.set _Z20sort_pairs_segmentedILj256ELj64ELj4EiN10test_utils4lessEEvPKT2_PS2_PKjT3_.has_dyn_sized_stack, 0
	.set _Z20sort_pairs_segmentedILj256ELj64ELj4EiN10test_utils4lessEEvPKT2_PS2_PKjT3_.has_recursion, 0
	.set _Z20sort_pairs_segmentedILj256ELj64ELj4EiN10test_utils4lessEEvPKT2_PS2_PKjT3_.has_indirect_call, 0
	.section	.AMDGPU.csdata,"",@progbits
; Kernel info:
; codeLenInByte = 6228
; TotalNumSgprs: 14
; NumVgprs: 32
; ScratchSize: 0
; MemoryBound: 0
; FloatMode: 240
; IeeeMode: 1
; LDSByteSize: 4112 bytes/workgroup (compile time only)
; SGPRBlocks: 0
; VGPRBlocks: 3
; NumSGPRsForWavesPerEU: 14
; NumVGPRsForWavesPerEU: 32
; Occupancy: 16
; WaveLimiterHint : 0
; COMPUTE_PGM_RSRC2:SCRATCH_EN: 0
; COMPUTE_PGM_RSRC2:USER_SGPR: 6
; COMPUTE_PGM_RSRC2:TRAP_HANDLER: 0
; COMPUTE_PGM_RSRC2:TGID_X_EN: 1
; COMPUTE_PGM_RSRC2:TGID_Y_EN: 0
; COMPUTE_PGM_RSRC2:TGID_Z_EN: 0
; COMPUTE_PGM_RSRC2:TIDIG_COMP_CNT: 0
	.section	.text._Z9sort_keysILj256ELj64ELj8EiN10test_utils4lessEEvPKT2_PS2_T3_,"axG",@progbits,_Z9sort_keysILj256ELj64ELj8EiN10test_utils4lessEEvPKT2_PS2_T3_,comdat
	.protected	_Z9sort_keysILj256ELj64ELj8EiN10test_utils4lessEEvPKT2_PS2_T3_ ; -- Begin function _Z9sort_keysILj256ELj64ELj8EiN10test_utils4lessEEvPKT2_PS2_T3_
	.globl	_Z9sort_keysILj256ELj64ELj8EiN10test_utils4lessEEvPKT2_PS2_T3_
	.p2align	8
	.type	_Z9sort_keysILj256ELj64ELj8EiN10test_utils4lessEEvPKT2_PS2_T3_,@function
_Z9sort_keysILj256ELj64ELj8EiN10test_utils4lessEEvPKT2_PS2_T3_: ; @_Z9sort_keysILj256ELj64ELj8EiN10test_utils4lessEEvPKT2_PS2_T3_
; %bb.0:
	s_load_dwordx4 s[8:11], s[4:5], 0x0
	s_mov_b32 s5, 0
	s_lshl_b32 s4, s6, 11
	v_lshlrev_b32_e32 v1, 5, v0
	s_lshl_b64 s[12:13], s[4:5], 2
	v_lshrrev_b32_e32 v8, 6, v0
	v_lshlrev_b32_e32 v3, 3, v0
	v_mul_u32_u24_e32 v0, 0x804, v8
	s_waitcnt lgkmcnt(0)
	s_add_u32 s0, s8, s12
	s_addc_u32 s1, s9, s13
	s_clause 0x1
	global_load_dwordx4 v[11:14], v1, s[0:1]
	global_load_dwordx4 v[15:18], v1, s[0:1] offset:16
	v_mbcnt_lo_u32_b32 v1, -1, 0
	; wave barrier
	v_lshlrev_b32_e32 v2, 3, v1
	v_lshlrev_b32_e32 v1, 5, v1
	v_and_b32_e32 v6, 0xf0, v2
	v_and_b32_e32 v7, 8, v2
	v_mad_u32_u24 v1, 0x804, v8, v1
	v_or_b32_e32 v5, 8, v6
	v_add_nc_u32_e32 v4, 16, v6
	v_lshlrev_b32_e32 v10, 2, v6
	v_sub_nc_u32_e32 v19, v5, v6
	v_sub_nc_u32_e32 v9, v4, v5
	v_mad_u32_u24 v8, 0x804, v8, v10
	v_min_i32_e32 v10, v7, v19
	v_sub_nc_u32_e32 v20, v7, v9
	v_cmp_ge_i32_e32 vcc_lo, v7, v9
	v_cndmask_b32_e32 v9, 0, v20, vcc_lo
	s_waitcnt vmcnt(1)
	v_cmp_lt_i32_e32 vcc_lo, v12, v11
	v_min_i32_e32 v20, v12, v11
	v_max_i32_e32 v21, v12, v11
	v_cmp_lt_i32_e64 s0, v14, v13
	v_max_i32_e32 v23, v14, v13
	v_min_i32_e32 v24, v14, v13
	s_waitcnt vmcnt(0)
	v_cmp_lt_i32_e64 s1, v16, v15
	v_max_i32_e32 v26, v16, v15
	v_min_i32_e32 v27, v16, v15
	v_cmp_lt_i32_e64 s2, v18, v17
	v_min_i32_e32 v30, v18, v17
	v_max_i32_e32 v29, v18, v17
	v_cndmask_b32_e32 v19, v11, v12, vcc_lo
	v_cndmask_b32_e64 v22, v14, v13, s0
	v_cndmask_b32_e64 v25, v16, v15, s1
	;; [unrolled: 1-line block ×3, first 2 shown]
	v_cndmask_b32_e32 v11, v12, v11, vcc_lo
	v_cndmask_b32_e64 v12, v13, v14, s0
	v_cndmask_b32_e64 v13, v15, v16, s1
	;; [unrolled: 1-line block ×3, first 2 shown]
	v_cmp_lt_i32_e32 vcc_lo, v24, v21
	v_max_i32_e32 v15, v24, v21
	v_min_i32_e32 v16, v24, v21
	v_cmp_lt_i32_e64 s0, v27, v23
	v_min_i32_e32 v18, v27, v23
	v_cmp_lt_i32_e64 s1, v30, v26
	v_cmp_lt_i32_e64 s2, v24, v20
	v_max_i32_e32 v17, v27, v23
	v_max_i32_e32 v31, v30, v26
	v_min_i32_e32 v32, v30, v26
	v_cmp_gt_i32_e64 s3, v26, v29
	v_cndmask_b32_e32 v12, v12, v21, vcc_lo
	v_cndmask_b32_e32 v11, v11, v24, vcc_lo
	v_cndmask_b32_e64 v13, v13, v23, s0
	v_cndmask_b32_e64 v21, v22, v27, s0
	;; [unrolled: 1-line block ×6, first 2 shown]
	v_cmp_lt_i32_e32 vcc_lo, v18, v15
	v_min_i32_e32 v25, v18, v15
	v_cndmask_b32_e64 v14, v14, v26, s1
	v_max_i32_e32 v26, v32, v17
	v_cndmask_b32_e64 v28, v28, v31, s3
	v_cndmask_b32_e64 v30, v29, v31, s3
	v_cndmask_b32_e64 v31, v31, v29, s3
	v_max_i32_e32 v24, v18, v15
	v_cmp_lt_i32_e64 s0, v32, v17
	v_min_i32_e32 v27, v32, v17
	v_cndmask_b32_e64 v11, v11, v20, s2
	v_cndmask_b32_e32 v15, v21, v15, vcc_lo
	v_cndmask_b32_e32 v12, v12, v18, vcc_lo
	v_cmp_lt_i32_e32 vcc_lo, v25, v16
	v_min_i32_e32 v20, v25, v16
	v_cndmask_b32_e64 v14, v14, v29, s3
	v_max_i32_e32 v29, v31, v26
	v_cndmask_b32_e64 v17, v22, v17, s0
	v_cndmask_b32_e64 v13, v13, v32, s0
	v_max_i32_e32 v18, v25, v16
	v_cmp_lt_i32_e64 s0, v27, v24
	v_max_i32_e32 v21, v27, v24
	v_min_i32_e32 v22, v27, v24
	v_cmp_lt_i32_e64 s1, v31, v26
	v_min_i32_e32 v32, v31, v26
	v_cndmask_b32_e32 v12, v12, v16, vcc_lo
	v_cndmask_b32_e32 v11, v11, v25, vcc_lo
	v_cmp_lt_i32_e32 vcc_lo, v20, v23
	v_cmp_lt_i32_e64 s2, v30, v29
	v_cndmask_b32_e64 v13, v13, v24, s0
	v_cndmask_b32_e64 v15, v15, v27, s0
	;; [unrolled: 1-line block ×4, first 2 shown]
	v_cndmask_b32_e32 v17, v19, v20, vcc_lo
	v_min_i32_e32 v19, v20, v23
	v_max_i32_e32 v20, v20, v23
	v_cmp_lt_i32_e64 s0, v22, v18
	v_max_i32_e32 v24, v22, v18
	v_min_i32_e32 v25, v22, v18
	v_cmp_lt_i32_e64 s1, v32, v21
	v_min_i32_e32 v27, v32, v21
	v_max_i32_e32 v26, v32, v21
	v_cndmask_b32_e64 v28, v28, v29, s2
	v_max_i32_e32 v31, v30, v29
	v_min_i32_e32 v29, v30, v29
	v_cndmask_b32_e32 v11, v11, v23, vcc_lo
	v_cndmask_b32_e64 v15, v15, v18, s0
	v_cndmask_b32_e64 v12, v12, v22, s0
	;; [unrolled: 1-line block ×5, first 2 shown]
	v_cmp_lt_i32_e32 vcc_lo, v25, v20
	v_max_i32_e32 v18, v25, v20
	v_min_i32_e32 v21, v25, v20
	v_cmp_lt_i32_e64 s0, v27, v24
	v_min_i32_e32 v23, v27, v24
	v_cmp_lt_i32_e64 s2, v25, v19
	v_max_i32_e32 v22, v27, v24
	v_cmp_lt_i32_e64 s1, v29, v26
	v_min_i32_e32 v32, v29, v26
	v_max_i32_e32 v30, v29, v26
	v_cmp_gt_i32_e64 s3, v26, v31
	v_cndmask_b32_e32 v11, v11, v25, vcc_lo
	v_cndmask_b32_e32 v12, v12, v20, vcc_lo
	v_cndmask_b32_e64 v13, v13, v24, s0
	v_cndmask_b32_e64 v15, v15, v27, s0
	v_cndmask_b32_e64 v20, v21, v19, s2
	v_cmp_lt_i32_e32 vcc_lo, v23, v18
	v_min_i32_e32 v24, v23, v18
	v_cndmask_b32_e64 v14, v14, v26, s1
	v_cndmask_b32_e64 v16, v16, v29, s1
	;; [unrolled: 1-line block ×3, first 2 shown]
	v_max_i32_e32 v21, v23, v18
	v_cmp_lt_i32_e64 s0, v32, v22
	v_min_i32_e32 v26, v32, v22
	v_max_i32_e32 v25, v32, v22
	v_cndmask_b32_e64 v27, v28, v30, s3
	v_cndmask_b32_e64 v28, v30, v31, s3
	;; [unrolled: 1-line block ×3, first 2 shown]
	v_cndmask_b32_e32 v12, v12, v23, vcc_lo
	v_cndmask_b32_e32 v15, v15, v18, vcc_lo
	v_cmp_lt_i32_e32 vcc_lo, v24, v20
	v_cndmask_b32_e64 v16, v16, v22, s0
	v_cndmask_b32_e64 v13, v13, v32, s0
	v_cmp_lt_i32_e64 s0, v26, v21
	v_cmp_lt_i32_e64 s1, v28, v25
	v_cndmask_b32_e64 v14, v14, v31, s3
	v_cndmask_b32_e32 v11, v11, v24, vcc_lo
	v_cndmask_b32_e32 v12, v12, v20, vcc_lo
	v_cndmask_b32_e64 v15, v15, v26, s0
	v_cndmask_b32_e64 v13, v13, v21, s0
	;; [unrolled: 1-line block ×4, first 2 shown]
	s_mov_b32 s0, exec_lo
	ds_write2_b32 v1, v17, v11 offset1:1
	ds_write2_b32 v1, v12, v15 offset0:2 offset1:3
	ds_write2_b32 v1, v13, v16 offset0:4 offset1:5
	;; [unrolled: 1-line block ×3, first 2 shown]
	; wave barrier
	v_cmpx_lt_i32_e64 v9, v10
	s_cbranch_execz .LBB44_4
; %bb.1:
	v_lshlrev_b32_e32 v11, 2, v5
	v_lshlrev_b32_e32 v12, 2, v7
	v_add3_u32 v11, v0, v11, v12
	.p2align	6
.LBB44_2:                               ; =>This Inner Loop Header: Depth=1
	v_sub_nc_u32_e32 v12, v10, v9
	v_lshrrev_b32_e32 v12, 1, v12
	v_add_nc_u32_e32 v12, v12, v9
	v_not_b32_e32 v13, v12
	v_lshl_add_u32 v14, v12, 2, v8
	v_add_nc_u32_e32 v15, 1, v12
	v_lshl_add_u32 v13, v13, 2, v11
	ds_read_b32 v14, v14
	ds_read_b32 v13, v13
	s_waitcnt lgkmcnt(0)
	v_cmp_lt_i32_e32 vcc_lo, v13, v14
	v_cndmask_b32_e32 v10, v10, v12, vcc_lo
	v_cndmask_b32_e32 v9, v15, v9, vcc_lo
	v_cmp_ge_i32_e32 vcc_lo, v9, v10
	s_or_b32 s5, vcc_lo, s5
	s_andn2_b32 exec_lo, exec_lo, s5
	s_cbranch_execnz .LBB44_2
; %bb.3:
	s_or_b32 exec_lo, exec_lo, s5
.LBB44_4:
	s_or_b32 exec_lo, exec_lo, s0
	v_add_nc_u32_e32 v7, v5, v7
	v_lshl_add_u32 v10, v9, 2, v8
	v_add_nc_u32_e32 v6, v9, v6
	v_sub_nc_u32_e32 v11, v7, v9
                                        ; implicit-def: $vgpr9
	v_cmp_le_i32_e32 vcc_lo, v5, v6
	v_lshl_add_u32 v12, v11, 2, v0
	v_cmp_gt_i32_e64 s1, v4, v11
	ds_read_b32 v7, v10
	ds_read_b32 v8, v12
	s_waitcnt lgkmcnt(0)
	v_cmp_lt_i32_e64 s0, v8, v7
	s_or_b32 s0, vcc_lo, s0
	s_and_b32 vcc_lo, s1, s0
	s_xor_b32 s0, vcc_lo, -1
	s_and_saveexec_b32 s1, s0
	s_xor_b32 s0, exec_lo, s1
; %bb.5:
	ds_read_b32 v9, v10 offset:4
                                        ; implicit-def: $vgpr12
; %bb.6:
	s_or_saveexec_b32 s0, s0
	v_mov_b32_e32 v10, v8
	s_xor_b32 exec_lo, exec_lo, s0
	s_cbranch_execz .LBB44_8
; %bb.7:
	ds_read_b32 v10, v12 offset:4
	s_waitcnt lgkmcnt(1)
	v_mov_b32_e32 v9, v7
.LBB44_8:
	s_or_b32 exec_lo, exec_lo, s0
	v_add_nc_u32_e32 v12, 1, v6
	v_add_nc_u32_e32 v14, 1, v11
	s_waitcnt lgkmcnt(0)
	v_cmp_lt_i32_e64 s1, v10, v9
	v_cndmask_b32_e32 v13, v12, v6, vcc_lo
	v_cndmask_b32_e32 v12, v11, v14, vcc_lo
                                        ; implicit-def: $vgpr6
	v_cmp_ge_i32_e64 s0, v13, v5
	v_cmp_lt_i32_e64 s2, v12, v4
	s_or_b32 s0, s0, s1
	s_and_b32 s0, s2, s0
	s_xor_b32 s1, s0, -1
	s_and_saveexec_b32 s2, s1
	s_xor_b32 s1, exec_lo, s2
; %bb.9:
	v_lshl_add_u32 v6, v13, 2, v0
	ds_read_b32 v6, v6 offset:4
; %bb.10:
	s_or_saveexec_b32 s1, s1
	v_mov_b32_e32 v11, v10
	s_xor_b32 exec_lo, exec_lo, s1
	s_cbranch_execz .LBB44_12
; %bb.11:
	s_waitcnt lgkmcnt(0)
	v_lshl_add_u32 v6, v12, 2, v0
	ds_read_b32 v11, v6 offset:4
	v_mov_b32_e32 v6, v9
.LBB44_12:
	s_or_b32 exec_lo, exec_lo, s1
	v_add_nc_u32_e32 v14, 1, v13
	v_add_nc_u32_e32 v16, 1, v12
	s_waitcnt lgkmcnt(0)
	v_cmp_lt_i32_e64 s2, v11, v6
	v_cndmask_b32_e64 v15, v14, v13, s0
	v_cndmask_b32_e64 v14, v12, v16, s0
                                        ; implicit-def: $vgpr12
	v_cmp_ge_i32_e64 s1, v15, v5
	v_cmp_lt_i32_e64 s3, v14, v4
	s_or_b32 s1, s1, s2
	s_and_b32 s1, s3, s1
	s_xor_b32 s2, s1, -1
	s_and_saveexec_b32 s3, s2
	s_xor_b32 s2, exec_lo, s3
; %bb.13:
	v_lshl_add_u32 v12, v15, 2, v0
	ds_read_b32 v12, v12 offset:4
; %bb.14:
	s_or_saveexec_b32 s2, s2
	v_mov_b32_e32 v13, v11
	s_xor_b32 exec_lo, exec_lo, s2
	s_cbranch_execz .LBB44_16
; %bb.15:
	s_waitcnt lgkmcnt(0)
	v_lshl_add_u32 v12, v14, 2, v0
	ds_read_b32 v13, v12 offset:4
	v_mov_b32_e32 v12, v6
.LBB44_16:
	s_or_b32 exec_lo, exec_lo, s2
	v_add_nc_u32_e32 v16, 1, v15
	v_add_nc_u32_e32 v18, 1, v14
	s_waitcnt lgkmcnt(0)
	v_cmp_lt_i32_e64 s3, v13, v12
	v_cndmask_b32_e64 v17, v16, v15, s1
	v_cndmask_b32_e64 v16, v14, v18, s1
                                        ; implicit-def: $vgpr14
	v_cmp_ge_i32_e64 s2, v17, v5
	v_cmp_lt_i32_e64 s4, v16, v4
	s_or_b32 s2, s2, s3
	s_and_b32 s2, s4, s2
	s_xor_b32 s3, s2, -1
	s_and_saveexec_b32 s4, s3
	s_xor_b32 s3, exec_lo, s4
; %bb.17:
	v_lshl_add_u32 v14, v17, 2, v0
	ds_read_b32 v14, v14 offset:4
; %bb.18:
	s_or_saveexec_b32 s3, s3
	v_mov_b32_e32 v15, v13
	s_xor_b32 exec_lo, exec_lo, s3
	s_cbranch_execz .LBB44_20
; %bb.19:
	s_waitcnt lgkmcnt(0)
	v_lshl_add_u32 v14, v16, 2, v0
	ds_read_b32 v15, v14 offset:4
	v_mov_b32_e32 v14, v12
.LBB44_20:
	s_or_b32 exec_lo, exec_lo, s3
	v_add_nc_u32_e32 v18, 1, v17
	v_add_nc_u32_e32 v20, 1, v16
	s_waitcnt lgkmcnt(0)
	v_cmp_lt_i32_e64 s4, v15, v14
	v_cndmask_b32_e64 v19, v18, v17, s2
	v_cndmask_b32_e64 v18, v16, v20, s2
                                        ; implicit-def: $vgpr16
	v_cmp_ge_i32_e64 s3, v19, v5
	v_cmp_lt_i32_e64 s5, v18, v4
	s_or_b32 s3, s3, s4
	s_and_b32 s3, s5, s3
	s_xor_b32 s4, s3, -1
	s_and_saveexec_b32 s5, s4
	s_xor_b32 s4, exec_lo, s5
; %bb.21:
	v_lshl_add_u32 v16, v19, 2, v0
	ds_read_b32 v16, v16 offset:4
; %bb.22:
	s_or_saveexec_b32 s4, s4
	v_mov_b32_e32 v17, v15
	s_xor_b32 exec_lo, exec_lo, s4
	s_cbranch_execz .LBB44_24
; %bb.23:
	s_waitcnt lgkmcnt(0)
	v_lshl_add_u32 v16, v18, 2, v0
	ds_read_b32 v17, v16 offset:4
	v_mov_b32_e32 v16, v14
.LBB44_24:
	s_or_b32 exec_lo, exec_lo, s4
	v_add_nc_u32_e32 v20, 1, v19
	v_add_nc_u32_e32 v21, 1, v18
	s_waitcnt lgkmcnt(0)
	v_cmp_lt_i32_e64 s5, v17, v16
	v_cndmask_b32_e64 v19, v20, v19, s3
	v_cndmask_b32_e64 v18, v18, v21, s3
                                        ; implicit-def: $vgpr20
	v_cmp_ge_i32_e64 s4, v19, v5
	v_cmp_lt_i32_e64 s6, v18, v4
	s_or_b32 s4, s4, s5
	s_and_b32 s4, s6, s4
	s_xor_b32 s5, s4, -1
	s_and_saveexec_b32 s6, s5
	s_xor_b32 s5, exec_lo, s6
; %bb.25:
	v_lshl_add_u32 v20, v19, 2, v0
	ds_read_b32 v20, v20 offset:4
; %bb.26:
	s_or_saveexec_b32 s5, s5
	v_mov_b32_e32 v22, v17
	s_xor_b32 exec_lo, exec_lo, s5
	s_cbranch_execz .LBB44_28
; %bb.27:
	s_waitcnt lgkmcnt(0)
	v_lshl_add_u32 v20, v18, 2, v0
	ds_read_b32 v22, v20 offset:4
	v_mov_b32_e32 v20, v16
.LBB44_28:
	s_or_b32 exec_lo, exec_lo, s5
	v_add_nc_u32_e32 v21, 1, v19
	v_add_nc_u32_e32 v24, 1, v18
	s_waitcnt lgkmcnt(0)
	v_cmp_lt_i32_e64 s6, v22, v20
	v_cndmask_b32_e64 v23, v21, v19, s4
	v_cndmask_b32_e64 v19, v18, v24, s4
                                        ; implicit-def: $vgpr18
	v_cmp_ge_i32_e64 s5, v23, v5
	v_cmp_lt_i32_e64 s7, v19, v4
	s_or_b32 s5, s5, s6
	s_and_b32 s5, s7, s5
	s_xor_b32 s6, s5, -1
	s_and_saveexec_b32 s7, s6
	s_xor_b32 s6, exec_lo, s7
; %bb.29:
	v_lshl_add_u32 v18, v23, 2, v0
	ds_read_b32 v18, v18 offset:4
; %bb.30:
	s_or_saveexec_b32 s6, s6
	v_mov_b32_e32 v21, v22
	s_xor_b32 exec_lo, exec_lo, s6
	s_cbranch_execz .LBB44_32
; %bb.31:
	s_waitcnt lgkmcnt(0)
	v_lshl_add_u32 v18, v19, 2, v0
	ds_read_b32 v21, v18 offset:4
	v_mov_b32_e32 v18, v20
.LBB44_32:
	s_or_b32 exec_lo, exec_lo, s6
	v_add_nc_u32_e32 v24, 1, v23
	v_cndmask_b32_e64 v20, v20, v22, s5
	v_add_nc_u32_e32 v22, 1, v19
	v_cndmask_b32_e64 v16, v16, v17, s4
	v_cndmask_b32_e64 v15, v14, v15, s3
	;; [unrolled: 1-line block ×3, first 2 shown]
	v_and_b32_e32 v14, 0xe0, v2
	v_cndmask_b32_e64 v12, v12, v13, s2
	v_cndmask_b32_e64 v13, v19, v22, s5
	;; [unrolled: 1-line block ×3, first 2 shown]
	v_cmp_ge_i32_e64 s1, v17, v5
	v_or_b32_e32 v6, 16, v14
	v_add_nc_u32_e32 v5, 32, v14
	s_waitcnt lgkmcnt(0)
	v_cmp_lt_i32_e64 s2, v21, v18
	v_cndmask_b32_e64 v10, v9, v10, s0
	v_cmp_lt_i32_e64 s0, v13, v4
	v_and_b32_e32 v4, 24, v2
	v_sub_nc_u32_e32 v9, v5, v6
	s_or_b32 s1, s1, s2
	v_cndmask_b32_e32 v7, v7, v8, vcc_lo
	s_and_b32 vcc_lo, s0, s1
	v_sub_nc_u32_e32 v17, v6, v14
	v_cndmask_b32_e32 v13, v18, v21, vcc_lo
	v_sub_nc_u32_e32 v8, v4, v9
	v_cmp_ge_i32_e32 vcc_lo, v4, v9
	; wave barrier
	ds_write2_b32 v1, v7, v10 offset1:1
	ds_write2_b32 v1, v11, v12 offset0:2 offset1:3
	ds_write2_b32 v1, v15, v16 offset0:4 offset1:5
	v_lshl_add_u32 v7, v14, 2, v0
	v_cndmask_b32_e32 v9, 0, v8, vcc_lo
	v_min_i32_e32 v8, v4, v17
	s_mov_b32 s1, 0
	s_mov_b32 s0, exec_lo
	ds_write2_b32 v1, v20, v13 offset0:6 offset1:7
	; wave barrier
	v_cmpx_lt_i32_e64 v9, v8
	s_cbranch_execz .LBB44_36
; %bb.33:
	v_lshlrev_b32_e32 v10, 2, v6
	v_lshlrev_b32_e32 v11, 2, v4
	v_add3_u32 v10, v0, v10, v11
	.p2align	6
.LBB44_34:                              ; =>This Inner Loop Header: Depth=1
	v_sub_nc_u32_e32 v11, v8, v9
	v_lshrrev_b32_e32 v11, 1, v11
	v_add_nc_u32_e32 v11, v11, v9
	v_not_b32_e32 v12, v11
	v_lshl_add_u32 v13, v11, 2, v7
	v_add_nc_u32_e32 v15, 1, v11
	v_lshl_add_u32 v12, v12, 2, v10
	ds_read_b32 v13, v13
	ds_read_b32 v12, v12
	s_waitcnt lgkmcnt(0)
	v_cmp_lt_i32_e32 vcc_lo, v12, v13
	v_cndmask_b32_e32 v8, v8, v11, vcc_lo
	v_cndmask_b32_e32 v9, v15, v9, vcc_lo
	v_cmp_ge_i32_e32 vcc_lo, v9, v8
	s_or_b32 s1, vcc_lo, s1
	s_andn2_b32 exec_lo, exec_lo, s1
	s_cbranch_execnz .LBB44_34
; %bb.35:
	s_or_b32 exec_lo, exec_lo, s1
.LBB44_36:
	s_or_b32 exec_lo, exec_lo, s0
	v_add_nc_u32_e32 v4, v6, v4
	v_lshl_add_u32 v10, v9, 2, v7
	v_add_nc_u32_e32 v11, v9, v14
	v_sub_nc_u32_e32 v4, v4, v9
                                        ; implicit-def: $vgpr9
	v_cmp_le_i32_e32 vcc_lo, v6, v11
	v_lshl_add_u32 v12, v4, 2, v0
	v_cmp_gt_i32_e64 s1, v5, v4
	ds_read_b32 v7, v10
	ds_read_b32 v8, v12
	s_waitcnt lgkmcnt(0)
	v_cmp_lt_i32_e64 s0, v8, v7
	s_or_b32 s0, vcc_lo, s0
	s_and_b32 vcc_lo, s1, s0
	s_xor_b32 s0, vcc_lo, -1
	s_and_saveexec_b32 s1, s0
	s_xor_b32 s0, exec_lo, s1
; %bb.37:
	ds_read_b32 v9, v10 offset:4
                                        ; implicit-def: $vgpr12
; %bb.38:
	s_or_saveexec_b32 s0, s0
	v_mov_b32_e32 v10, v8
	s_xor_b32 exec_lo, exec_lo, s0
	s_cbranch_execz .LBB44_40
; %bb.39:
	ds_read_b32 v10, v12 offset:4
	s_waitcnt lgkmcnt(1)
	v_mov_b32_e32 v9, v7
.LBB44_40:
	s_or_b32 exec_lo, exec_lo, s0
	v_add_nc_u32_e32 v12, 1, v11
	v_add_nc_u32_e32 v14, 1, v4
	s_waitcnt lgkmcnt(0)
	v_cmp_lt_i32_e64 s1, v10, v9
	v_cndmask_b32_e32 v13, v12, v11, vcc_lo
	v_cndmask_b32_e32 v12, v4, v14, vcc_lo
                                        ; implicit-def: $vgpr4
	v_cmp_ge_i32_e64 s0, v13, v6
	v_cmp_lt_i32_e64 s2, v12, v5
	s_or_b32 s0, s0, s1
	s_and_b32 s0, s2, s0
	s_xor_b32 s1, s0, -1
	s_and_saveexec_b32 s2, s1
	s_xor_b32 s1, exec_lo, s2
; %bb.41:
	v_lshl_add_u32 v4, v13, 2, v0
	ds_read_b32 v4, v4 offset:4
; %bb.42:
	s_or_saveexec_b32 s1, s1
	v_mov_b32_e32 v11, v10
	s_xor_b32 exec_lo, exec_lo, s1
	s_cbranch_execz .LBB44_44
; %bb.43:
	s_waitcnt lgkmcnt(0)
	v_lshl_add_u32 v4, v12, 2, v0
	ds_read_b32 v11, v4 offset:4
	v_mov_b32_e32 v4, v9
.LBB44_44:
	s_or_b32 exec_lo, exec_lo, s1
	v_add_nc_u32_e32 v14, 1, v13
	v_add_nc_u32_e32 v16, 1, v12
	s_waitcnt lgkmcnt(0)
	v_cmp_lt_i32_e64 s2, v11, v4
	v_cndmask_b32_e64 v15, v14, v13, s0
	v_cndmask_b32_e64 v14, v12, v16, s0
                                        ; implicit-def: $vgpr12
	v_cmp_ge_i32_e64 s1, v15, v6
	v_cmp_lt_i32_e64 s3, v14, v5
	s_or_b32 s1, s1, s2
	s_and_b32 s1, s3, s1
	s_xor_b32 s2, s1, -1
	s_and_saveexec_b32 s3, s2
	s_xor_b32 s2, exec_lo, s3
; %bb.45:
	v_lshl_add_u32 v12, v15, 2, v0
	ds_read_b32 v12, v12 offset:4
; %bb.46:
	s_or_saveexec_b32 s2, s2
	v_mov_b32_e32 v13, v11
	s_xor_b32 exec_lo, exec_lo, s2
	s_cbranch_execz .LBB44_48
; %bb.47:
	s_waitcnt lgkmcnt(0)
	v_lshl_add_u32 v12, v14, 2, v0
	ds_read_b32 v13, v12 offset:4
	v_mov_b32_e32 v12, v4
.LBB44_48:
	s_or_b32 exec_lo, exec_lo, s2
	v_add_nc_u32_e32 v16, 1, v15
	v_add_nc_u32_e32 v18, 1, v14
	s_waitcnt lgkmcnt(0)
	v_cmp_lt_i32_e64 s3, v13, v12
	v_cndmask_b32_e64 v17, v16, v15, s1
	v_cndmask_b32_e64 v16, v14, v18, s1
                                        ; implicit-def: $vgpr14
	v_cmp_ge_i32_e64 s2, v17, v6
	v_cmp_lt_i32_e64 s4, v16, v5
	s_or_b32 s2, s2, s3
	s_and_b32 s2, s4, s2
	s_xor_b32 s3, s2, -1
	s_and_saveexec_b32 s4, s3
	s_xor_b32 s3, exec_lo, s4
; %bb.49:
	v_lshl_add_u32 v14, v17, 2, v0
	ds_read_b32 v14, v14 offset:4
; %bb.50:
	s_or_saveexec_b32 s3, s3
	v_mov_b32_e32 v15, v13
	s_xor_b32 exec_lo, exec_lo, s3
	s_cbranch_execz .LBB44_52
; %bb.51:
	s_waitcnt lgkmcnt(0)
	v_lshl_add_u32 v14, v16, 2, v0
	ds_read_b32 v15, v14 offset:4
	v_mov_b32_e32 v14, v12
.LBB44_52:
	s_or_b32 exec_lo, exec_lo, s3
	v_add_nc_u32_e32 v18, 1, v17
	v_add_nc_u32_e32 v20, 1, v16
	s_waitcnt lgkmcnt(0)
	v_cmp_lt_i32_e64 s4, v15, v14
	v_cndmask_b32_e64 v19, v18, v17, s2
	v_cndmask_b32_e64 v18, v16, v20, s2
                                        ; implicit-def: $vgpr16
	v_cmp_ge_i32_e64 s3, v19, v6
	v_cmp_lt_i32_e64 s5, v18, v5
	s_or_b32 s3, s3, s4
	s_and_b32 s3, s5, s3
	s_xor_b32 s4, s3, -1
	s_and_saveexec_b32 s5, s4
	s_xor_b32 s4, exec_lo, s5
; %bb.53:
	v_lshl_add_u32 v16, v19, 2, v0
	ds_read_b32 v16, v16 offset:4
; %bb.54:
	s_or_saveexec_b32 s4, s4
	v_mov_b32_e32 v17, v15
	s_xor_b32 exec_lo, exec_lo, s4
	s_cbranch_execz .LBB44_56
; %bb.55:
	s_waitcnt lgkmcnt(0)
	v_lshl_add_u32 v16, v18, 2, v0
	ds_read_b32 v17, v16 offset:4
	v_mov_b32_e32 v16, v14
.LBB44_56:
	s_or_b32 exec_lo, exec_lo, s4
	v_add_nc_u32_e32 v20, 1, v19
	v_add_nc_u32_e32 v21, 1, v18
	s_waitcnt lgkmcnt(0)
	v_cmp_lt_i32_e64 s5, v17, v16
	v_cndmask_b32_e64 v19, v20, v19, s3
	v_cndmask_b32_e64 v18, v18, v21, s3
                                        ; implicit-def: $vgpr20
	v_cmp_ge_i32_e64 s4, v19, v6
	v_cmp_lt_i32_e64 s6, v18, v5
	s_or_b32 s4, s4, s5
	s_and_b32 s4, s6, s4
	s_xor_b32 s5, s4, -1
	s_and_saveexec_b32 s6, s5
	s_xor_b32 s5, exec_lo, s6
; %bb.57:
	v_lshl_add_u32 v20, v19, 2, v0
	ds_read_b32 v20, v20 offset:4
; %bb.58:
	s_or_saveexec_b32 s5, s5
	v_mov_b32_e32 v22, v17
	s_xor_b32 exec_lo, exec_lo, s5
	s_cbranch_execz .LBB44_60
; %bb.59:
	s_waitcnt lgkmcnt(0)
	v_lshl_add_u32 v20, v18, 2, v0
	ds_read_b32 v22, v20 offset:4
	v_mov_b32_e32 v20, v16
.LBB44_60:
	s_or_b32 exec_lo, exec_lo, s5
	v_add_nc_u32_e32 v21, 1, v19
	v_add_nc_u32_e32 v24, 1, v18
	s_waitcnt lgkmcnt(0)
	v_cmp_lt_i32_e64 s6, v22, v20
	v_cndmask_b32_e64 v23, v21, v19, s4
	v_cndmask_b32_e64 v19, v18, v24, s4
                                        ; implicit-def: $vgpr18
	v_cmp_ge_i32_e64 s5, v23, v6
	v_cmp_lt_i32_e64 s7, v19, v5
	s_or_b32 s5, s5, s6
	s_and_b32 s5, s7, s5
	s_xor_b32 s6, s5, -1
	s_and_saveexec_b32 s7, s6
	s_xor_b32 s6, exec_lo, s7
; %bb.61:
	v_lshl_add_u32 v18, v23, 2, v0
	ds_read_b32 v18, v18 offset:4
; %bb.62:
	s_or_saveexec_b32 s6, s6
	v_mov_b32_e32 v21, v22
	s_xor_b32 exec_lo, exec_lo, s6
	s_cbranch_execz .LBB44_64
; %bb.63:
	s_waitcnt lgkmcnt(0)
	v_lshl_add_u32 v18, v19, 2, v0
	ds_read_b32 v21, v18 offset:4
	v_mov_b32_e32 v18, v20
.LBB44_64:
	s_or_b32 exec_lo, exec_lo, s6
	v_add_nc_u32_e32 v24, 1, v23
	v_cndmask_b32_e64 v20, v20, v22, s5
	v_add_nc_u32_e32 v22, 1, v19
	v_cndmask_b32_e64 v16, v16, v17, s4
	v_cndmask_b32_e64 v15, v14, v15, s3
	;; [unrolled: 1-line block ×3, first 2 shown]
	v_and_b32_e32 v14, 0xc0, v2
	v_cndmask_b32_e64 v12, v12, v13, s2
	v_cndmask_b32_e64 v13, v19, v22, s5
	;; [unrolled: 1-line block ×3, first 2 shown]
	v_cmp_ge_i32_e64 s1, v17, v6
	v_or_b32_e32 v6, 32, v14
	v_add_nc_u32_e32 v4, 64, v14
	s_waitcnt lgkmcnt(0)
	v_cmp_lt_i32_e64 s2, v21, v18
	v_cndmask_b32_e64 v10, v9, v10, s0
	v_cmp_lt_i32_e64 s0, v13, v5
	v_and_b32_e32 v5, 56, v2
	v_sub_nc_u32_e32 v9, v4, v6
	s_or_b32 s1, s1, s2
	v_cndmask_b32_e32 v7, v7, v8, vcc_lo
	s_and_b32 vcc_lo, s0, s1
	v_sub_nc_u32_e32 v17, v6, v14
	v_cndmask_b32_e32 v13, v18, v21, vcc_lo
	v_sub_nc_u32_e32 v8, v5, v9
	v_cmp_ge_i32_e32 vcc_lo, v5, v9
	; wave barrier
	ds_write2_b32 v1, v7, v10 offset1:1
	ds_write2_b32 v1, v11, v12 offset0:2 offset1:3
	ds_write2_b32 v1, v15, v16 offset0:4 offset1:5
	v_lshl_add_u32 v7, v14, 2, v0
	v_cndmask_b32_e32 v9, 0, v8, vcc_lo
	v_min_i32_e32 v8, v5, v17
	s_mov_b32 s1, 0
	s_mov_b32 s0, exec_lo
	ds_write2_b32 v1, v20, v13 offset0:6 offset1:7
	; wave barrier
	v_cmpx_lt_i32_e64 v9, v8
	s_cbranch_execz .LBB44_68
; %bb.65:
	v_lshlrev_b32_e32 v10, 2, v6
	v_lshlrev_b32_e32 v11, 2, v5
	v_add3_u32 v10, v0, v10, v11
	.p2align	6
.LBB44_66:                              ; =>This Inner Loop Header: Depth=1
	v_sub_nc_u32_e32 v11, v8, v9
	v_lshrrev_b32_e32 v11, 1, v11
	v_add_nc_u32_e32 v11, v11, v9
	v_not_b32_e32 v12, v11
	v_lshl_add_u32 v13, v11, 2, v7
	v_add_nc_u32_e32 v15, 1, v11
	v_lshl_add_u32 v12, v12, 2, v10
	ds_read_b32 v13, v13
	ds_read_b32 v12, v12
	s_waitcnt lgkmcnt(0)
	v_cmp_lt_i32_e32 vcc_lo, v12, v13
	v_cndmask_b32_e32 v8, v8, v11, vcc_lo
	v_cndmask_b32_e32 v9, v15, v9, vcc_lo
	v_cmp_ge_i32_e32 vcc_lo, v9, v8
	s_or_b32 s1, vcc_lo, s1
	s_andn2_b32 exec_lo, exec_lo, s1
	s_cbranch_execnz .LBB44_66
; %bb.67:
	s_or_b32 exec_lo, exec_lo, s1
.LBB44_68:
	s_or_b32 exec_lo, exec_lo, s0
	v_add_nc_u32_e32 v5, v6, v5
	v_lshl_add_u32 v10, v9, 2, v7
	v_add_nc_u32_e32 v11, v9, v14
	v_sub_nc_u32_e32 v5, v5, v9
                                        ; implicit-def: $vgpr9
	v_cmp_le_i32_e32 vcc_lo, v6, v11
	v_lshl_add_u32 v12, v5, 2, v0
	v_cmp_gt_i32_e64 s1, v4, v5
	ds_read_b32 v7, v10
	ds_read_b32 v8, v12
	s_waitcnt lgkmcnt(0)
	v_cmp_lt_i32_e64 s0, v8, v7
	s_or_b32 s0, vcc_lo, s0
	s_and_b32 vcc_lo, s1, s0
	s_xor_b32 s0, vcc_lo, -1
	s_and_saveexec_b32 s1, s0
	s_xor_b32 s0, exec_lo, s1
; %bb.69:
	ds_read_b32 v9, v10 offset:4
                                        ; implicit-def: $vgpr12
; %bb.70:
	s_or_saveexec_b32 s0, s0
	v_mov_b32_e32 v10, v8
	s_xor_b32 exec_lo, exec_lo, s0
	s_cbranch_execz .LBB44_72
; %bb.71:
	ds_read_b32 v10, v12 offset:4
	s_waitcnt lgkmcnt(1)
	v_mov_b32_e32 v9, v7
.LBB44_72:
	s_or_b32 exec_lo, exec_lo, s0
	v_add_nc_u32_e32 v12, 1, v11
	v_add_nc_u32_e32 v14, 1, v5
	s_waitcnt lgkmcnt(0)
	v_cmp_lt_i32_e64 s1, v10, v9
	v_cndmask_b32_e32 v13, v12, v11, vcc_lo
	v_cndmask_b32_e32 v12, v5, v14, vcc_lo
                                        ; implicit-def: $vgpr5
	v_cmp_ge_i32_e64 s0, v13, v6
	v_cmp_lt_i32_e64 s2, v12, v4
	s_or_b32 s0, s0, s1
	s_and_b32 s0, s2, s0
	s_xor_b32 s1, s0, -1
	s_and_saveexec_b32 s2, s1
	s_xor_b32 s1, exec_lo, s2
; %bb.73:
	v_lshl_add_u32 v5, v13, 2, v0
	ds_read_b32 v5, v5 offset:4
; %bb.74:
	s_or_saveexec_b32 s1, s1
	v_mov_b32_e32 v11, v10
	s_xor_b32 exec_lo, exec_lo, s1
	s_cbranch_execz .LBB44_76
; %bb.75:
	s_waitcnt lgkmcnt(0)
	v_lshl_add_u32 v5, v12, 2, v0
	ds_read_b32 v11, v5 offset:4
	v_mov_b32_e32 v5, v9
.LBB44_76:
	s_or_b32 exec_lo, exec_lo, s1
	v_add_nc_u32_e32 v14, 1, v13
	v_add_nc_u32_e32 v16, 1, v12
	s_waitcnt lgkmcnt(0)
	v_cmp_lt_i32_e64 s2, v11, v5
	v_cndmask_b32_e64 v15, v14, v13, s0
	v_cndmask_b32_e64 v14, v12, v16, s0
                                        ; implicit-def: $vgpr12
	v_cmp_ge_i32_e64 s1, v15, v6
	v_cmp_lt_i32_e64 s3, v14, v4
	s_or_b32 s1, s1, s2
	s_and_b32 s1, s3, s1
	s_xor_b32 s2, s1, -1
	s_and_saveexec_b32 s3, s2
	s_xor_b32 s2, exec_lo, s3
; %bb.77:
	v_lshl_add_u32 v12, v15, 2, v0
	ds_read_b32 v12, v12 offset:4
; %bb.78:
	s_or_saveexec_b32 s2, s2
	v_mov_b32_e32 v13, v11
	s_xor_b32 exec_lo, exec_lo, s2
	s_cbranch_execz .LBB44_80
; %bb.79:
	s_waitcnt lgkmcnt(0)
	v_lshl_add_u32 v12, v14, 2, v0
	ds_read_b32 v13, v12 offset:4
	v_mov_b32_e32 v12, v5
.LBB44_80:
	s_or_b32 exec_lo, exec_lo, s2
	v_add_nc_u32_e32 v16, 1, v15
	v_add_nc_u32_e32 v18, 1, v14
	s_waitcnt lgkmcnt(0)
	v_cmp_lt_i32_e64 s3, v13, v12
	v_cndmask_b32_e64 v17, v16, v15, s1
	v_cndmask_b32_e64 v16, v14, v18, s1
                                        ; implicit-def: $vgpr14
	v_cmp_ge_i32_e64 s2, v17, v6
	v_cmp_lt_i32_e64 s4, v16, v4
	s_or_b32 s2, s2, s3
	s_and_b32 s2, s4, s2
	s_xor_b32 s3, s2, -1
	s_and_saveexec_b32 s4, s3
	s_xor_b32 s3, exec_lo, s4
; %bb.81:
	v_lshl_add_u32 v14, v17, 2, v0
	ds_read_b32 v14, v14 offset:4
; %bb.82:
	s_or_saveexec_b32 s3, s3
	v_mov_b32_e32 v15, v13
	s_xor_b32 exec_lo, exec_lo, s3
	s_cbranch_execz .LBB44_84
; %bb.83:
	s_waitcnt lgkmcnt(0)
	v_lshl_add_u32 v14, v16, 2, v0
	ds_read_b32 v15, v14 offset:4
	v_mov_b32_e32 v14, v12
.LBB44_84:
	s_or_b32 exec_lo, exec_lo, s3
	v_add_nc_u32_e32 v18, 1, v17
	v_add_nc_u32_e32 v20, 1, v16
	s_waitcnt lgkmcnt(0)
	v_cmp_lt_i32_e64 s4, v15, v14
	v_cndmask_b32_e64 v19, v18, v17, s2
	v_cndmask_b32_e64 v18, v16, v20, s2
                                        ; implicit-def: $vgpr16
	v_cmp_ge_i32_e64 s3, v19, v6
	v_cmp_lt_i32_e64 s5, v18, v4
	s_or_b32 s3, s3, s4
	s_and_b32 s3, s5, s3
	s_xor_b32 s4, s3, -1
	s_and_saveexec_b32 s5, s4
	s_xor_b32 s4, exec_lo, s5
; %bb.85:
	v_lshl_add_u32 v16, v19, 2, v0
	ds_read_b32 v16, v16 offset:4
; %bb.86:
	s_or_saveexec_b32 s4, s4
	v_mov_b32_e32 v17, v15
	s_xor_b32 exec_lo, exec_lo, s4
	s_cbranch_execz .LBB44_88
; %bb.87:
	s_waitcnt lgkmcnt(0)
	v_lshl_add_u32 v16, v18, 2, v0
	ds_read_b32 v17, v16 offset:4
	v_mov_b32_e32 v16, v14
.LBB44_88:
	s_or_b32 exec_lo, exec_lo, s4
	v_add_nc_u32_e32 v20, 1, v19
	v_add_nc_u32_e32 v21, 1, v18
	s_waitcnt lgkmcnt(0)
	v_cmp_lt_i32_e64 s5, v17, v16
	v_cndmask_b32_e64 v19, v20, v19, s3
	v_cndmask_b32_e64 v18, v18, v21, s3
                                        ; implicit-def: $vgpr20
	v_cmp_ge_i32_e64 s4, v19, v6
	v_cmp_lt_i32_e64 s6, v18, v4
	s_or_b32 s4, s4, s5
	s_and_b32 s4, s6, s4
	s_xor_b32 s5, s4, -1
	s_and_saveexec_b32 s6, s5
	s_xor_b32 s5, exec_lo, s6
; %bb.89:
	v_lshl_add_u32 v20, v19, 2, v0
	ds_read_b32 v20, v20 offset:4
; %bb.90:
	s_or_saveexec_b32 s5, s5
	v_mov_b32_e32 v22, v17
	s_xor_b32 exec_lo, exec_lo, s5
	s_cbranch_execz .LBB44_92
; %bb.91:
	s_waitcnt lgkmcnt(0)
	v_lshl_add_u32 v20, v18, 2, v0
	ds_read_b32 v22, v20 offset:4
	v_mov_b32_e32 v20, v16
.LBB44_92:
	s_or_b32 exec_lo, exec_lo, s5
	v_add_nc_u32_e32 v21, 1, v19
	v_add_nc_u32_e32 v24, 1, v18
	s_waitcnt lgkmcnt(0)
	v_cmp_lt_i32_e64 s6, v22, v20
	v_cndmask_b32_e64 v23, v21, v19, s4
	v_cndmask_b32_e64 v19, v18, v24, s4
                                        ; implicit-def: $vgpr18
	v_cmp_ge_i32_e64 s5, v23, v6
	v_cmp_lt_i32_e64 s7, v19, v4
	s_or_b32 s5, s5, s6
	s_and_b32 s5, s7, s5
	s_xor_b32 s6, s5, -1
	s_and_saveexec_b32 s7, s6
	s_xor_b32 s6, exec_lo, s7
; %bb.93:
	v_lshl_add_u32 v18, v23, 2, v0
	ds_read_b32 v18, v18 offset:4
; %bb.94:
	s_or_saveexec_b32 s6, s6
	v_mov_b32_e32 v21, v22
	s_xor_b32 exec_lo, exec_lo, s6
	s_cbranch_execz .LBB44_96
; %bb.95:
	s_waitcnt lgkmcnt(0)
	v_lshl_add_u32 v18, v19, 2, v0
	ds_read_b32 v21, v18 offset:4
	v_mov_b32_e32 v18, v20
.LBB44_96:
	s_or_b32 exec_lo, exec_lo, s6
	v_add_nc_u32_e32 v24, 1, v23
	v_cndmask_b32_e64 v20, v20, v22, s5
	v_add_nc_u32_e32 v22, 1, v19
	v_cndmask_b32_e64 v16, v16, v17, s4
	v_cndmask_b32_e64 v15, v14, v15, s3
	;; [unrolled: 1-line block ×3, first 2 shown]
	v_and_b32_e32 v14, 0x80, v2
	v_cndmask_b32_e64 v12, v12, v13, s2
	v_cndmask_b32_e64 v13, v19, v22, s5
	v_cndmask_b32_e64 v11, v5, v11, s1
	v_cmp_ge_i32_e64 s1, v17, v6
	v_or_b32_e32 v6, 64, v14
	v_add_nc_u32_e32 v5, 0x80, v14
	s_waitcnt lgkmcnt(0)
	v_cmp_lt_i32_e64 s2, v21, v18
	v_cndmask_b32_e64 v10, v9, v10, s0
	v_cmp_lt_i32_e64 s0, v13, v4
	v_and_b32_e32 v4, 0x78, v2
	v_sub_nc_u32_e32 v9, v5, v6
	s_or_b32 s1, s1, s2
	v_cndmask_b32_e32 v7, v7, v8, vcc_lo
	s_and_b32 vcc_lo, s0, s1
	v_sub_nc_u32_e32 v17, v6, v14
	v_cndmask_b32_e32 v13, v18, v21, vcc_lo
	v_sub_nc_u32_e32 v8, v4, v9
	v_cmp_ge_i32_e32 vcc_lo, v4, v9
	; wave barrier
	v_min_i32_e32 v9, v4, v17
	ds_write2_b32 v1, v7, v10 offset1:1
	ds_write2_b32 v1, v11, v12 offset0:2 offset1:3
	ds_write2_b32 v1, v15, v16 offset0:4 offset1:5
	v_cndmask_b32_e32 v8, 0, v8, vcc_lo
	v_lshl_add_u32 v7, v14, 2, v0
	s_mov_b32 s1, 0
	s_mov_b32 s0, exec_lo
	ds_write2_b32 v1, v20, v13 offset0:6 offset1:7
	; wave barrier
	v_cmpx_lt_i32_e64 v8, v9
	s_cbranch_execz .LBB44_100
; %bb.97:
	v_lshlrev_b32_e32 v10, 2, v6
	v_lshlrev_b32_e32 v11, 2, v4
	v_add3_u32 v10, v0, v10, v11
	.p2align	6
.LBB44_98:                              ; =>This Inner Loop Header: Depth=1
	v_sub_nc_u32_e32 v11, v9, v8
	v_lshrrev_b32_e32 v11, 1, v11
	v_add_nc_u32_e32 v11, v11, v8
	v_not_b32_e32 v12, v11
	v_lshl_add_u32 v13, v11, 2, v7
	v_add_nc_u32_e32 v15, 1, v11
	v_lshl_add_u32 v12, v12, 2, v10
	ds_read_b32 v13, v13
	ds_read_b32 v12, v12
	s_waitcnt lgkmcnt(0)
	v_cmp_lt_i32_e32 vcc_lo, v12, v13
	v_cndmask_b32_e32 v9, v9, v11, vcc_lo
	v_cndmask_b32_e32 v8, v15, v8, vcc_lo
	v_cmp_ge_i32_e32 vcc_lo, v8, v9
	s_or_b32 s1, vcc_lo, s1
	s_andn2_b32 exec_lo, exec_lo, s1
	s_cbranch_execnz .LBB44_98
; %bb.99:
	s_or_b32 exec_lo, exec_lo, s1
.LBB44_100:
	s_or_b32 exec_lo, exec_lo, s0
	v_add_nc_u32_e32 v4, v6, v4
	v_lshl_add_u32 v9, v8, 2, v7
	v_add_nc_u32_e32 v11, v8, v14
	v_sub_nc_u32_e32 v10, v4, v8
                                        ; implicit-def: $vgpr8
	v_cmp_le_i32_e32 vcc_lo, v6, v11
	v_lshl_add_u32 v12, v10, 2, v0
	v_cmp_gt_i32_e64 s1, v5, v10
	ds_read_b32 v4, v9
	ds_read_b32 v7, v12
	s_waitcnt lgkmcnt(0)
	v_cmp_lt_i32_e64 s0, v7, v4
	s_or_b32 s0, vcc_lo, s0
	s_and_b32 vcc_lo, s1, s0
	s_xor_b32 s0, vcc_lo, -1
	s_and_saveexec_b32 s1, s0
	s_xor_b32 s0, exec_lo, s1
; %bb.101:
	ds_read_b32 v8, v9 offset:4
                                        ; implicit-def: $vgpr12
; %bb.102:
	s_or_saveexec_b32 s0, s0
	v_mov_b32_e32 v9, v7
	s_xor_b32 exec_lo, exec_lo, s0
	s_cbranch_execz .LBB44_104
; %bb.103:
	ds_read_b32 v9, v12 offset:4
	s_waitcnt lgkmcnt(1)
	v_mov_b32_e32 v8, v4
.LBB44_104:
	s_or_b32 exec_lo, exec_lo, s0
	v_add_nc_u32_e32 v12, 1, v11
	v_add_nc_u32_e32 v14, 1, v10
	s_waitcnt lgkmcnt(0)
	v_cmp_lt_i32_e64 s1, v9, v8
	v_cndmask_b32_e32 v13, v12, v11, vcc_lo
	v_cndmask_b32_e32 v12, v10, v14, vcc_lo
                                        ; implicit-def: $vgpr10
	v_cmp_ge_i32_e64 s0, v13, v6
	v_cmp_lt_i32_e64 s2, v12, v5
	s_or_b32 s0, s0, s1
	s_and_b32 s0, s2, s0
	s_xor_b32 s1, s0, -1
	s_and_saveexec_b32 s2, s1
	s_xor_b32 s1, exec_lo, s2
; %bb.105:
	v_lshl_add_u32 v10, v13, 2, v0
	ds_read_b32 v10, v10 offset:4
; %bb.106:
	s_or_saveexec_b32 s1, s1
	v_mov_b32_e32 v11, v9
	s_xor_b32 exec_lo, exec_lo, s1
	s_cbranch_execz .LBB44_108
; %bb.107:
	s_waitcnt lgkmcnt(0)
	v_lshl_add_u32 v10, v12, 2, v0
	ds_read_b32 v11, v10 offset:4
	v_mov_b32_e32 v10, v8
.LBB44_108:
	s_or_b32 exec_lo, exec_lo, s1
	v_add_nc_u32_e32 v14, 1, v13
	v_add_nc_u32_e32 v16, 1, v12
	s_waitcnt lgkmcnt(0)
	v_cmp_lt_i32_e64 s2, v11, v10
	v_cndmask_b32_e64 v15, v14, v13, s0
	v_cndmask_b32_e64 v14, v12, v16, s0
                                        ; implicit-def: $vgpr12
	v_cmp_ge_i32_e64 s1, v15, v6
	v_cmp_lt_i32_e64 s3, v14, v5
	s_or_b32 s1, s1, s2
	s_and_b32 s1, s3, s1
	s_xor_b32 s2, s1, -1
	s_and_saveexec_b32 s3, s2
	s_xor_b32 s2, exec_lo, s3
; %bb.109:
	v_lshl_add_u32 v12, v15, 2, v0
	ds_read_b32 v12, v12 offset:4
; %bb.110:
	s_or_saveexec_b32 s2, s2
	v_mov_b32_e32 v13, v11
	s_xor_b32 exec_lo, exec_lo, s2
	s_cbranch_execz .LBB44_112
; %bb.111:
	s_waitcnt lgkmcnt(0)
	v_lshl_add_u32 v12, v14, 2, v0
	ds_read_b32 v13, v12 offset:4
	v_mov_b32_e32 v12, v10
.LBB44_112:
	s_or_b32 exec_lo, exec_lo, s2
	v_add_nc_u32_e32 v16, 1, v15
	v_add_nc_u32_e32 v18, 1, v14
	s_waitcnt lgkmcnt(0)
	v_cmp_lt_i32_e64 s3, v13, v12
	v_cndmask_b32_e64 v17, v16, v15, s1
	v_cndmask_b32_e64 v16, v14, v18, s1
                                        ; implicit-def: $vgpr14
	v_cmp_ge_i32_e64 s2, v17, v6
	v_cmp_lt_i32_e64 s4, v16, v5
	s_or_b32 s2, s2, s3
	s_and_b32 s2, s4, s2
	s_xor_b32 s3, s2, -1
	s_and_saveexec_b32 s4, s3
	s_xor_b32 s3, exec_lo, s4
; %bb.113:
	v_lshl_add_u32 v14, v17, 2, v0
	ds_read_b32 v14, v14 offset:4
; %bb.114:
	s_or_saveexec_b32 s3, s3
	v_mov_b32_e32 v15, v13
	s_xor_b32 exec_lo, exec_lo, s3
	s_cbranch_execz .LBB44_116
; %bb.115:
	s_waitcnt lgkmcnt(0)
	v_lshl_add_u32 v14, v16, 2, v0
	ds_read_b32 v15, v14 offset:4
	v_mov_b32_e32 v14, v12
.LBB44_116:
	s_or_b32 exec_lo, exec_lo, s3
	v_add_nc_u32_e32 v18, 1, v17
	v_add_nc_u32_e32 v20, 1, v16
	s_waitcnt lgkmcnt(0)
	v_cmp_lt_i32_e64 s4, v15, v14
	v_cndmask_b32_e64 v19, v18, v17, s2
	v_cndmask_b32_e64 v18, v16, v20, s2
                                        ; implicit-def: $vgpr16
	v_cmp_ge_i32_e64 s3, v19, v6
	v_cmp_lt_i32_e64 s5, v18, v5
	s_or_b32 s3, s3, s4
	s_and_b32 s3, s5, s3
	s_xor_b32 s4, s3, -1
	s_and_saveexec_b32 s5, s4
	s_xor_b32 s4, exec_lo, s5
; %bb.117:
	v_lshl_add_u32 v16, v19, 2, v0
	ds_read_b32 v16, v16 offset:4
; %bb.118:
	s_or_saveexec_b32 s4, s4
	v_mov_b32_e32 v17, v15
	s_xor_b32 exec_lo, exec_lo, s4
	s_cbranch_execz .LBB44_120
; %bb.119:
	s_waitcnt lgkmcnt(0)
	v_lshl_add_u32 v16, v18, 2, v0
	ds_read_b32 v17, v16 offset:4
	v_mov_b32_e32 v16, v14
.LBB44_120:
	s_or_b32 exec_lo, exec_lo, s4
	v_add_nc_u32_e32 v20, 1, v19
	v_add_nc_u32_e32 v22, 1, v18
	s_waitcnt lgkmcnt(0)
	v_cmp_lt_i32_e64 s5, v17, v16
	v_cndmask_b32_e64 v21, v20, v19, s3
	v_cndmask_b32_e64 v19, v18, v22, s3
                                        ; implicit-def: $vgpr18
	v_cmp_ge_i32_e64 s4, v21, v6
	v_cmp_lt_i32_e64 s6, v19, v5
	s_or_b32 s4, s4, s5
	s_and_b32 s4, s6, s4
	s_xor_b32 s5, s4, -1
	s_and_saveexec_b32 s6, s5
	s_xor_b32 s5, exec_lo, s6
; %bb.121:
	v_lshl_add_u32 v18, v21, 2, v0
	ds_read_b32 v18, v18 offset:4
; %bb.122:
	s_or_saveexec_b32 s5, s5
	v_mov_b32_e32 v20, v17
	s_xor_b32 exec_lo, exec_lo, s5
	s_cbranch_execz .LBB44_124
; %bb.123:
	s_waitcnt lgkmcnt(0)
	v_lshl_add_u32 v18, v19, 2, v0
	ds_read_b32 v20, v18 offset:4
	v_mov_b32_e32 v18, v16
.LBB44_124:
	s_or_b32 exec_lo, exec_lo, s5
	v_add_nc_u32_e32 v22, 1, v21
	v_add_nc_u32_e32 v24, 1, v19
	s_waitcnt lgkmcnt(0)
	v_cmp_lt_i32_e64 s6, v20, v18
	v_cndmask_b32_e64 v23, v22, v21, s4
	v_cndmask_b32_e64 v22, v19, v24, s4
                                        ; implicit-def: $vgpr19
	v_cmp_ge_i32_e64 s5, v23, v6
	v_cmp_lt_i32_e64 s7, v22, v5
	s_or_b32 s5, s5, s6
	s_and_b32 s5, s7, s5
	s_xor_b32 s6, s5, -1
	s_and_saveexec_b32 s7, s6
	s_xor_b32 s6, exec_lo, s7
; %bb.125:
	v_lshl_add_u32 v19, v23, 2, v0
	ds_read_b32 v19, v19 offset:4
; %bb.126:
	s_or_saveexec_b32 s6, s6
	v_mov_b32_e32 v21, v20
	s_xor_b32 exec_lo, exec_lo, s6
	s_cbranch_execz .LBB44_128
; %bb.127:
	s_waitcnt lgkmcnt(0)
	v_lshl_add_u32 v19, v22, 2, v0
	ds_read_b32 v21, v19 offset:4
	v_mov_b32_e32 v19, v18
.LBB44_128:
	s_or_b32 exec_lo, exec_lo, s6
	v_add_nc_u32_e32 v24, 1, v23
	v_cndmask_b32_e64 v18, v18, v20, s5
	v_add_nc_u32_e32 v20, 1, v22
	v_cndmask_b32_e64 v14, v14, v15, s3
	v_cndmask_b32_e64 v12, v12, v13, s2
	;; [unrolled: 1-line block ×3, first 2 shown]
	s_waitcnt lgkmcnt(0)
	v_cmp_lt_i32_e64 s2, v21, v19
	v_cndmask_b32_e64 v13, v22, v20, s5
	v_and_b32_e32 v2, 0xf8, v2
	v_cndmask_b32_e32 v7, v4, v7, vcc_lo
	v_cmp_ge_i32_e64 s3, v15, v6
	v_cndmask_b32_e64 v6, v10, v11, s1
	v_cmp_lt_i32_e64 s1, v13, v5
	v_cndmask_b32_e64 v5, v8, v9, s0
	v_add_nc_u32_e32 v8, 0xffffff80, v2
	s_or_b32 s0, s3, s2
	v_min_i32_e32 v4, 0x80, v2
	s_and_b32 vcc_lo, s1, s0
	v_cndmask_b32_e64 v16, v16, v17, s4
	v_cndmask_b32_e32 v9, v19, v21, vcc_lo
	v_cmp_lt_i32_e32 vcc_lo, 0x7f, v2
	s_mov_b32 s0, exec_lo
	; wave barrier
	ds_write2_b32 v1, v7, v5 offset1:1
	ds_write2_b32 v1, v6, v12 offset0:2 offset1:3
	ds_write2_b32 v1, v14, v16 offset0:4 offset1:5
	;; [unrolled: 1-line block ×3, first 2 shown]
	v_cndmask_b32_e32 v8, 0, v8, vcc_lo
	; wave barrier
	v_cmpx_lt_i32_e64 v8, v4
	s_cbranch_execz .LBB44_132
; %bb.129:
	v_lshlrev_b32_e32 v5, 2, v2
	s_mov_b32 s1, 0
	v_add3_u32 v5, 0x200, v0, v5
	.p2align	6
.LBB44_130:                             ; =>This Inner Loop Header: Depth=1
	v_sub_nc_u32_e32 v6, v4, v8
	v_lshrrev_b32_e32 v6, 1, v6
	v_add_nc_u32_e32 v6, v6, v8
	v_not_b32_e32 v7, v6
	v_lshl_add_u32 v9, v6, 2, v0
	v_add_nc_u32_e32 v10, 1, v6
	v_lshl_add_u32 v7, v7, 2, v5
	ds_read_b32 v9, v9
	ds_read_b32 v7, v7
	s_waitcnt lgkmcnt(0)
	v_cmp_lt_i32_e32 vcc_lo, v7, v9
	v_cndmask_b32_e32 v4, v4, v6, vcc_lo
	v_cndmask_b32_e32 v8, v10, v8, vcc_lo
	v_cmp_ge_i32_e32 vcc_lo, v8, v4
	s_or_b32 s1, vcc_lo, s1
	s_andn2_b32 exec_lo, exec_lo, s1
	s_cbranch_execnz .LBB44_130
; %bb.131:
	s_or_b32 exec_lo, exec_lo, s1
.LBB44_132:
	s_or_b32 exec_lo, exec_lo, s0
	v_add_nc_u32_e32 v4, 0x80, v2
	v_lshl_add_u32 v7, v8, 2, v0
	v_cmp_le_i32_e32 vcc_lo, 0x80, v8
                                        ; implicit-def: $vgpr6
	v_sub_nc_u32_e32 v9, v4, v8
	v_lshl_add_u32 v10, v9, 2, v0
	v_cmp_gt_i32_e64 s1, 0x100, v9
	ds_read_b32 v4, v7
	ds_read_b32 v5, v10
	s_waitcnt lgkmcnt(0)
	v_cmp_lt_i32_e64 s0, v5, v4
	s_or_b32 s0, vcc_lo, s0
	s_and_b32 vcc_lo, s1, s0
	s_xor_b32 s0, vcc_lo, -1
	s_and_saveexec_b32 s1, s0
	s_xor_b32 s0, exec_lo, s1
; %bb.133:
	ds_read_b32 v6, v7 offset:4
                                        ; implicit-def: $vgpr10
; %bb.134:
	s_or_saveexec_b32 s0, s0
	v_mov_b32_e32 v7, v5
	s_xor_b32 exec_lo, exec_lo, s0
	s_cbranch_execz .LBB44_136
; %bb.135:
	ds_read_b32 v7, v10 offset:4
	s_waitcnt lgkmcnt(1)
	v_mov_b32_e32 v6, v4
.LBB44_136:
	s_or_b32 exec_lo, exec_lo, s0
	v_add_nc_u32_e32 v10, 1, v8
	v_add_nc_u32_e32 v12, 1, v9
	s_waitcnt lgkmcnt(0)
	v_cmp_lt_i32_e64 s1, v7, v6
	v_cndmask_b32_e32 v11, v10, v8, vcc_lo
	v_cndmask_b32_e32 v10, v9, v12, vcc_lo
                                        ; implicit-def: $vgpr8
	v_cmp_le_i32_e64 s0, 0x80, v11
	v_cmp_gt_i32_e64 s2, 0x100, v10
	s_or_b32 s0, s0, s1
	s_and_b32 s0, s2, s0
	s_xor_b32 s1, s0, -1
	s_and_saveexec_b32 s2, s1
	s_xor_b32 s1, exec_lo, s2
; %bb.137:
	v_lshl_add_u32 v8, v11, 2, v0
	ds_read_b32 v8, v8 offset:4
; %bb.138:
	s_or_saveexec_b32 s1, s1
	v_mov_b32_e32 v9, v7
	s_xor_b32 exec_lo, exec_lo, s1
	s_cbranch_execz .LBB44_140
; %bb.139:
	s_waitcnt lgkmcnt(0)
	v_lshl_add_u32 v8, v10, 2, v0
	ds_read_b32 v9, v8 offset:4
	v_mov_b32_e32 v8, v6
.LBB44_140:
	s_or_b32 exec_lo, exec_lo, s1
	v_add_nc_u32_e32 v12, 1, v11
	v_add_nc_u32_e32 v14, 1, v10
	s_waitcnt lgkmcnt(0)
	v_cmp_lt_i32_e64 s2, v9, v8
	v_cndmask_b32_e64 v13, v12, v11, s0
	v_cndmask_b32_e64 v12, v10, v14, s0
                                        ; implicit-def: $vgpr10
	v_cmp_le_i32_e64 s1, 0x80, v13
	v_cmp_gt_i32_e64 s3, 0x100, v12
	s_or_b32 s1, s1, s2
	s_and_b32 s1, s3, s1
	s_xor_b32 s2, s1, -1
	s_and_saveexec_b32 s3, s2
	s_xor_b32 s2, exec_lo, s3
; %bb.141:
	v_lshl_add_u32 v10, v13, 2, v0
	ds_read_b32 v10, v10 offset:4
; %bb.142:
	s_or_saveexec_b32 s2, s2
	v_mov_b32_e32 v11, v9
	s_xor_b32 exec_lo, exec_lo, s2
	s_cbranch_execz .LBB44_144
; %bb.143:
	s_waitcnt lgkmcnt(0)
	v_lshl_add_u32 v10, v12, 2, v0
	ds_read_b32 v11, v10 offset:4
	v_mov_b32_e32 v10, v8
.LBB44_144:
	s_or_b32 exec_lo, exec_lo, s2
	v_add_nc_u32_e32 v14, 1, v13
	v_add_nc_u32_e32 v16, 1, v12
	s_waitcnt lgkmcnt(0)
	v_cmp_lt_i32_e64 s3, v11, v10
	v_cndmask_b32_e64 v15, v14, v13, s1
	v_cndmask_b32_e64 v14, v12, v16, s1
                                        ; implicit-def: $vgpr12
	v_cmp_le_i32_e64 s2, 0x80, v15
	v_cmp_gt_i32_e64 s4, 0x100, v14
	s_or_b32 s2, s2, s3
	s_and_b32 s2, s4, s2
	s_xor_b32 s3, s2, -1
	s_and_saveexec_b32 s4, s3
	s_xor_b32 s3, exec_lo, s4
; %bb.145:
	v_lshl_add_u32 v12, v15, 2, v0
	ds_read_b32 v12, v12 offset:4
; %bb.146:
	s_or_saveexec_b32 s3, s3
	v_mov_b32_e32 v13, v11
	s_xor_b32 exec_lo, exec_lo, s3
	s_cbranch_execz .LBB44_148
; %bb.147:
	s_waitcnt lgkmcnt(0)
	v_lshl_add_u32 v12, v14, 2, v0
	ds_read_b32 v13, v12 offset:4
	v_mov_b32_e32 v12, v10
.LBB44_148:
	s_or_b32 exec_lo, exec_lo, s3
	v_add_nc_u32_e32 v16, 1, v15
	v_add_nc_u32_e32 v18, 1, v14
	s_waitcnt lgkmcnt(0)
	v_cmp_lt_i32_e64 s4, v13, v12
	v_cndmask_b32_e64 v17, v16, v15, s2
	v_cndmask_b32_e64 v16, v14, v18, s2
                                        ; implicit-def: $vgpr14
	v_cmp_le_i32_e64 s3, 0x80, v17
	v_cmp_gt_i32_e64 s5, 0x100, v16
	s_or_b32 s3, s3, s4
	s_and_b32 s3, s5, s3
	s_xor_b32 s4, s3, -1
	s_and_saveexec_b32 s5, s4
	s_xor_b32 s4, exec_lo, s5
; %bb.149:
	v_lshl_add_u32 v14, v17, 2, v0
	ds_read_b32 v14, v14 offset:4
; %bb.150:
	s_or_saveexec_b32 s4, s4
	v_mov_b32_e32 v15, v13
	s_xor_b32 exec_lo, exec_lo, s4
	s_cbranch_execz .LBB44_152
; %bb.151:
	s_waitcnt lgkmcnt(0)
	v_lshl_add_u32 v14, v16, 2, v0
	ds_read_b32 v15, v14 offset:4
	v_mov_b32_e32 v14, v12
.LBB44_152:
	s_or_b32 exec_lo, exec_lo, s4
	v_add_nc_u32_e32 v18, 1, v17
	v_add_nc_u32_e32 v20, 1, v16
	s_waitcnt lgkmcnt(0)
	v_cmp_lt_i32_e64 s5, v15, v14
	v_cndmask_b32_e64 v19, v18, v17, s3
	v_cndmask_b32_e64 v17, v16, v20, s3
                                        ; implicit-def: $vgpr16
	v_cmp_le_i32_e64 s4, 0x80, v19
	v_cmp_gt_i32_e64 s6, 0x100, v17
	s_or_b32 s4, s4, s5
	s_and_b32 s4, s6, s4
	s_xor_b32 s5, s4, -1
	s_and_saveexec_b32 s6, s5
	s_xor_b32 s5, exec_lo, s6
; %bb.153:
	v_lshl_add_u32 v16, v19, 2, v0
	ds_read_b32 v16, v16 offset:4
; %bb.154:
	s_or_saveexec_b32 s5, s5
	v_mov_b32_e32 v18, v15
	s_xor_b32 exec_lo, exec_lo, s5
	s_cbranch_execz .LBB44_156
; %bb.155:
	s_waitcnt lgkmcnt(0)
	v_lshl_add_u32 v16, v17, 2, v0
	ds_read_b32 v18, v16 offset:4
	v_mov_b32_e32 v16, v14
.LBB44_156:
	s_or_b32 exec_lo, exec_lo, s5
	v_add_nc_u32_e32 v20, 1, v19
	v_add_nc_u32_e32 v22, 1, v17
	s_waitcnt lgkmcnt(0)
	v_cmp_lt_i32_e64 s6, v18, v16
	v_cndmask_b32_e64 v21, v20, v19, s4
	v_cndmask_b32_e64 v20, v17, v22, s4
                                        ; implicit-def: $vgpr17
	v_cmp_le_i32_e64 s5, 0x80, v21
	v_cmp_gt_i32_e64 s7, 0x100, v20
	s_or_b32 s5, s5, s6
	s_and_b32 s5, s7, s5
	s_xor_b32 s6, s5, -1
	s_and_saveexec_b32 s7, s6
	s_xor_b32 s6, exec_lo, s7
; %bb.157:
	v_lshl_add_u32 v17, v21, 2, v0
	ds_read_b32 v17, v17 offset:4
; %bb.158:
	s_or_saveexec_b32 s6, s6
	v_mov_b32_e32 v19, v18
	s_xor_b32 exec_lo, exec_lo, s6
	s_cbranch_execz .LBB44_160
; %bb.159:
	s_waitcnt lgkmcnt(0)
	v_lshl_add_u32 v17, v20, 2, v0
	ds_read_b32 v19, v17 offset:4
	v_mov_b32_e32 v17, v16
.LBB44_160:
	s_or_b32 exec_lo, exec_lo, s6
	v_add_nc_u32_e32 v22, 1, v21
	v_add_nc_u32_e32 v23, 1, v20
	v_cndmask_b32_e64 v14, v14, v15, s4
	v_cndmask_b32_e64 v12, v12, v13, s3
	;; [unrolled: 1-line block ×5, first 2 shown]
	s_waitcnt lgkmcnt(0)
	v_cmp_lt_i32_e64 s2, v19, v17
	v_cndmask_b32_e64 v9, v8, v9, s1
	v_cndmask_b32_e64 v6, v6, v7, s0
	v_cmp_le_i32_e64 s3, 0x80, v15
	v_cmp_gt_i32_e64 s1, 0x100, v13
	v_cndmask_b32_e32 v4, v4, v5, vcc_lo
	v_or_b32_e32 v7, 0xffffff00, v2
	v_cndmask_b32_e64 v16, v16, v18, s5
	s_or_b32 s0, s3, s2
	s_and_b32 vcc_lo, s1, s0
	s_mov_b32 s0, exec_lo
	v_cndmask_b32_e32 v5, v17, v19, vcc_lo
	v_cmp_lt_i32_e32 vcc_lo, 0xff, v2
	; wave barrier
	ds_write2_b32 v1, v4, v6 offset1:1
	ds_write2_b32 v1, v9, v10 offset0:2 offset1:3
	ds_write2_b32 v1, v12, v14 offset0:4 offset1:5
	;; [unrolled: 1-line block ×3, first 2 shown]
	; wave barrier
	v_cndmask_b32_e32 v8, 0, v7, vcc_lo
	v_cmpx_lt_i32_e64 v8, v2
	s_cbranch_execz .LBB44_164
; %bb.161:
	v_lshlrev_b32_e32 v1, 2, v2
	v_mov_b32_e32 v4, v2
	s_mov_b32 s1, 0
	v_add3_u32 v1, 0x400, v0, v1
	.p2align	6
.LBB44_162:                             ; =>This Inner Loop Header: Depth=1
	v_sub_nc_u32_e32 v5, v4, v8
	v_lshrrev_b32_e32 v5, 1, v5
	v_add_nc_u32_e32 v5, v5, v8
	v_not_b32_e32 v6, v5
	v_lshl_add_u32 v7, v5, 2, v0
	v_add_nc_u32_e32 v9, 1, v5
	v_lshl_add_u32 v6, v6, 2, v1
	ds_read_b32 v7, v7
	ds_read_b32 v6, v6
	s_waitcnt lgkmcnt(0)
	v_cmp_lt_i32_e32 vcc_lo, v6, v7
	v_cndmask_b32_e32 v4, v4, v5, vcc_lo
	v_cndmask_b32_e32 v8, v9, v8, vcc_lo
	v_cmp_ge_i32_e32 vcc_lo, v8, v4
	s_or_b32 s1, vcc_lo, s1
	s_andn2_b32 exec_lo, exec_lo, s1
	s_cbranch_execnz .LBB44_162
; %bb.163:
	s_or_b32 exec_lo, exec_lo, s1
.LBB44_164:
	s_or_b32 exec_lo, exec_lo, s0
	v_add_nc_u32_e32 v1, 0x100, v2
	v_lshl_add_u32 v7, v8, 2, v0
	v_cmp_le_i32_e32 vcc_lo, 0x100, v8
                                        ; implicit-def: $vgpr6
	v_sub_nc_u32_e32 v1, v1, v8
	v_lshl_add_u32 v2, v1, 2, v0
	v_cmp_gt_i32_e64 s1, 0x200, v1
	ds_read_b32 v4, v7
	ds_read_b32 v5, v2
	s_waitcnt lgkmcnt(0)
	v_cmp_lt_i32_e64 s0, v5, v4
	s_or_b32 s0, vcc_lo, s0
	s_and_b32 vcc_lo, s1, s0
	s_xor_b32 s0, vcc_lo, -1
	s_and_saveexec_b32 s1, s0
	s_xor_b32 s0, exec_lo, s1
; %bb.165:
	ds_read_b32 v6, v7 offset:4
                                        ; implicit-def: $vgpr2
; %bb.166:
	s_or_saveexec_b32 s0, s0
	v_mov_b32_e32 v7, v5
	s_xor_b32 exec_lo, exec_lo, s0
	s_cbranch_execz .LBB44_168
; %bb.167:
	ds_read_b32 v7, v2 offset:4
	s_waitcnt lgkmcnt(1)
	v_mov_b32_e32 v6, v4
.LBB44_168:
	s_or_b32 exec_lo, exec_lo, s0
	v_add_nc_u32_e32 v2, 1, v8
	v_add_nc_u32_e32 v9, 1, v1
	s_waitcnt lgkmcnt(0)
	v_cmp_lt_i32_e64 s1, v7, v6
	v_cndmask_b32_e32 v2, v2, v8, vcc_lo
	v_cndmask_b32_e32 v1, v1, v9, vcc_lo
                                        ; implicit-def: $vgpr8
	v_cmp_le_i32_e64 s0, 0x100, v2
	v_cmp_gt_i32_e64 s2, 0x200, v1
	s_or_b32 s0, s0, s1
	s_and_b32 s0, s2, s0
	s_xor_b32 s1, s0, -1
	s_and_saveexec_b32 s2, s1
	s_xor_b32 s1, exec_lo, s2
; %bb.169:
	v_lshl_add_u32 v8, v2, 2, v0
	ds_read_b32 v8, v8 offset:4
; %bb.170:
	s_or_saveexec_b32 s1, s1
	v_mov_b32_e32 v9, v7
	s_xor_b32 exec_lo, exec_lo, s1
	s_cbranch_execz .LBB44_172
; %bb.171:
	s_waitcnt lgkmcnt(0)
	v_lshl_add_u32 v8, v1, 2, v0
	ds_read_b32 v9, v8 offset:4
	v_mov_b32_e32 v8, v6
.LBB44_172:
	s_or_b32 exec_lo, exec_lo, s1
	v_add_nc_u32_e32 v10, 1, v2
	v_add_nc_u32_e32 v11, 1, v1
	s_waitcnt lgkmcnt(0)
	v_cmp_lt_i32_e64 s2, v9, v8
	v_cndmask_b32_e64 v2, v10, v2, s0
	v_cndmask_b32_e64 v1, v1, v11, s0
                                        ; implicit-def: $vgpr10
	v_cmp_le_i32_e64 s1, 0x100, v2
	v_cmp_gt_i32_e64 s3, 0x200, v1
	s_or_b32 s1, s1, s2
	s_and_b32 s1, s3, s1
	s_xor_b32 s2, s1, -1
	s_and_saveexec_b32 s3, s2
	s_xor_b32 s2, exec_lo, s3
; %bb.173:
	v_lshl_add_u32 v10, v2, 2, v0
	ds_read_b32 v10, v10 offset:4
; %bb.174:
	s_or_saveexec_b32 s2, s2
	v_mov_b32_e32 v11, v9
	s_xor_b32 exec_lo, exec_lo, s2
	s_cbranch_execz .LBB44_176
; %bb.175:
	s_waitcnt lgkmcnt(0)
	v_lshl_add_u32 v10, v1, 2, v0
	ds_read_b32 v11, v10 offset:4
	v_mov_b32_e32 v10, v8
.LBB44_176:
	s_or_b32 exec_lo, exec_lo, s2
	v_add_nc_u32_e32 v12, 1, v2
	v_add_nc_u32_e32 v13, 1, v1
	s_waitcnt lgkmcnt(0)
	v_cmp_lt_i32_e64 s3, v11, v10
	v_cndmask_b32_e64 v2, v12, v2, s1
	v_cndmask_b32_e64 v1, v1, v13, s1
                                        ; implicit-def: $vgpr12
	v_cmp_le_i32_e64 s2, 0x100, v2
	v_cmp_gt_i32_e64 s4, 0x200, v1
	s_or_b32 s2, s2, s3
	s_and_b32 s2, s4, s2
	s_xor_b32 s3, s2, -1
	s_and_saveexec_b32 s4, s3
	s_xor_b32 s3, exec_lo, s4
; %bb.177:
	v_lshl_add_u32 v12, v2, 2, v0
	ds_read_b32 v12, v12 offset:4
; %bb.178:
	s_or_saveexec_b32 s3, s3
	v_mov_b32_e32 v13, v11
	s_xor_b32 exec_lo, exec_lo, s3
	s_cbranch_execz .LBB44_180
; %bb.179:
	s_waitcnt lgkmcnt(0)
	v_lshl_add_u32 v12, v1, 2, v0
	ds_read_b32 v13, v12 offset:4
	v_mov_b32_e32 v12, v10
.LBB44_180:
	s_or_b32 exec_lo, exec_lo, s3
	v_add_nc_u32_e32 v14, 1, v2
	v_add_nc_u32_e32 v16, 1, v1
	s_waitcnt lgkmcnt(0)
	v_cmp_lt_i32_e64 s4, v13, v12
	v_cndmask_b32_e64 v15, v14, v2, s2
	v_cndmask_b32_e64 v2, v1, v16, s2
                                        ; implicit-def: $vgpr1
	v_cmp_le_i32_e64 s3, 0x100, v15
	v_cmp_gt_i32_e64 s5, 0x200, v2
	s_or_b32 s3, s3, s4
	s_and_b32 s3, s5, s3
	s_xor_b32 s4, s3, -1
	s_and_saveexec_b32 s5, s4
	s_xor_b32 s4, exec_lo, s5
; %bb.181:
	v_lshl_add_u32 v1, v15, 2, v0
	ds_read_b32 v1, v1 offset:4
; %bb.182:
	s_or_saveexec_b32 s4, s4
	v_mov_b32_e32 v14, v13
	s_xor_b32 exec_lo, exec_lo, s4
	s_cbranch_execz .LBB44_184
; %bb.183:
	s_waitcnt lgkmcnt(0)
	v_lshl_add_u32 v1, v2, 2, v0
	ds_read_b32 v14, v1 offset:4
	v_mov_b32_e32 v1, v12
.LBB44_184:
	s_or_b32 exec_lo, exec_lo, s4
	v_add_nc_u32_e32 v16, 1, v15
	v_add_nc_u32_e32 v18, 1, v2
	s_waitcnt lgkmcnt(0)
	v_cmp_lt_i32_e64 s5, v14, v1
	v_cndmask_b32_e64 v17, v16, v15, s3
	v_cndmask_b32_e64 v2, v2, v18, s3
                                        ; implicit-def: $vgpr16
	v_cmp_le_i32_e64 s4, 0x100, v17
	v_cmp_gt_i32_e64 s6, 0x200, v2
	s_or_b32 s4, s4, s5
	s_and_b32 s4, s6, s4
	s_xor_b32 s5, s4, -1
	s_and_saveexec_b32 s6, s5
	s_xor_b32 s5, exec_lo, s6
; %bb.185:
	v_lshl_add_u32 v15, v17, 2, v0
	ds_read_b32 v16, v15 offset:4
; %bb.186:
	s_or_saveexec_b32 s5, s5
	v_mov_b32_e32 v15, v14
	s_xor_b32 exec_lo, exec_lo, s5
	s_cbranch_execz .LBB44_188
; %bb.187:
	v_lshl_add_u32 v15, v2, 2, v0
	s_waitcnt lgkmcnt(0)
	v_mov_b32_e32 v16, v1
	ds_read_b32 v15, v15 offset:4
.LBB44_188:
	s_or_b32 exec_lo, exec_lo, s5
	v_add_nc_u32_e32 v18, 1, v17
	v_add_nc_u32_e32 v19, 1, v2
	s_waitcnt lgkmcnt(0)
	v_cmp_ge_i32_e64 s6, v15, v16
	v_cndmask_b32_e64 v20, v18, v17, s4
	v_cndmask_b32_e64 v17, v2, v19, s4
                                        ; implicit-def: $vgpr18
                                        ; implicit-def: $vgpr19
	v_cmp_gt_i32_e64 s5, 0x100, v20
	v_cmp_le_i32_e64 s7, 0x200, v17
	s_and_b32 s5, s5, s6
	s_or_b32 s5, s7, s5
	s_and_saveexec_b32 s6, s5
	s_xor_b32 s5, exec_lo, s6
; %bb.189:
	v_lshl_add_u32 v0, v20, 2, v0
	v_add_nc_u32_e32 v19, 1, v20
                                        ; implicit-def: $vgpr20
	ds_read_b32 v18, v0 offset:4
                                        ; implicit-def: $vgpr0
; %bb.190:
	s_or_saveexec_b32 s5, s5
	v_mov_b32_e32 v2, v16
	s_xor_b32 exec_lo, exec_lo, s5
	s_cbranch_execz .LBB44_192
; %bb.191:
	v_lshl_add_u32 v0, v17, 2, v0
	v_add_nc_u32_e32 v17, 1, v17
	v_mov_b32_e32 v2, v15
	v_mov_b32_e32 v19, v20
	s_waitcnt lgkmcnt(0)
	v_mov_b32_e32 v18, v16
	ds_read_b32 v0, v0 offset:4
	s_waitcnt lgkmcnt(0)
	v_mov_b32_e32 v15, v0
.LBB44_192:
	s_or_b32 exec_lo, exec_lo, s5
	v_cndmask_b32_e64 v0, v12, v13, s3
	v_cndmask_b32_e64 v10, v10, v11, s2
	v_cmp_le_i32_e64 s2, 0x100, v19
	s_waitcnt lgkmcnt(0)
	v_cmp_lt_i32_e64 s3, v15, v18
	v_cndmask_b32_e64 v9, v8, v9, s1
	v_cmp_gt_i32_e64 s1, 0x200, v17
	v_cndmask_b32_e64 v8, v6, v7, s0
	v_cndmask_b32_e32 v7, v4, v5, vcc_lo
	s_or_b32 s0, s2, s3
	v_lshlrev_b32_e32 v4, 2, v3
	s_and_b32 vcc_lo, s1, s0
	v_cndmask_b32_e64 v1, v1, v14, s4
	v_cndmask_b32_e32 v3, v18, v15, vcc_lo
	s_add_u32 s0, s10, s12
	s_addc_u32 s1, s11, s13
	global_store_dwordx4 v4, v[7:10], s[0:1]
	global_store_dwordx4 v4, v[0:3], s[0:1] offset:16
	s_endpgm
	.section	.rodata,"a",@progbits
	.p2align	6, 0x0
	.amdhsa_kernel _Z9sort_keysILj256ELj64ELj8EiN10test_utils4lessEEvPKT2_PS2_T3_
		.amdhsa_group_segment_fixed_size 8208
		.amdhsa_private_segment_fixed_size 0
		.amdhsa_kernarg_size 20
		.amdhsa_user_sgpr_count 6
		.amdhsa_user_sgpr_private_segment_buffer 1
		.amdhsa_user_sgpr_dispatch_ptr 0
		.amdhsa_user_sgpr_queue_ptr 0
		.amdhsa_user_sgpr_kernarg_segment_ptr 1
		.amdhsa_user_sgpr_dispatch_id 0
		.amdhsa_user_sgpr_flat_scratch_init 0
		.amdhsa_user_sgpr_private_segment_size 0
		.amdhsa_wavefront_size32 1
		.amdhsa_uses_dynamic_stack 0
		.amdhsa_system_sgpr_private_segment_wavefront_offset 0
		.amdhsa_system_sgpr_workgroup_id_x 1
		.amdhsa_system_sgpr_workgroup_id_y 0
		.amdhsa_system_sgpr_workgroup_id_z 0
		.amdhsa_system_sgpr_workgroup_info 0
		.amdhsa_system_vgpr_workitem_id 0
		.amdhsa_next_free_vgpr 33
		.amdhsa_next_free_sgpr 14
		.amdhsa_reserve_vcc 1
		.amdhsa_reserve_flat_scratch 0
		.amdhsa_float_round_mode_32 0
		.amdhsa_float_round_mode_16_64 0
		.amdhsa_float_denorm_mode_32 3
		.amdhsa_float_denorm_mode_16_64 3
		.amdhsa_dx10_clamp 1
		.amdhsa_ieee_mode 1
		.amdhsa_fp16_overflow 0
		.amdhsa_workgroup_processor_mode 1
		.amdhsa_memory_ordered 1
		.amdhsa_forward_progress 1
		.amdhsa_shared_vgpr_count 0
		.amdhsa_exception_fp_ieee_invalid_op 0
		.amdhsa_exception_fp_denorm_src 0
		.amdhsa_exception_fp_ieee_div_zero 0
		.amdhsa_exception_fp_ieee_overflow 0
		.amdhsa_exception_fp_ieee_underflow 0
		.amdhsa_exception_fp_ieee_inexact 0
		.amdhsa_exception_int_div_zero 0
	.end_amdhsa_kernel
	.section	.text._Z9sort_keysILj256ELj64ELj8EiN10test_utils4lessEEvPKT2_PS2_T3_,"axG",@progbits,_Z9sort_keysILj256ELj64ELj8EiN10test_utils4lessEEvPKT2_PS2_T3_,comdat
.Lfunc_end44:
	.size	_Z9sort_keysILj256ELj64ELj8EiN10test_utils4lessEEvPKT2_PS2_T3_, .Lfunc_end44-_Z9sort_keysILj256ELj64ELj8EiN10test_utils4lessEEvPKT2_PS2_T3_
                                        ; -- End function
	.set _Z9sort_keysILj256ELj64ELj8EiN10test_utils4lessEEvPKT2_PS2_T3_.num_vgpr, 33
	.set _Z9sort_keysILj256ELj64ELj8EiN10test_utils4lessEEvPKT2_PS2_T3_.num_agpr, 0
	.set _Z9sort_keysILj256ELj64ELj8EiN10test_utils4lessEEvPKT2_PS2_T3_.numbered_sgpr, 14
	.set _Z9sort_keysILj256ELj64ELj8EiN10test_utils4lessEEvPKT2_PS2_T3_.num_named_barrier, 0
	.set _Z9sort_keysILj256ELj64ELj8EiN10test_utils4lessEEvPKT2_PS2_T3_.private_seg_size, 0
	.set _Z9sort_keysILj256ELj64ELj8EiN10test_utils4lessEEvPKT2_PS2_T3_.uses_vcc, 1
	.set _Z9sort_keysILj256ELj64ELj8EiN10test_utils4lessEEvPKT2_PS2_T3_.uses_flat_scratch, 0
	.set _Z9sort_keysILj256ELj64ELj8EiN10test_utils4lessEEvPKT2_PS2_T3_.has_dyn_sized_stack, 0
	.set _Z9sort_keysILj256ELj64ELj8EiN10test_utils4lessEEvPKT2_PS2_T3_.has_recursion, 0
	.set _Z9sort_keysILj256ELj64ELj8EiN10test_utils4lessEEvPKT2_PS2_T3_.has_indirect_call, 0
	.section	.AMDGPU.csdata,"",@progbits
; Kernel info:
; codeLenInByte = 8632
; TotalNumSgprs: 16
; NumVgprs: 33
; ScratchSize: 0
; MemoryBound: 0
; FloatMode: 240
; IeeeMode: 1
; LDSByteSize: 8208 bytes/workgroup (compile time only)
; SGPRBlocks: 0
; VGPRBlocks: 4
; NumSGPRsForWavesPerEU: 16
; NumVGPRsForWavesPerEU: 33
; Occupancy: 16
; WaveLimiterHint : 0
; COMPUTE_PGM_RSRC2:SCRATCH_EN: 0
; COMPUTE_PGM_RSRC2:USER_SGPR: 6
; COMPUTE_PGM_RSRC2:TRAP_HANDLER: 0
; COMPUTE_PGM_RSRC2:TGID_X_EN: 1
; COMPUTE_PGM_RSRC2:TGID_Y_EN: 0
; COMPUTE_PGM_RSRC2:TGID_Z_EN: 0
; COMPUTE_PGM_RSRC2:TIDIG_COMP_CNT: 0
	.section	.text._Z10sort_pairsILj256ELj64ELj8EiN10test_utils4lessEEvPKT2_PS2_T3_,"axG",@progbits,_Z10sort_pairsILj256ELj64ELj8EiN10test_utils4lessEEvPKT2_PS2_T3_,comdat
	.protected	_Z10sort_pairsILj256ELj64ELj8EiN10test_utils4lessEEvPKT2_PS2_T3_ ; -- Begin function _Z10sort_pairsILj256ELj64ELj8EiN10test_utils4lessEEvPKT2_PS2_T3_
	.globl	_Z10sort_pairsILj256ELj64ELj8EiN10test_utils4lessEEvPKT2_PS2_T3_
	.p2align	8
	.type	_Z10sort_pairsILj256ELj64ELj8EiN10test_utils4lessEEvPKT2_PS2_T3_,@function
_Z10sort_pairsILj256ELj64ELj8EiN10test_utils4lessEEvPKT2_PS2_T3_: ; @_Z10sort_pairsILj256ELj64ELj8EiN10test_utils4lessEEvPKT2_PS2_T3_
; %bb.0:
	s_load_dwordx4 s[20:23], s[4:5], 0x0
	s_mov_b32 s1, 0
	s_lshl_b32 s0, s6, 11
	v_lshlrev_b32_e32 v1, 5, v0
	s_lshl_b64 s[24:25], s[0:1], 2
	s_mov_b32 s12, exec_lo
	s_waitcnt lgkmcnt(0)
	s_add_u32 s0, s20, s24
	s_addc_u32 s1, s21, s25
	s_clause 0x1
	global_load_dwordx4 v[5:8], v1, s[0:1]
	global_load_dwordx4 v[9:12], v1, s[0:1] offset:16
	s_waitcnt vmcnt(1)
	v_add_nc_u32_e32 v1, 1, v5
	v_add_nc_u32_e32 v2, 1, v6
	;; [unrolled: 1-line block ×4, first 2 shown]
	s_waitcnt vmcnt(0)
	v_add_nc_u32_e32 v14, 1, v9
	v_add_nc_u32_e32 v15, 1, v10
	;; [unrolled: 1-line block ×4, first 2 shown]
	v_cmp_lt_i32_e32 vcc_lo, v6, v5
	v_cmp_lt_i32_e64 s0, v8, v7
	v_cmp_lt_i32_e64 s1, v10, v9
	;; [unrolled: 1-line block ×3, first 2 shown]
	v_cndmask_b32_e32 v18, v2, v1, vcc_lo
	v_cndmask_b32_e32 v4, v1, v2, vcc_lo
	;; [unrolled: 1-line block ×4, first 2 shown]
	v_cndmask_b32_e64 v6, v13, v3, s0
	v_cndmask_b32_e64 v3, v3, v13, s0
	;; [unrolled: 1-line block ×12, first 2 shown]
	v_cmp_lt_i32_e32 vcc_lo, v7, v2
	v_cmp_lt_i32_e64 s0, v9, v13
	v_cmp_lt_i32_e64 s1, v11, v15
	v_cndmask_b32_e32 v12, v3, v18, vcc_lo
	v_cndmask_b32_e64 v19, v14, v6, s0
	v_cndmask_b32_e32 v5, v18, v3, vcc_lo
	v_cndmask_b32_e32 v3, v7, v2, vcc_lo
	;; [unrolled: 1-line block ×3, first 2 shown]
	v_cndmask_b32_e64 v7, v6, v14, s0
	v_cndmask_b32_e64 v14, v9, v13, s0
	;; [unrolled: 1-line block ×7, first 2 shown]
	v_cmp_lt_i32_e32 vcc_lo, v2, v1
	v_cmp_lt_i32_e64 s0, v9, v3
	v_cmp_lt_i32_e64 s1, v11, v14
	v_cmp_lt_i32_e64 s2, v17, v13
	v_cndmask_b32_e32 v21, v1, v2, vcc_lo
	v_cndmask_b32_e64 v15, v7, v12, s0
	v_cndmask_b32_e32 v1, v2, v1, vcc_lo
	v_cndmask_b32_e64 v7, v12, v7, s0
	v_cndmask_b32_e64 v2, v9, v3, s0
	;; [unrolled: 1-line block ×11, first 2 shown]
	v_cmp_lt_i32_e64 s0, v3, v1
	v_cmp_lt_i32_e64 s1, v11, v2
	;; [unrolled: 1-line block ×3, first 2 shown]
	v_cndmask_b32_e32 v6, v5, v4, vcc_lo
	v_cndmask_b32_e64 v20, v3, v1, s0
	v_cndmask_b32_e64 v17, v9, v15, s1
	;; [unrolled: 1-line block ×10, first 2 shown]
	v_cmp_lt_i32_e64 s1, v1, v21
	v_cmp_lt_i32_e64 s2, v2, v20
	v_cndmask_b32_e64 v8, v7, v6, s0
	v_cmp_lt_i32_e64 s4, v14, v16
	v_cmp_lt_i32_e64 s3, v12, v3
	v_cndmask_b32_e64 v22, v21, v1, s1
	v_cndmask_b32_e64 v1, v1, v21, s1
	;; [unrolled: 1-line block ×12, first 2 shown]
	v_cmp_lt_i32_e64 s3, v2, v1
	v_cmp_lt_i32_e64 s4, v3, v21
	v_cndmask_b32_e64 v10, v9, v8, s2
	v_cmp_lt_i32_e64 s5, v19, v17
	v_cndmask_b32_e64 v24, v2, v1, s3
	v_cndmask_b32_e64 v2, v1, v2, s3
	;; [unrolled: 1-line block ×8, first 2 shown]
	v_cmp_lt_i32_e64 s5, v2, v22
	v_cmp_lt_i32_e64 s6, v3, v24
	v_cndmask_b32_e64 v14, v13, v10, s4
	v_cmp_lt_i32_e64 s10, v18, v23
	v_cmp_lt_i32_e64 s7, v17, v25
	v_cndmask_b32_e64 v26, v2, v22, s5
	v_cndmask_b32_e64 v19, v3, v24, s6
	;; [unrolled: 1-line block ×8, first 2 shown]
	v_cmp_lt_i32_e64 s8, v3, v26
	v_cndmask_b32_e64 v12, v16, v14, s7
	v_cmp_lt_i32_e64 s9, v17, v19
	v_cndmask_b32_e64 v22, v18, v23, s10
	v_mov_b32_e32 v28, v2
	v_cndmask_b32_e64 v23, v3, v26, s8
	v_cndmask_b32_e64 v26, v26, v3, s8
	;; [unrolled: 1-line block ×4, first 2 shown]
	v_mov_b32_e32 v17, v1
	v_cmpx_lt_i32_e64 v2, v21
; %bb.1:
	v_mov_b32_e32 v28, v21
	v_mov_b32_e32 v21, v2
	v_mov_b32_e32 v17, v12
	v_mov_b32_e32 v12, v1
; %bb.2:
	s_or_b32 exec_lo, exec_lo, s12
	v_mbcnt_lo_u32_b32 v1, -1, 0
	v_lshrrev_b32_e32 v32, 6, v0
	v_lshlrev_b32_e32 v0, 3, v0
	; wave barrier
	v_lshlrev_b32_e32 v3, 3, v1
	v_lshlrev_b32_e32 v2, 5, v1
	v_mul_u32_u24_e32 v1, 0x804, v32
	s_mov_b32 s12, exec_lo
	v_and_b32_e32 v25, 0xf0, v3
	v_and_b32_e32 v29, 8, v3
	v_mad_u32_u24 v2, 0x804, v32, v2
	ds_write2_b32 v2, v20, v26 offset1:1
	ds_write2_b32 v2, v23, v27 offset0:2 offset1:3
	v_or_b32_e32 v19, 8, v25
	v_add_nc_u32_e32 v18, 16, v25
	v_lshlrev_b32_e32 v34, 2, v25
	ds_write2_b32 v2, v24, v21 offset0:4 offset1:5
	ds_write2_b32 v2, v28, v22 offset0:6 offset1:7
	v_sub_nc_u32_e32 v33, v19, v25
	v_sub_nc_u32_e32 v30, v18, v19
	v_mad_u32_u24 v20, 0x804, v32, v34
	; wave barrier
	v_sub_nc_u32_e32 v31, v29, v30
	v_cmp_ge_i32_e64 s11, v29, v30
	v_cndmask_b32_e64 v30, 0, v31, s11
	v_min_i32_e32 v31, v29, v33
	v_cmpx_lt_i32_e64 v30, v31
	s_cbranch_execz .LBB45_6
; %bb.3:
	v_lshlrev_b32_e32 v21, 2, v19
	v_lshlrev_b32_e32 v22, 2, v29
	s_mov_b32 s13, 0
	v_add3_u32 v21, v1, v21, v22
	.p2align	6
.LBB45_4:                               ; =>This Inner Loop Header: Depth=1
	v_sub_nc_u32_e32 v22, v31, v30
	v_lshrrev_b32_e32 v22, 1, v22
	v_add_nc_u32_e32 v22, v22, v30
	v_not_b32_e32 v23, v22
	v_lshl_add_u32 v24, v22, 2, v20
	v_add_nc_u32_e32 v26, 1, v22
	v_lshl_add_u32 v23, v23, 2, v21
	ds_read_b32 v24, v24
	ds_read_b32 v23, v23
	s_waitcnt lgkmcnt(0)
	v_cmp_lt_i32_e64 s11, v23, v24
	v_cndmask_b32_e64 v31, v31, v22, s11
	v_cndmask_b32_e64 v30, v26, v30, s11
	v_cmp_ge_i32_e64 s11, v30, v31
	s_or_b32 s13, s11, s13
	s_andn2_b32 exec_lo, exec_lo, s13
	s_cbranch_execnz .LBB45_4
; %bb.5:
	s_or_b32 exec_lo, exec_lo, s13
.LBB45_6:
	s_or_b32 exec_lo, exec_lo, s12
	v_add_nc_u32_e32 v21, v19, v29
	v_lshl_add_u32 v23, v30, 2, v20
	v_add_nc_u32_e32 v27, v30, v25
                                        ; implicit-def: $vgpr22
	v_sub_nc_u32_e32 v26, v21, v30
	v_cmp_le_i32_e64 s11, v19, v27
	v_lshl_add_u32 v24, v26, 2, v1
	v_cmp_gt_i32_e64 s13, v18, v26
	ds_read_b32 v20, v23
	ds_read_b32 v21, v24
	s_waitcnt lgkmcnt(0)
	v_cmp_lt_i32_e64 s12, v21, v20
	s_or_b32 s11, s11, s12
	s_and_b32 s11, s13, s11
	s_xor_b32 s12, s11, -1
	s_and_saveexec_b32 s13, s12
	s_xor_b32 s12, exec_lo, s13
; %bb.7:
	ds_read_b32 v22, v23 offset:4
                                        ; implicit-def: $vgpr24
; %bb.8:
	s_or_saveexec_b32 s12, s12
	v_mov_b32_e32 v23, v21
	s_xor_b32 exec_lo, exec_lo, s12
	s_cbranch_execz .LBB45_10
; %bb.9:
	ds_read_b32 v23, v24 offset:4
	s_waitcnt lgkmcnt(1)
	v_mov_b32_e32 v22, v20
.LBB45_10:
	s_or_b32 exec_lo, exec_lo, s12
	v_add_nc_u32_e32 v24, 1, v27
	v_add_nc_u32_e32 v25, 1, v26
	s_waitcnt lgkmcnt(0)
	v_cmp_lt_i32_e64 s13, v23, v22
	v_cndmask_b32_e64 v28, v24, v27, s11
	v_cndmask_b32_e64 v29, v26, v25, s11
                                        ; implicit-def: $vgpr24
	v_cmp_ge_i32_e64 s12, v28, v19
	v_cmp_lt_i32_e64 s14, v29, v18
	s_or_b32 s12, s12, s13
	s_and_b32 s12, s14, s12
	s_xor_b32 s13, s12, -1
	s_and_saveexec_b32 s14, s13
	s_xor_b32 s13, exec_lo, s14
; %bb.11:
	v_lshl_add_u32 v24, v28, 2, v1
	ds_read_b32 v24, v24 offset:4
; %bb.12:
	s_or_saveexec_b32 s13, s13
	v_mov_b32_e32 v25, v23
	s_xor_b32 exec_lo, exec_lo, s13
	s_cbranch_execz .LBB45_14
; %bb.13:
	s_waitcnt lgkmcnt(0)
	v_lshl_add_u32 v24, v29, 2, v1
	ds_read_b32 v25, v24 offset:4
	v_mov_b32_e32 v24, v22
.LBB45_14:
	s_or_b32 exec_lo, exec_lo, s13
	v_add_nc_u32_e32 v30, 1, v28
	v_add_nc_u32_e32 v31, 1, v29
	s_waitcnt lgkmcnt(0)
	v_cmp_lt_i32_e64 s14, v25, v24
                                        ; implicit-def: $vgpr32
	v_cndmask_b32_e64 v30, v30, v28, s12
	v_cndmask_b32_e64 v31, v29, v31, s12
	v_cmp_ge_i32_e64 s13, v30, v19
	v_cmp_lt_i32_e64 s15, v31, v18
	s_or_b32 s13, s13, s14
	s_and_b32 s13, s15, s13
	s_xor_b32 s14, s13, -1
	s_and_saveexec_b32 s15, s14
	s_xor_b32 s14, exec_lo, s15
; %bb.15:
	v_lshl_add_u32 v32, v30, 2, v1
	ds_read_b32 v32, v32 offset:4
; %bb.16:
	s_or_saveexec_b32 s14, s14
	v_mov_b32_e32 v33, v25
	s_xor_b32 exec_lo, exec_lo, s14
	s_cbranch_execz .LBB45_18
; %bb.17:
	s_waitcnt lgkmcnt(0)
	v_lshl_add_u32 v32, v31, 2, v1
	ds_read_b32 v33, v32 offset:4
	v_mov_b32_e32 v32, v24
.LBB45_18:
	s_or_b32 exec_lo, exec_lo, s14
	v_add_nc_u32_e32 v34, 1, v30
	v_add_nc_u32_e32 v35, 1, v31
	s_waitcnt lgkmcnt(0)
	v_cmp_lt_i32_e64 s15, v33, v32
                                        ; implicit-def: $vgpr36
	v_cndmask_b32_e64 v34, v34, v30, s13
	v_cndmask_b32_e64 v35, v31, v35, s13
	v_cmp_ge_i32_e64 s14, v34, v19
	v_cmp_lt_i32_e64 s16, v35, v18
	s_or_b32 s14, s14, s15
	s_and_b32 s14, s16, s14
	s_xor_b32 s15, s14, -1
	s_and_saveexec_b32 s16, s15
	s_xor_b32 s15, exec_lo, s16
; %bb.19:
	v_lshl_add_u32 v36, v34, 2, v1
	ds_read_b32 v36, v36 offset:4
; %bb.20:
	s_or_saveexec_b32 s15, s15
	v_mov_b32_e32 v37, v33
	s_xor_b32 exec_lo, exec_lo, s15
	s_cbranch_execz .LBB45_22
; %bb.21:
	s_waitcnt lgkmcnt(0)
	v_lshl_add_u32 v36, v35, 2, v1
	ds_read_b32 v37, v36 offset:4
	v_mov_b32_e32 v36, v32
.LBB45_22:
	s_or_b32 exec_lo, exec_lo, s15
	v_add_nc_u32_e32 v38, 1, v34
	v_add_nc_u32_e32 v39, 1, v35
	s_waitcnt lgkmcnt(0)
	v_cmp_lt_i32_e64 s16, v37, v36
                                        ; implicit-def: $vgpr40
	v_cndmask_b32_e64 v38, v38, v34, s14
	v_cndmask_b32_e64 v39, v35, v39, s14
	v_cmp_ge_i32_e64 s15, v38, v19
	v_cmp_lt_i32_e64 s17, v39, v18
	s_or_b32 s15, s15, s16
	s_and_b32 s15, s17, s15
	s_xor_b32 s16, s15, -1
	s_and_saveexec_b32 s17, s16
	s_xor_b32 s16, exec_lo, s17
; %bb.23:
	v_lshl_add_u32 v40, v38, 2, v1
	ds_read_b32 v40, v40 offset:4
; %bb.24:
	s_or_saveexec_b32 s16, s16
	v_mov_b32_e32 v41, v37
	s_xor_b32 exec_lo, exec_lo, s16
	s_cbranch_execz .LBB45_26
; %bb.25:
	s_waitcnt lgkmcnt(0)
	v_lshl_add_u32 v40, v39, 2, v1
	ds_read_b32 v41, v40 offset:4
	v_mov_b32_e32 v40, v36
.LBB45_26:
	s_or_b32 exec_lo, exec_lo, s16
	v_add_nc_u32_e32 v42, 1, v38
	v_add_nc_u32_e32 v43, 1, v39
	s_waitcnt lgkmcnt(0)
	v_cmp_lt_i32_e64 s17, v41, v40
                                        ; implicit-def: $vgpr46
	v_cndmask_b32_e64 v42, v42, v38, s15
	v_cndmask_b32_e64 v43, v39, v43, s15
	v_cmp_ge_i32_e64 s16, v42, v19
	v_cmp_lt_i32_e64 s18, v43, v18
	s_or_b32 s16, s16, s17
	s_and_b32 s16, s18, s16
	s_xor_b32 s17, s16, -1
	s_and_saveexec_b32 s18, s17
	s_xor_b32 s17, exec_lo, s18
; %bb.27:
	v_lshl_add_u32 v44, v42, 2, v1
	ds_read_b32 v46, v44 offset:4
; %bb.28:
	s_or_saveexec_b32 s17, s17
	v_mov_b32_e32 v47, v41
	s_xor_b32 exec_lo, exec_lo, s17
	s_cbranch_execz .LBB45_30
; %bb.29:
	v_lshl_add_u32 v44, v43, 2, v1
	s_waitcnt lgkmcnt(0)
	v_mov_b32_e32 v46, v40
	ds_read_b32 v47, v44 offset:4
.LBB45_30:
	s_or_b32 exec_lo, exec_lo, s17
	v_add_nc_u32_e32 v44, 1, v42
	v_add_nc_u32_e32 v45, 1, v43
	s_waitcnt lgkmcnt(0)
	v_cmp_lt_i32_e64 s18, v47, v46
	v_cndmask_b32_e64 v48, v44, v42, s16
	v_cndmask_b32_e64 v49, v43, v45, s16
                                        ; implicit-def: $vgpr44
	v_cmp_ge_i32_e64 s17, v48, v19
	v_cmp_lt_i32_e64 s19, v49, v18
	s_or_b32 s17, s17, s18
	s_and_b32 s17, s19, s17
	s_xor_b32 s18, s17, -1
	s_and_saveexec_b32 s19, s18
	s_xor_b32 s18, exec_lo, s19
; %bb.31:
	v_lshl_add_u32 v44, v48, 2, v1
	ds_read_b32 v44, v44 offset:4
; %bb.32:
	s_or_saveexec_b32 s18, s18
	v_mov_b32_e32 v45, v47
	s_xor_b32 exec_lo, exec_lo, s18
	s_cbranch_execz .LBB45_34
; %bb.33:
	s_waitcnt lgkmcnt(0)
	v_lshl_add_u32 v44, v49, 2, v1
	ds_read_b32 v45, v44 offset:4
	v_mov_b32_e32 v44, v46
.LBB45_34:
	s_or_b32 exec_lo, exec_lo, s18
	v_cndmask_b32_e32 v4, v4, v5, vcc_lo
	v_cndmask_b32_e64 v5, v6, v7, s0
	v_cndmask_b32_e64 v36, v36, v37, s15
	;; [unrolled: 1-line block ×3, first 2 shown]
	v_add_nc_u32_e32 v51, 1, v48
	v_add_nc_u32_e32 v50, 1, v49
	v_cndmask_b32_e64 v37, v5, v4, s1
	v_cndmask_b32_e64 v4, v4, v5, s1
	v_cndmask_b32_e64 v10, v10, v13, s4
	v_cndmask_b32_e64 v46, v46, v47, s17
	v_cndmask_b32_e64 v47, v48, v49, s17
	v_cndmask_b32_e64 v5, v37, v8, s3
	v_cndmask_b32_e64 v8, v8, v37, s3
	v_cndmask_b32_e64 v48, v51, v48, s17
	v_cndmask_b32_e64 v49, v49, v50, s17
	v_cndmask_b32_e64 v26, v27, v26, s11
	v_cndmask_b32_e64 v27, v5, v4, s5
	v_cndmask_b32_e64 v4, v4, v5, s5
	v_cndmask_b32_e64 v5, v10, v8, s6
	v_cndmask_b32_e64 v8, v8, v10, s6
	v_cndmask_b32_e64 v10, v14, v16, s7
	v_cmp_ge_i32_e32 vcc_lo, v48, v19
	s_waitcnt lgkmcnt(0)
	v_cmp_lt_i32_e64 s0, v45, v44
	v_cmp_lt_i32_e64 s1, v49, v18
	v_cndmask_b32_e64 v14, v8, v27, s8
	v_cndmask_b32_e64 v8, v27, v8, s8
	v_cndmask_b32_e64 v13, v28, v29, s12
	v_cndmask_b32_e64 v11, v11, v15, s10
	v_cndmask_b32_e64 v15, v10, v5, s9
	s_or_b32 s0, vcc_lo, s0
	v_cndmask_b32_e64 v5, v5, v10, s9
	v_cndmask_b32_e64 v30, v30, v31, s13
	;; [unrolled: 1-line block ×3, first 2 shown]
	s_and_b32 vcc_lo, s1, s0
	v_cndmask_b32_e64 v7, v38, v39, s15
	v_cndmask_b32_e64 v6, v42, v43, s16
	v_cndmask_b32_e32 v10, v48, v49, vcc_lo
	; wave barrier
	ds_write2_b32 v2, v4, v8 offset1:1
	ds_write2_b32 v2, v14, v5 offset0:2 offset1:3
	ds_write2_b32 v2, v15, v12 offset0:4 offset1:5
	ds_write2_b32 v2, v17, v11 offset0:6 offset1:7
	v_lshl_add_u32 v4, v26, 2, v1
	v_lshl_add_u32 v5, v13, 2, v1
	;; [unrolled: 1-line block ×5, first 2 shown]
	; wave barrier
	v_lshl_add_u32 v15, v6, 2, v1
	v_lshl_add_u32 v17, v47, 2, v1
	;; [unrolled: 1-line block ×3, first 2 shown]
	ds_read_b32 v4, v4
	ds_read_b32 v5, v5
	;; [unrolled: 1-line block ×8, first 2 shown]
	v_and_b32_e32 v16, 0xe0, v3
	v_and_b32_e32 v14, 24, v3
	v_cndmask_b32_e32 v19, v44, v45, vcc_lo
	v_cndmask_b32_e64 v22, v22, v23, s12
	v_cndmask_b32_e64 v20, v20, v21, s11
	v_or_b32_e32 v13, 16, v16
	v_add_nc_u32_e32 v12, 32, v16
	v_cndmask_b32_e64 v32, v32, v33, s14
	v_cndmask_b32_e64 v15, v24, v25, s13
	;; [unrolled: 1-line block ×3, first 2 shown]
	v_sub_nc_u32_e32 v18, v13, v16
	v_sub_nc_u32_e32 v26, v12, v13
	; wave barrier
	ds_write2_b32 v2, v20, v22 offset1:1
	ds_write2_b32 v2, v15, v32 offset0:2 offset1:3
	ds_write2_b32 v2, v36, v40 offset0:4 offset1:5
	v_min_i32_e32 v18, v14, v18
	v_sub_nc_u32_e32 v17, v14, v26
	v_cmp_ge_i32_e32 vcc_lo, v14, v26
	v_lshl_add_u32 v15, v16, 2, v1
	s_mov_b32 s1, 0
	s_mov_b32 s0, exec_lo
	ds_write2_b32 v2, v46, v19 offset0:6 offset1:7
	v_cndmask_b32_e32 v17, 0, v17, vcc_lo
	; wave barrier
	v_cmpx_lt_i32_e64 v17, v18
	s_cbranch_execz .LBB45_38
; %bb.35:
	v_lshlrev_b32_e32 v19, 2, v13
	v_lshlrev_b32_e32 v20, 2, v14
	v_add3_u32 v19, v1, v19, v20
	.p2align	6
.LBB45_36:                              ; =>This Inner Loop Header: Depth=1
	v_sub_nc_u32_e32 v20, v18, v17
	v_lshrrev_b32_e32 v20, 1, v20
	v_add_nc_u32_e32 v20, v20, v17
	v_not_b32_e32 v21, v20
	v_lshl_add_u32 v22, v20, 2, v15
	v_add_nc_u32_e32 v23, 1, v20
	v_lshl_add_u32 v21, v21, 2, v19
	ds_read_b32 v22, v22
	ds_read_b32 v21, v21
	s_waitcnt lgkmcnt(0)
	v_cmp_lt_i32_e32 vcc_lo, v21, v22
	v_cndmask_b32_e32 v18, v18, v20, vcc_lo
	v_cndmask_b32_e32 v17, v23, v17, vcc_lo
	v_cmp_ge_i32_e32 vcc_lo, v17, v18
	s_or_b32 s1, vcc_lo, s1
	s_andn2_b32 exec_lo, exec_lo, s1
	s_cbranch_execnz .LBB45_36
; %bb.37:
	s_or_b32 exec_lo, exec_lo, s1
.LBB45_38:
	s_or_b32 exec_lo, exec_lo, s0
	v_add_nc_u32_e32 v14, v13, v14
	v_lshl_add_u32 v21, v17, 2, v15
	v_add_nc_u32_e32 v20, v17, v16
                                        ; implicit-def: $vgpr16
	v_sub_nc_u32_e32 v18, v14, v17
	v_cmp_le_i32_e32 vcc_lo, v13, v20
	v_lshl_add_u32 v19, v18, 2, v1
	v_cmp_gt_i32_e64 s1, v12, v18
	ds_read_b32 v14, v21
	ds_read_b32 v15, v19
	s_waitcnt lgkmcnt(0)
	v_cmp_lt_i32_e64 s0, v15, v14
	s_or_b32 s0, vcc_lo, s0
	s_and_b32 vcc_lo, s1, s0
	s_xor_b32 s0, vcc_lo, -1
	s_and_saveexec_b32 s1, s0
	s_xor_b32 s0, exec_lo, s1
; %bb.39:
	ds_read_b32 v16, v21 offset:4
                                        ; implicit-def: $vgpr19
; %bb.40:
	s_or_saveexec_b32 s0, s0
	v_mov_b32_e32 v17, v15
	s_xor_b32 exec_lo, exec_lo, s0
	s_cbranch_execz .LBB45_42
; %bb.41:
	ds_read_b32 v17, v19 offset:4
	s_waitcnt lgkmcnt(1)
	v_mov_b32_e32 v16, v14
.LBB45_42:
	s_or_b32 exec_lo, exec_lo, s0
	v_add_nc_u32_e32 v19, 1, v20
	v_add_nc_u32_e32 v21, 1, v18
	s_waitcnt lgkmcnt(0)
	v_cmp_lt_i32_e64 s1, v17, v16
	v_cndmask_b32_e32 v22, v19, v20, vcc_lo
	v_cndmask_b32_e32 v23, v18, v21, vcc_lo
                                        ; implicit-def: $vgpr19
	v_cmp_ge_i32_e64 s0, v22, v13
	v_cmp_lt_i32_e64 s2, v23, v12
	s_or_b32 s0, s0, s1
	s_and_b32 s0, s2, s0
	s_xor_b32 s1, s0, -1
	s_and_saveexec_b32 s2, s1
	s_xor_b32 s1, exec_lo, s2
; %bb.43:
	v_lshl_add_u32 v19, v22, 2, v1
	ds_read_b32 v19, v19 offset:4
; %bb.44:
	s_or_saveexec_b32 s1, s1
	v_mov_b32_e32 v21, v17
	s_xor_b32 exec_lo, exec_lo, s1
	s_cbranch_execz .LBB45_46
; %bb.45:
	s_waitcnt lgkmcnt(0)
	v_lshl_add_u32 v19, v23, 2, v1
	ds_read_b32 v21, v19 offset:4
	v_mov_b32_e32 v19, v16
.LBB45_46:
	s_or_b32 exec_lo, exec_lo, s1
	v_add_nc_u32_e32 v24, 1, v22
	v_add_nc_u32_e32 v25, 1, v23
	s_waitcnt lgkmcnt(0)
	v_cmp_lt_i32_e64 s2, v21, v19
                                        ; implicit-def: $vgpr26
	v_cndmask_b32_e64 v24, v24, v22, s0
	v_cndmask_b32_e64 v25, v23, v25, s0
	v_cmp_ge_i32_e64 s1, v24, v13
	v_cmp_lt_i32_e64 s3, v25, v12
	s_or_b32 s1, s1, s2
	s_and_b32 s1, s3, s1
	s_xor_b32 s2, s1, -1
	s_and_saveexec_b32 s3, s2
	s_xor_b32 s2, exec_lo, s3
; %bb.47:
	v_lshl_add_u32 v26, v24, 2, v1
	ds_read_b32 v26, v26 offset:4
; %bb.48:
	s_or_saveexec_b32 s2, s2
	v_mov_b32_e32 v27, v21
	s_xor_b32 exec_lo, exec_lo, s2
	s_cbranch_execz .LBB45_50
; %bb.49:
	s_waitcnt lgkmcnt(0)
	v_lshl_add_u32 v26, v25, 2, v1
	ds_read_b32 v27, v26 offset:4
	v_mov_b32_e32 v26, v19
.LBB45_50:
	s_or_b32 exec_lo, exec_lo, s2
	v_add_nc_u32_e32 v28, 1, v24
	v_add_nc_u32_e32 v29, 1, v25
	s_waitcnt lgkmcnt(0)
	v_cmp_lt_i32_e64 s3, v27, v26
                                        ; implicit-def: $vgpr30
	v_cndmask_b32_e64 v28, v28, v24, s1
	v_cndmask_b32_e64 v29, v25, v29, s1
	v_cmp_ge_i32_e64 s2, v28, v13
	v_cmp_lt_i32_e64 s4, v29, v12
	s_or_b32 s2, s2, s3
	s_and_b32 s2, s4, s2
	s_xor_b32 s3, s2, -1
	s_and_saveexec_b32 s4, s3
	s_xor_b32 s3, exec_lo, s4
; %bb.51:
	v_lshl_add_u32 v30, v28, 2, v1
	ds_read_b32 v30, v30 offset:4
; %bb.52:
	s_or_saveexec_b32 s3, s3
	v_mov_b32_e32 v31, v27
	s_xor_b32 exec_lo, exec_lo, s3
	s_cbranch_execz .LBB45_54
; %bb.53:
	s_waitcnt lgkmcnt(0)
	v_lshl_add_u32 v30, v29, 2, v1
	ds_read_b32 v31, v30 offset:4
	v_mov_b32_e32 v30, v26
.LBB45_54:
	s_or_b32 exec_lo, exec_lo, s3
	v_add_nc_u32_e32 v32, 1, v28
	v_add_nc_u32_e32 v33, 1, v29
	s_waitcnt lgkmcnt(0)
	v_cmp_lt_i32_e64 s4, v31, v30
                                        ; implicit-def: $vgpr34
	v_cndmask_b32_e64 v32, v32, v28, s2
	v_cndmask_b32_e64 v33, v29, v33, s2
	v_cmp_ge_i32_e64 s3, v32, v13
	v_cmp_lt_i32_e64 s5, v33, v12
	s_or_b32 s3, s3, s4
	s_and_b32 s3, s5, s3
	s_xor_b32 s4, s3, -1
	s_and_saveexec_b32 s5, s4
	s_xor_b32 s4, exec_lo, s5
; %bb.55:
	v_lshl_add_u32 v34, v32, 2, v1
	ds_read_b32 v34, v34 offset:4
; %bb.56:
	s_or_saveexec_b32 s4, s4
	v_mov_b32_e32 v35, v31
	s_xor_b32 exec_lo, exec_lo, s4
	s_cbranch_execz .LBB45_58
; %bb.57:
	s_waitcnt lgkmcnt(0)
	v_lshl_add_u32 v34, v33, 2, v1
	ds_read_b32 v35, v34 offset:4
	v_mov_b32_e32 v34, v30
.LBB45_58:
	s_or_b32 exec_lo, exec_lo, s4
	v_add_nc_u32_e32 v36, 1, v32
	v_add_nc_u32_e32 v37, 1, v33
	s_waitcnt lgkmcnt(0)
	v_cmp_lt_i32_e64 s5, v35, v34
                                        ; implicit-def: $vgpr38
	v_cndmask_b32_e64 v36, v36, v32, s3
	v_cndmask_b32_e64 v37, v33, v37, s3
	v_cmp_ge_i32_e64 s4, v36, v13
	v_cmp_lt_i32_e64 s6, v37, v12
	s_or_b32 s4, s4, s5
	s_and_b32 s4, s6, s4
	s_xor_b32 s5, s4, -1
	s_and_saveexec_b32 s6, s5
	s_xor_b32 s5, exec_lo, s6
; %bb.59:
	v_lshl_add_u32 v38, v36, 2, v1
	ds_read_b32 v38, v38 offset:4
; %bb.60:
	s_or_saveexec_b32 s5, s5
	v_mov_b32_e32 v39, v35
	s_xor_b32 exec_lo, exec_lo, s5
	s_cbranch_execz .LBB45_62
; %bb.61:
	s_waitcnt lgkmcnt(0)
	v_lshl_add_u32 v38, v37, 2, v1
	ds_read_b32 v39, v38 offset:4
	v_mov_b32_e32 v38, v34
.LBB45_62:
	s_or_b32 exec_lo, exec_lo, s5
	v_add_nc_u32_e32 v40, 1, v36
	v_add_nc_u32_e32 v42, 1, v37
	s_waitcnt lgkmcnt(0)
	v_cmp_lt_i32_e64 s6, v39, v38
	v_cndmask_b32_e64 v41, v40, v36, s4
	v_cndmask_b32_e64 v42, v37, v42, s4
                                        ; implicit-def: $vgpr40
	v_cmp_ge_i32_e64 s5, v41, v13
	v_cmp_lt_i32_e64 s7, v42, v12
	s_or_b32 s5, s5, s6
	s_and_b32 s5, s7, s5
	s_xor_b32 s6, s5, -1
	s_and_saveexec_b32 s7, s6
	s_xor_b32 s6, exec_lo, s7
; %bb.63:
	v_lshl_add_u32 v40, v41, 2, v1
	ds_read_b32 v40, v40 offset:4
; %bb.64:
	s_or_saveexec_b32 s6, s6
	v_mov_b32_e32 v43, v39
	s_xor_b32 exec_lo, exec_lo, s6
	s_cbranch_execz .LBB45_66
; %bb.65:
	s_waitcnt lgkmcnt(0)
	v_lshl_add_u32 v40, v42, 2, v1
	ds_read_b32 v43, v40 offset:4
	v_mov_b32_e32 v40, v38
.LBB45_66:
	s_or_b32 exec_lo, exec_lo, s6
	v_add_nc_u32_e32 v45, 1, v41
	v_add_nc_u32_e32 v44, 1, v42
	v_cndmask_b32_e64 v38, v38, v39, s5
	v_cndmask_b32_e64 v39, v41, v42, s5
	;; [unrolled: 1-line block ×8, first 2 shown]
	v_cmp_ge_i32_e64 s3, v41, v13
	s_waitcnt lgkmcnt(0)
	v_cmp_lt_i32_e64 s4, v43, v40
	v_cndmask_b32_e64 v26, v26, v27, s2
	v_cndmask_b32_e64 v13, v28, v29, s2
	v_cmp_lt_i32_e64 s2, v42, v12
	v_cndmask_b32_e32 v18, v20, v18, vcc_lo
	s_or_b32 s3, s3, s4
	v_cndmask_b32_e64 v22, v22, v23, s0
	v_cndmask_b32_e64 v12, v24, v25, s1
	s_and_b32 s2, s2, s3
	v_cndmask_b32_e64 v24, v41, v42, s2
	; wave barrier
	ds_write2_b32 v2, v4, v5 offset1:1
	ds_write2_b32 v2, v6, v7 offset0:2 offset1:3
	ds_write2_b32 v2, v8, v9 offset0:4 offset1:5
	;; [unrolled: 1-line block ×3, first 2 shown]
	v_lshl_add_u32 v4, v18, 2, v1
	v_lshl_add_u32 v5, v22, 2, v1
	;; [unrolled: 1-line block ×8, first 2 shown]
	; wave barrier
	ds_read_b32 v4, v4
	ds_read_b32 v5, v5
	;; [unrolled: 1-line block ×8, first 2 shown]
	v_and_b32_e32 v20, 0xc0, v3
	v_and_b32_e32 v18, 56, v3
	v_cndmask_b32_e64 v19, v19, v21, s1
	v_cndmask_b32_e64 v17, v16, v17, s0
	v_cndmask_b32_e32 v14, v14, v15, vcc_lo
	v_or_b32_e32 v13, 32, v20
	v_add_nc_u32_e32 v12, 64, v20
	v_cndmask_b32_e64 v23, v40, v43, s2
	; wave barrier
	v_sub_nc_u32_e32 v21, v13, v20
	v_sub_nc_u32_e32 v22, v12, v13
	ds_write2_b32 v2, v14, v17 offset1:1
	ds_write2_b32 v2, v19, v26 offset0:2 offset1:3
	ds_write2_b32 v2, v30, v34 offset0:4 offset1:5
	v_lshl_add_u32 v14, v20, 2, v1
	s_mov_b32 s1, 0
	s_mov_b32 s0, exec_lo
	v_sub_nc_u32_e32 v15, v18, v22
	v_cmp_ge_i32_e32 vcc_lo, v18, v22
	ds_write2_b32 v2, v38, v23 offset0:6 offset1:7
	; wave barrier
	v_cndmask_b32_e32 v16, 0, v15, vcc_lo
	v_min_i32_e32 v15, v18, v21
	v_cmpx_lt_i32_e64 v16, v15
	s_cbranch_execz .LBB45_70
; %bb.67:
	v_lshlrev_b32_e32 v17, 2, v13
	v_lshlrev_b32_e32 v19, 2, v18
	v_add3_u32 v17, v1, v17, v19
	.p2align	6
.LBB45_68:                              ; =>This Inner Loop Header: Depth=1
	v_sub_nc_u32_e32 v19, v15, v16
	v_lshrrev_b32_e32 v19, 1, v19
	v_add_nc_u32_e32 v19, v19, v16
	v_not_b32_e32 v21, v19
	v_lshl_add_u32 v22, v19, 2, v14
	v_add_nc_u32_e32 v23, 1, v19
	v_lshl_add_u32 v21, v21, 2, v17
	ds_read_b32 v22, v22
	ds_read_b32 v21, v21
	s_waitcnt lgkmcnt(0)
	v_cmp_lt_i32_e32 vcc_lo, v21, v22
	v_cndmask_b32_e32 v15, v15, v19, vcc_lo
	v_cndmask_b32_e32 v16, v23, v16, vcc_lo
	v_cmp_ge_i32_e32 vcc_lo, v16, v15
	s_or_b32 s1, vcc_lo, s1
	s_andn2_b32 exec_lo, exec_lo, s1
	s_cbranch_execnz .LBB45_68
; %bb.69:
	s_or_b32 exec_lo, exec_lo, s1
.LBB45_70:
	s_or_b32 exec_lo, exec_lo, s0
	v_add_nc_u32_e32 v15, v13, v18
	v_lshl_add_u32 v17, v16, 2, v14
	v_add_nc_u32_e32 v20, v16, v20
	v_sub_nc_u32_e32 v18, v15, v16
                                        ; implicit-def: $vgpr16
	v_cmp_le_i32_e32 vcc_lo, v13, v20
	v_lshl_add_u32 v19, v18, 2, v1
	v_cmp_gt_i32_e64 s1, v12, v18
	ds_read_b32 v14, v17
	ds_read_b32 v15, v19
	s_waitcnt lgkmcnt(0)
	v_cmp_lt_i32_e64 s0, v15, v14
	s_or_b32 s0, vcc_lo, s0
	s_and_b32 vcc_lo, s1, s0
	s_xor_b32 s0, vcc_lo, -1
	s_and_saveexec_b32 s1, s0
	s_xor_b32 s0, exec_lo, s1
; %bb.71:
	ds_read_b32 v16, v17 offset:4
                                        ; implicit-def: $vgpr19
; %bb.72:
	s_or_saveexec_b32 s0, s0
	v_mov_b32_e32 v17, v15
	s_xor_b32 exec_lo, exec_lo, s0
	s_cbranch_execz .LBB45_74
; %bb.73:
	ds_read_b32 v17, v19 offset:4
	s_waitcnt lgkmcnt(1)
	v_mov_b32_e32 v16, v14
.LBB45_74:
	s_or_b32 exec_lo, exec_lo, s0
	v_add_nc_u32_e32 v19, 1, v20
	v_add_nc_u32_e32 v21, 1, v18
	s_waitcnt lgkmcnt(0)
	v_cmp_lt_i32_e64 s1, v17, v16
	v_cndmask_b32_e32 v22, v19, v20, vcc_lo
	v_cndmask_b32_e32 v23, v18, v21, vcc_lo
                                        ; implicit-def: $vgpr19
	v_cmp_ge_i32_e64 s0, v22, v13
	v_cmp_lt_i32_e64 s2, v23, v12
	s_or_b32 s0, s0, s1
	s_and_b32 s0, s2, s0
	s_xor_b32 s1, s0, -1
	s_and_saveexec_b32 s2, s1
	s_xor_b32 s1, exec_lo, s2
; %bb.75:
	v_lshl_add_u32 v19, v22, 2, v1
	ds_read_b32 v19, v19 offset:4
; %bb.76:
	s_or_saveexec_b32 s1, s1
	v_mov_b32_e32 v21, v17
	s_xor_b32 exec_lo, exec_lo, s1
	s_cbranch_execz .LBB45_78
; %bb.77:
	s_waitcnt lgkmcnt(0)
	v_lshl_add_u32 v19, v23, 2, v1
	ds_read_b32 v21, v19 offset:4
	v_mov_b32_e32 v19, v16
.LBB45_78:
	s_or_b32 exec_lo, exec_lo, s1
	v_add_nc_u32_e32 v24, 1, v22
	v_add_nc_u32_e32 v25, 1, v23
	s_waitcnt lgkmcnt(0)
	v_cmp_lt_i32_e64 s2, v21, v19
                                        ; implicit-def: $vgpr26
	v_cndmask_b32_e64 v24, v24, v22, s0
	v_cndmask_b32_e64 v25, v23, v25, s0
	v_cmp_ge_i32_e64 s1, v24, v13
	v_cmp_lt_i32_e64 s3, v25, v12
	s_or_b32 s1, s1, s2
	s_and_b32 s1, s3, s1
	s_xor_b32 s2, s1, -1
	s_and_saveexec_b32 s3, s2
	s_xor_b32 s2, exec_lo, s3
; %bb.79:
	v_lshl_add_u32 v26, v24, 2, v1
	ds_read_b32 v26, v26 offset:4
; %bb.80:
	s_or_saveexec_b32 s2, s2
	v_mov_b32_e32 v27, v21
	s_xor_b32 exec_lo, exec_lo, s2
	s_cbranch_execz .LBB45_82
; %bb.81:
	s_waitcnt lgkmcnt(0)
	v_lshl_add_u32 v26, v25, 2, v1
	ds_read_b32 v27, v26 offset:4
	v_mov_b32_e32 v26, v19
.LBB45_82:
	s_or_b32 exec_lo, exec_lo, s2
	v_add_nc_u32_e32 v28, 1, v24
	v_add_nc_u32_e32 v29, 1, v25
	s_waitcnt lgkmcnt(0)
	v_cmp_lt_i32_e64 s3, v27, v26
                                        ; implicit-def: $vgpr30
	v_cndmask_b32_e64 v28, v28, v24, s1
	v_cndmask_b32_e64 v29, v25, v29, s1
	v_cmp_ge_i32_e64 s2, v28, v13
	v_cmp_lt_i32_e64 s4, v29, v12
	s_or_b32 s2, s2, s3
	s_and_b32 s2, s4, s2
	s_xor_b32 s3, s2, -1
	s_and_saveexec_b32 s4, s3
	s_xor_b32 s3, exec_lo, s4
; %bb.83:
	v_lshl_add_u32 v30, v28, 2, v1
	ds_read_b32 v30, v30 offset:4
; %bb.84:
	s_or_saveexec_b32 s3, s3
	v_mov_b32_e32 v31, v27
	s_xor_b32 exec_lo, exec_lo, s3
	s_cbranch_execz .LBB45_86
; %bb.85:
	s_waitcnt lgkmcnt(0)
	v_lshl_add_u32 v30, v29, 2, v1
	ds_read_b32 v31, v30 offset:4
	v_mov_b32_e32 v30, v26
.LBB45_86:
	s_or_b32 exec_lo, exec_lo, s3
	v_add_nc_u32_e32 v32, 1, v28
	v_add_nc_u32_e32 v33, 1, v29
	s_waitcnt lgkmcnt(0)
	v_cmp_lt_i32_e64 s4, v31, v30
                                        ; implicit-def: $vgpr34
	v_cndmask_b32_e64 v32, v32, v28, s2
	v_cndmask_b32_e64 v33, v29, v33, s2
	v_cmp_ge_i32_e64 s3, v32, v13
	v_cmp_lt_i32_e64 s5, v33, v12
	s_or_b32 s3, s3, s4
	s_and_b32 s3, s5, s3
	s_xor_b32 s4, s3, -1
	s_and_saveexec_b32 s5, s4
	s_xor_b32 s4, exec_lo, s5
; %bb.87:
	v_lshl_add_u32 v34, v32, 2, v1
	ds_read_b32 v34, v34 offset:4
; %bb.88:
	s_or_saveexec_b32 s4, s4
	v_mov_b32_e32 v35, v31
	s_xor_b32 exec_lo, exec_lo, s4
	s_cbranch_execz .LBB45_90
; %bb.89:
	s_waitcnt lgkmcnt(0)
	v_lshl_add_u32 v34, v33, 2, v1
	ds_read_b32 v35, v34 offset:4
	v_mov_b32_e32 v34, v30
.LBB45_90:
	s_or_b32 exec_lo, exec_lo, s4
	v_add_nc_u32_e32 v36, 1, v32
	v_add_nc_u32_e32 v37, 1, v33
	s_waitcnt lgkmcnt(0)
	v_cmp_lt_i32_e64 s5, v35, v34
                                        ; implicit-def: $vgpr38
	v_cndmask_b32_e64 v36, v36, v32, s3
	v_cndmask_b32_e64 v37, v33, v37, s3
	v_cmp_ge_i32_e64 s4, v36, v13
	v_cmp_lt_i32_e64 s6, v37, v12
	s_or_b32 s4, s4, s5
	s_and_b32 s4, s6, s4
	s_xor_b32 s5, s4, -1
	s_and_saveexec_b32 s6, s5
	s_xor_b32 s5, exec_lo, s6
; %bb.91:
	v_lshl_add_u32 v38, v36, 2, v1
	ds_read_b32 v38, v38 offset:4
; %bb.92:
	s_or_saveexec_b32 s5, s5
	v_mov_b32_e32 v39, v35
	s_xor_b32 exec_lo, exec_lo, s5
	s_cbranch_execz .LBB45_94
; %bb.93:
	s_waitcnt lgkmcnt(0)
	v_lshl_add_u32 v38, v37, 2, v1
	ds_read_b32 v39, v38 offset:4
	v_mov_b32_e32 v38, v34
.LBB45_94:
	s_or_b32 exec_lo, exec_lo, s5
	v_add_nc_u32_e32 v40, 1, v36
	v_add_nc_u32_e32 v42, 1, v37
	s_waitcnt lgkmcnt(0)
	v_cmp_lt_i32_e64 s6, v39, v38
	v_cndmask_b32_e64 v41, v40, v36, s4
	v_cndmask_b32_e64 v42, v37, v42, s4
                                        ; implicit-def: $vgpr40
	v_cmp_ge_i32_e64 s5, v41, v13
	v_cmp_lt_i32_e64 s7, v42, v12
	s_or_b32 s5, s5, s6
	s_and_b32 s5, s7, s5
	s_xor_b32 s6, s5, -1
	s_and_saveexec_b32 s7, s6
	s_xor_b32 s6, exec_lo, s7
; %bb.95:
	v_lshl_add_u32 v40, v41, 2, v1
	ds_read_b32 v40, v40 offset:4
; %bb.96:
	s_or_saveexec_b32 s6, s6
	v_mov_b32_e32 v43, v39
	s_xor_b32 exec_lo, exec_lo, s6
	s_cbranch_execz .LBB45_98
; %bb.97:
	s_waitcnt lgkmcnt(0)
	v_lshl_add_u32 v40, v42, 2, v1
	ds_read_b32 v43, v40 offset:4
	v_mov_b32_e32 v40, v38
.LBB45_98:
	s_or_b32 exec_lo, exec_lo, s6
	v_add_nc_u32_e32 v45, 1, v41
	v_add_nc_u32_e32 v44, 1, v42
	v_cndmask_b32_e64 v38, v38, v39, s5
	v_cndmask_b32_e64 v39, v41, v42, s5
	;; [unrolled: 1-line block ×8, first 2 shown]
	v_cmp_ge_i32_e64 s3, v41, v13
	s_waitcnt lgkmcnt(0)
	v_cmp_lt_i32_e64 s4, v43, v40
	v_cndmask_b32_e64 v26, v26, v27, s2
	v_cndmask_b32_e64 v13, v28, v29, s2
	v_cmp_lt_i32_e64 s2, v42, v12
	v_cndmask_b32_e32 v18, v20, v18, vcc_lo
	s_or_b32 s3, s3, s4
	v_cndmask_b32_e64 v22, v22, v23, s0
	v_cndmask_b32_e64 v12, v24, v25, s1
	s_and_b32 s2, s2, s3
	v_cndmask_b32_e64 v24, v41, v42, s2
	; wave barrier
	ds_write2_b32 v2, v4, v5 offset1:1
	ds_write2_b32 v2, v6, v7 offset0:2 offset1:3
	ds_write2_b32 v2, v8, v9 offset0:4 offset1:5
	;; [unrolled: 1-line block ×3, first 2 shown]
	v_lshl_add_u32 v4, v18, 2, v1
	v_lshl_add_u32 v5, v22, 2, v1
	;; [unrolled: 1-line block ×8, first 2 shown]
	; wave barrier
	ds_read_b32 v4, v4
	ds_read_b32 v5, v5
	;; [unrolled: 1-line block ×8, first 2 shown]
	v_and_b32_e32 v20, 0x80, v3
	v_and_b32_e32 v18, 0x78, v3
	v_cndmask_b32_e64 v19, v19, v21, s1
	v_cndmask_b32_e64 v17, v16, v17, s0
	v_cndmask_b32_e32 v14, v14, v15, vcc_lo
	v_or_b32_e32 v13, 64, v20
	v_add_nc_u32_e32 v12, 0x80, v20
	v_cndmask_b32_e64 v23, v40, v43, s2
	; wave barrier
	v_sub_nc_u32_e32 v21, v13, v20
	v_sub_nc_u32_e32 v22, v12, v13
	ds_write2_b32 v2, v14, v17 offset1:1
	ds_write2_b32 v2, v19, v26 offset0:2 offset1:3
	ds_write2_b32 v2, v30, v34 offset0:4 offset1:5
	v_lshl_add_u32 v14, v20, 2, v1
	s_mov_b32 s1, 0
	s_mov_b32 s0, exec_lo
	v_sub_nc_u32_e32 v15, v18, v22
	v_cmp_ge_i32_e32 vcc_lo, v18, v22
	ds_write2_b32 v2, v38, v23 offset0:6 offset1:7
	; wave barrier
	v_cndmask_b32_e32 v16, 0, v15, vcc_lo
	v_min_i32_e32 v15, v18, v21
	v_cmpx_lt_i32_e64 v16, v15
	s_cbranch_execz .LBB45_102
; %bb.99:
	v_lshlrev_b32_e32 v17, 2, v13
	v_lshlrev_b32_e32 v19, 2, v18
	v_add3_u32 v17, v1, v17, v19
	.p2align	6
.LBB45_100:                             ; =>This Inner Loop Header: Depth=1
	v_sub_nc_u32_e32 v19, v15, v16
	v_lshrrev_b32_e32 v19, 1, v19
	v_add_nc_u32_e32 v19, v19, v16
	v_not_b32_e32 v21, v19
	v_lshl_add_u32 v22, v19, 2, v14
	v_add_nc_u32_e32 v23, 1, v19
	v_lshl_add_u32 v21, v21, 2, v17
	ds_read_b32 v22, v22
	ds_read_b32 v21, v21
	s_waitcnt lgkmcnt(0)
	v_cmp_lt_i32_e32 vcc_lo, v21, v22
	v_cndmask_b32_e32 v15, v15, v19, vcc_lo
	v_cndmask_b32_e32 v16, v23, v16, vcc_lo
	v_cmp_ge_i32_e32 vcc_lo, v16, v15
	s_or_b32 s1, vcc_lo, s1
	s_andn2_b32 exec_lo, exec_lo, s1
	s_cbranch_execnz .LBB45_100
; %bb.101:
	s_or_b32 exec_lo, exec_lo, s1
.LBB45_102:
	s_or_b32 exec_lo, exec_lo, s0
	v_add_nc_u32_e32 v15, v13, v18
	v_lshl_add_u32 v17, v16, 2, v14
	v_add_nc_u32_e32 v19, v16, v20
	v_sub_nc_u32_e32 v18, v15, v16
                                        ; implicit-def: $vgpr16
	v_cmp_le_i32_e32 vcc_lo, v13, v19
	v_lshl_add_u32 v21, v18, 2, v1
	v_cmp_gt_i32_e64 s1, v12, v18
	ds_read_b32 v14, v17
	ds_read_b32 v15, v21
	s_waitcnt lgkmcnt(0)
	v_cmp_lt_i32_e64 s0, v15, v14
	s_or_b32 s0, vcc_lo, s0
	s_and_b32 vcc_lo, s1, s0
	s_xor_b32 s0, vcc_lo, -1
	s_and_saveexec_b32 s1, s0
	s_xor_b32 s0, exec_lo, s1
; %bb.103:
	ds_read_b32 v16, v17 offset:4
                                        ; implicit-def: $vgpr21
; %bb.104:
	s_or_saveexec_b32 s0, s0
	v_mov_b32_e32 v17, v15
	s_xor_b32 exec_lo, exec_lo, s0
	s_cbranch_execz .LBB45_106
; %bb.105:
	ds_read_b32 v17, v21 offset:4
	s_waitcnt lgkmcnt(1)
	v_mov_b32_e32 v16, v14
.LBB45_106:
	s_or_b32 exec_lo, exec_lo, s0
	v_add_nc_u32_e32 v20, 1, v19
	v_add_nc_u32_e32 v21, 1, v18
	s_waitcnt lgkmcnt(0)
	v_cmp_lt_i32_e64 s1, v17, v16
	v_cndmask_b32_e32 v22, v20, v19, vcc_lo
	v_cndmask_b32_e32 v24, v18, v21, vcc_lo
                                        ; implicit-def: $vgpr20
	v_cmp_ge_i32_e64 s0, v22, v13
	v_cmp_lt_i32_e64 s2, v24, v12
	s_or_b32 s0, s0, s1
	s_and_b32 s0, s2, s0
	s_xor_b32 s1, s0, -1
	s_and_saveexec_b32 s2, s1
	s_xor_b32 s1, exec_lo, s2
; %bb.107:
	v_lshl_add_u32 v20, v22, 2, v1
	ds_read_b32 v20, v20 offset:4
; %bb.108:
	s_or_saveexec_b32 s1, s1
	v_mov_b32_e32 v21, v17
	s_xor_b32 exec_lo, exec_lo, s1
	s_cbranch_execz .LBB45_110
; %bb.109:
	s_waitcnt lgkmcnt(0)
	v_lshl_add_u32 v20, v24, 2, v1
	ds_read_b32 v21, v20 offset:4
	v_mov_b32_e32 v20, v16
.LBB45_110:
	s_or_b32 exec_lo, exec_lo, s1
	v_add_nc_u32_e32 v23, 1, v22
	v_add_nc_u32_e32 v25, 1, v24
	s_waitcnt lgkmcnt(0)
	v_cmp_lt_i32_e64 s2, v21, v20
	v_cndmask_b32_e64 v27, v23, v22, s0
	v_cndmask_b32_e64 v28, v24, v25, s0
                                        ; implicit-def: $vgpr23
	v_cmp_ge_i32_e64 s1, v27, v13
	v_cmp_lt_i32_e64 s3, v28, v12
	s_or_b32 s1, s1, s2
	s_and_b32 s1, s3, s1
	s_xor_b32 s2, s1, -1
	s_and_saveexec_b32 s3, s2
	s_xor_b32 s2, exec_lo, s3
; %bb.111:
	v_lshl_add_u32 v23, v27, 2, v1
	ds_read_b32 v23, v23 offset:4
; %bb.112:
	s_or_saveexec_b32 s2, s2
	v_mov_b32_e32 v25, v21
	s_xor_b32 exec_lo, exec_lo, s2
	s_cbranch_execz .LBB45_114
; %bb.113:
	s_waitcnt lgkmcnt(0)
	v_lshl_add_u32 v23, v28, 2, v1
	ds_read_b32 v25, v23 offset:4
	v_mov_b32_e32 v23, v20
.LBB45_114:
	s_or_b32 exec_lo, exec_lo, s2
	v_add_nc_u32_e32 v26, 1, v27
	v_add_nc_u32_e32 v29, 1, v28
	s_waitcnt lgkmcnt(0)
	v_cmp_lt_i32_e64 s3, v25, v23
	v_cndmask_b32_e64 v31, v26, v27, s1
	v_cndmask_b32_e64 v32, v28, v29, s1
                                        ; implicit-def: $vgpr26
	v_cmp_ge_i32_e64 s2, v31, v13
	v_cmp_lt_i32_e64 s4, v32, v12
	s_or_b32 s2, s2, s3
	s_and_b32 s2, s4, s2
	s_xor_b32 s3, s2, -1
	s_and_saveexec_b32 s4, s3
	s_xor_b32 s3, exec_lo, s4
; %bb.115:
	v_lshl_add_u32 v26, v31, 2, v1
	ds_read_b32 v26, v26 offset:4
; %bb.116:
	s_or_saveexec_b32 s3, s3
	v_mov_b32_e32 v29, v25
	s_xor_b32 exec_lo, exec_lo, s3
	s_cbranch_execz .LBB45_118
; %bb.117:
	s_waitcnt lgkmcnt(0)
	v_lshl_add_u32 v26, v32, 2, v1
	ds_read_b32 v29, v26 offset:4
	v_mov_b32_e32 v26, v23
.LBB45_118:
	s_or_b32 exec_lo, exec_lo, s3
	v_add_nc_u32_e32 v30, 1, v31
	v_add_nc_u32_e32 v33, 1, v32
	s_waitcnt lgkmcnt(0)
	v_cmp_lt_i32_e64 s4, v29, v26
	v_cndmask_b32_e64 v34, v30, v31, s2
	v_cndmask_b32_e64 v35, v32, v33, s2
                                        ; implicit-def: $vgpr30
	v_cmp_ge_i32_e64 s3, v34, v13
	v_cmp_lt_i32_e64 s5, v35, v12
	s_or_b32 s3, s3, s4
	s_and_b32 s3, s5, s3
	s_xor_b32 s4, s3, -1
	s_and_saveexec_b32 s5, s4
	s_xor_b32 s4, exec_lo, s5
; %bb.119:
	v_lshl_add_u32 v30, v34, 2, v1
	ds_read_b32 v30, v30 offset:4
; %bb.120:
	s_or_saveexec_b32 s4, s4
	v_mov_b32_e32 v33, v29
	s_xor_b32 exec_lo, exec_lo, s4
	s_cbranch_execz .LBB45_122
; %bb.121:
	s_waitcnt lgkmcnt(0)
	v_lshl_add_u32 v30, v35, 2, v1
	ds_read_b32 v33, v30 offset:4
	v_mov_b32_e32 v30, v26
.LBB45_122:
	s_or_b32 exec_lo, exec_lo, s4
	v_add_nc_u32_e32 v36, 1, v34
	v_add_nc_u32_e32 v37, 1, v35
	s_waitcnt lgkmcnt(0)
	v_cmp_lt_i32_e64 s5, v33, v30
                                        ; implicit-def: $vgpr38
	v_cndmask_b32_e64 v36, v36, v34, s3
	v_cndmask_b32_e64 v37, v35, v37, s3
	v_cmp_ge_i32_e64 s4, v36, v13
	v_cmp_lt_i32_e64 s6, v37, v12
	s_or_b32 s4, s4, s5
	s_and_b32 s4, s6, s4
	s_xor_b32 s5, s4, -1
	s_and_saveexec_b32 s6, s5
	s_xor_b32 s5, exec_lo, s6
; %bb.123:
	v_lshl_add_u32 v38, v36, 2, v1
	ds_read_b32 v38, v38 offset:4
; %bb.124:
	s_or_saveexec_b32 s5, s5
	v_mov_b32_e32 v40, v33
	s_xor_b32 exec_lo, exec_lo, s5
	s_cbranch_execz .LBB45_126
; %bb.125:
	s_waitcnt lgkmcnt(0)
	v_lshl_add_u32 v38, v37, 2, v1
	ds_read_b32 v40, v38 offset:4
	v_mov_b32_e32 v38, v30
.LBB45_126:
	s_or_b32 exec_lo, exec_lo, s5
	v_add_nc_u32_e32 v39, 1, v36
	v_add_nc_u32_e32 v41, 1, v37
	s_waitcnt lgkmcnt(0)
	v_cmp_lt_i32_e64 s6, v40, v38
	v_cndmask_b32_e64 v43, v39, v36, s4
	v_cndmask_b32_e64 v41, v37, v41, s4
                                        ; implicit-def: $vgpr39
	v_cmp_ge_i32_e64 s5, v43, v13
	v_cmp_lt_i32_e64 s7, v41, v12
	s_or_b32 s5, s5, s6
	s_and_b32 s5, s7, s5
	s_xor_b32 s6, s5, -1
	s_and_saveexec_b32 s7, s6
	s_xor_b32 s6, exec_lo, s7
; %bb.127:
	v_lshl_add_u32 v39, v43, 2, v1
	ds_read_b32 v39, v39 offset:4
; %bb.128:
	s_or_saveexec_b32 s6, s6
	v_mov_b32_e32 v42, v40
	s_xor_b32 exec_lo, exec_lo, s6
	s_cbranch_execz .LBB45_130
; %bb.129:
	s_waitcnt lgkmcnt(0)
	v_lshl_add_u32 v39, v41, 2, v1
	ds_read_b32 v42, v39 offset:4
	v_mov_b32_e32 v39, v38
.LBB45_130:
	s_or_b32 exec_lo, exec_lo, s6
	v_add_nc_u32_e32 v44, 1, v43
	v_cndmask_b32_e64 v38, v38, v40, s5
	v_add_nc_u32_e32 v40, 1, v41
	v_cndmask_b32_e64 v36, v36, v37, s4
	v_cndmask_b32_e64 v34, v34, v35, s3
	v_cndmask_b32_e64 v37, v44, v43, s5
	v_cndmask_b32_e64 v45, v43, v41, s5
	v_cndmask_b32_e64 v35, v41, v40, s5
	s_waitcnt lgkmcnt(0)
	v_cmp_lt_i32_e64 s5, v42, v39
	v_cndmask_b32_e32 v18, v19, v18, vcc_lo
	v_cmp_ge_i32_e64 s6, v37, v13
	v_cndmask_b32_e64 v13, v27, v28, s1
	v_cmp_lt_i32_e64 s7, v35, v12
	v_cndmask_b32_e64 v12, v22, v24, s0
	v_cndmask_b32_e64 v31, v31, v32, s2
	s_or_b32 s5, s6, s5
	s_and_b32 s5, s7, s5
	; wave barrier
	v_cndmask_b32_e64 v22, v37, v35, s5
	ds_write2_b32 v2, v4, v5 offset1:1
	ds_write2_b32 v2, v6, v7 offset0:2 offset1:3
	ds_write2_b32 v2, v8, v9 offset0:4 offset1:5
	;; [unrolled: 1-line block ×3, first 2 shown]
	v_lshl_add_u32 v4, v18, 2, v1
	v_lshl_add_u32 v5, v12, 2, v1
	;; [unrolled: 1-line block ×8, first 2 shown]
	; wave barrier
	ds_read_b32 v4, v4
	ds_read_b32 v5, v5
	;; [unrolled: 1-line block ×8, first 2 shown]
	v_and_b32_e32 v3, 0xf8, v3
	v_cndmask_b32_e32 v14, v14, v15, vcc_lo
	v_cndmask_b32_e64 v16, v16, v17, s0
	v_cndmask_b32_e64 v23, v23, v25, s2
	;; [unrolled: 1-line block ×3, first 2 shown]
	v_add_nc_u32_e32 v12, 0xffffff80, v3
	v_cmp_lt_i32_e32 vcc_lo, 0x7f, v3
	v_min_i32_e32 v13, 0x80, v3
	v_cndmask_b32_e64 v18, v30, v33, s4
	v_cndmask_b32_e64 v22, v26, v29, s3
	;; [unrolled: 1-line block ×3, first 2 shown]
	v_cndmask_b32_e32 v12, 0, v12, vcc_lo
	s_mov_b32 s0, exec_lo
	; wave barrier
	ds_write2_b32 v2, v14, v16 offset1:1
	ds_write2_b32 v2, v20, v23 offset0:2 offset1:3
	ds_write2_b32 v2, v22, v18 offset0:4 offset1:5
	ds_write2_b32 v2, v38, v19 offset0:6 offset1:7
	; wave barrier
	v_cmpx_lt_i32_e64 v12, v13
	s_cbranch_execz .LBB45_134
; %bb.131:
	v_lshlrev_b32_e32 v14, 2, v3
	s_mov_b32 s1, 0
	v_add3_u32 v14, 0x200, v1, v14
	.p2align	6
.LBB45_132:                             ; =>This Inner Loop Header: Depth=1
	v_sub_nc_u32_e32 v15, v13, v12
	v_lshrrev_b32_e32 v15, 1, v15
	v_add_nc_u32_e32 v15, v15, v12
	v_not_b32_e32 v16, v15
	v_lshl_add_u32 v17, v15, 2, v1
	v_add_nc_u32_e32 v18, 1, v15
	v_lshl_add_u32 v16, v16, 2, v14
	ds_read_b32 v17, v17
	ds_read_b32 v16, v16
	s_waitcnt lgkmcnt(0)
	v_cmp_lt_i32_e32 vcc_lo, v16, v17
	v_cndmask_b32_e32 v13, v13, v15, vcc_lo
	v_cndmask_b32_e32 v12, v18, v12, vcc_lo
	v_cmp_ge_i32_e32 vcc_lo, v12, v13
	s_or_b32 s1, vcc_lo, s1
	s_andn2_b32 exec_lo, exec_lo, s1
	s_cbranch_execnz .LBB45_132
; %bb.133:
	s_or_b32 exec_lo, exec_lo, s1
.LBB45_134:
	s_or_b32 exec_lo, exec_lo, s0
	v_add_nc_u32_e32 v13, 0x80, v3
	v_lshl_add_u32 v16, v12, 2, v1
	v_cmp_le_i32_e32 vcc_lo, 0x80, v12
                                        ; implicit-def: $vgpr15
	v_sub_nc_u32_e32 v17, v13, v12
	v_lshl_add_u32 v18, v17, 2, v1
	v_cmp_gt_i32_e64 s1, 0x100, v17
	ds_read_b32 v13, v16
	ds_read_b32 v14, v18
	s_waitcnt lgkmcnt(0)
	v_cmp_lt_i32_e64 s0, v14, v13
	s_or_b32 s0, vcc_lo, s0
	s_and_b32 vcc_lo, s1, s0
	s_xor_b32 s0, vcc_lo, -1
	s_and_saveexec_b32 s1, s0
	s_xor_b32 s0, exec_lo, s1
; %bb.135:
	ds_read_b32 v15, v16 offset:4
                                        ; implicit-def: $vgpr18
; %bb.136:
	s_or_saveexec_b32 s0, s0
	v_mov_b32_e32 v16, v14
	s_xor_b32 exec_lo, exec_lo, s0
	s_cbranch_execz .LBB45_138
; %bb.137:
	ds_read_b32 v16, v18 offset:4
	s_waitcnt lgkmcnt(1)
	v_mov_b32_e32 v15, v13
.LBB45_138:
	s_or_b32 exec_lo, exec_lo, s0
	v_add_nc_u32_e32 v18, 1, v12
	v_add_nc_u32_e32 v19, 1, v17
	s_waitcnt lgkmcnt(0)
	v_cmp_lt_i32_e64 s1, v16, v15
	v_cndmask_b32_e32 v20, v18, v12, vcc_lo
	v_cndmask_b32_e32 v21, v17, v19, vcc_lo
                                        ; implicit-def: $vgpr18
	v_cmp_le_i32_e64 s0, 0x80, v20
	v_cmp_gt_i32_e64 s2, 0x100, v21
	s_or_b32 s0, s0, s1
	s_and_b32 s0, s2, s0
	s_xor_b32 s1, s0, -1
	s_and_saveexec_b32 s2, s1
	s_xor_b32 s1, exec_lo, s2
; %bb.139:
	v_lshl_add_u32 v18, v20, 2, v1
	ds_read_b32 v18, v18 offset:4
; %bb.140:
	s_or_saveexec_b32 s1, s1
	v_mov_b32_e32 v19, v16
	s_xor_b32 exec_lo, exec_lo, s1
	s_cbranch_execz .LBB45_142
; %bb.141:
	s_waitcnt lgkmcnt(0)
	v_lshl_add_u32 v18, v21, 2, v1
	ds_read_b32 v19, v18 offset:4
	v_mov_b32_e32 v18, v15
.LBB45_142:
	s_or_b32 exec_lo, exec_lo, s1
	v_add_nc_u32_e32 v22, 1, v20
	v_add_nc_u32_e32 v23, 1, v21
	s_waitcnt lgkmcnt(0)
	v_cmp_lt_i32_e64 s2, v19, v18
	v_cndmask_b32_e64 v24, v22, v20, s0
	v_cndmask_b32_e64 v25, v21, v23, s0
                                        ; implicit-def: $vgpr22
	v_cmp_le_i32_e64 s1, 0x80, v24
	v_cmp_gt_i32_e64 s3, 0x100, v25
	s_or_b32 s1, s1, s2
	s_and_b32 s1, s3, s1
	s_xor_b32 s2, s1, -1
	s_and_saveexec_b32 s3, s2
	s_xor_b32 s2, exec_lo, s3
; %bb.143:
	v_lshl_add_u32 v22, v24, 2, v1
	ds_read_b32 v22, v22 offset:4
; %bb.144:
	s_or_saveexec_b32 s2, s2
	v_mov_b32_e32 v23, v19
	s_xor_b32 exec_lo, exec_lo, s2
	s_cbranch_execz .LBB45_146
; %bb.145:
	s_waitcnt lgkmcnt(0)
	v_lshl_add_u32 v22, v25, 2, v1
	ds_read_b32 v23, v22 offset:4
	v_mov_b32_e32 v22, v18
.LBB45_146:
	s_or_b32 exec_lo, exec_lo, s2
	v_add_nc_u32_e32 v26, 1, v24
	v_add_nc_u32_e32 v27, 1, v25
	s_waitcnt lgkmcnt(0)
	v_cmp_lt_i32_e64 s3, v23, v22
	v_cndmask_b32_e64 v29, v26, v24, s1
	v_cndmask_b32_e64 v30, v25, v27, s1
                                        ; implicit-def: $vgpr26
	v_cmp_le_i32_e64 s2, 0x80, v29
	v_cmp_gt_i32_e64 s4, 0x100, v30
	s_or_b32 s2, s2, s3
	s_and_b32 s2, s4, s2
	s_xor_b32 s3, s2, -1
	s_and_saveexec_b32 s4, s3
	s_xor_b32 s3, exec_lo, s4
; %bb.147:
	v_lshl_add_u32 v26, v29, 2, v1
	ds_read_b32 v26, v26 offset:4
; %bb.148:
	s_or_saveexec_b32 s3, s3
	v_mov_b32_e32 v27, v23
	s_xor_b32 exec_lo, exec_lo, s3
	s_cbranch_execz .LBB45_150
; %bb.149:
	s_waitcnt lgkmcnt(0)
	v_lshl_add_u32 v26, v30, 2, v1
	ds_read_b32 v27, v26 offset:4
	v_mov_b32_e32 v26, v22
.LBB45_150:
	s_or_b32 exec_lo, exec_lo, s3
	v_add_nc_u32_e32 v28, 1, v29
	v_add_nc_u32_e32 v31, 1, v30
	s_waitcnt lgkmcnt(0)
	v_cmp_lt_i32_e64 s4, v27, v26
	v_cndmask_b32_e64 v33, v28, v29, s2
	v_cndmask_b32_e64 v34, v30, v31, s2
                                        ; implicit-def: $vgpr28
	v_cmp_le_i32_e64 s3, 0x80, v33
	v_cmp_gt_i32_e64 s5, 0x100, v34
	s_or_b32 s3, s3, s4
	s_and_b32 s3, s5, s3
	s_xor_b32 s4, s3, -1
	s_and_saveexec_b32 s5, s4
	s_xor_b32 s4, exec_lo, s5
; %bb.151:
	v_lshl_add_u32 v28, v33, 2, v1
	ds_read_b32 v28, v28 offset:4
; %bb.152:
	s_or_saveexec_b32 s4, s4
	v_mov_b32_e32 v31, v27
	s_xor_b32 exec_lo, exec_lo, s4
	s_cbranch_execz .LBB45_154
; %bb.153:
	s_waitcnt lgkmcnt(0)
	v_lshl_add_u32 v28, v34, 2, v1
	ds_read_b32 v31, v28 offset:4
	v_mov_b32_e32 v28, v26
.LBB45_154:
	s_or_b32 exec_lo, exec_lo, s4
	v_add_nc_u32_e32 v32, 1, v33
	v_add_nc_u32_e32 v35, 1, v34
	s_waitcnt lgkmcnt(0)
	v_cmp_lt_i32_e64 s5, v31, v28
	v_cndmask_b32_e64 v36, v32, v33, s3
	v_cndmask_b32_e64 v37, v34, v35, s3
                                        ; implicit-def: $vgpr32
	v_cmp_le_i32_e64 s4, 0x80, v36
	v_cmp_gt_i32_e64 s6, 0x100, v37
	s_or_b32 s4, s4, s5
	s_and_b32 s4, s6, s4
	s_xor_b32 s5, s4, -1
	s_and_saveexec_b32 s6, s5
	s_xor_b32 s5, exec_lo, s6
; %bb.155:
	v_lshl_add_u32 v32, v36, 2, v1
	ds_read_b32 v32, v32 offset:4
; %bb.156:
	s_or_saveexec_b32 s5, s5
	v_mov_b32_e32 v35, v31
	s_xor_b32 exec_lo, exec_lo, s5
	s_cbranch_execz .LBB45_158
; %bb.157:
	s_waitcnt lgkmcnt(0)
	v_lshl_add_u32 v32, v37, 2, v1
	ds_read_b32 v35, v32 offset:4
	v_mov_b32_e32 v32, v28
.LBB45_158:
	s_or_b32 exec_lo, exec_lo, s5
	v_add_nc_u32_e32 v38, 1, v36
	v_add_nc_u32_e32 v39, 1, v37
	s_waitcnt lgkmcnt(0)
	v_cmp_lt_i32_e64 s6, v35, v32
	v_cndmask_b32_e64 v40, v38, v36, s4
	v_cndmask_b32_e64 v39, v37, v39, s4
                                        ; implicit-def: $vgpr38
	v_cmp_le_i32_e64 s5, 0x80, v40
	v_cmp_gt_i32_e64 s7, 0x100, v39
	s_or_b32 s5, s5, s6
	s_and_b32 s5, s7, s5
	s_xor_b32 s6, s5, -1
	s_and_saveexec_b32 s7, s6
	s_xor_b32 s6, exec_lo, s7
; %bb.159:
	v_lshl_add_u32 v38, v40, 2, v1
	ds_read_b32 v38, v38 offset:4
; %bb.160:
	s_or_saveexec_b32 s6, s6
	v_mov_b32_e32 v41, v35
	s_xor_b32 exec_lo, exec_lo, s6
	s_cbranch_execz .LBB45_162
; %bb.161:
	s_waitcnt lgkmcnt(0)
	v_lshl_add_u32 v38, v39, 2, v1
	ds_read_b32 v41, v38 offset:4
	v_mov_b32_e32 v38, v32
.LBB45_162:
	s_or_b32 exec_lo, exec_lo, s6
	v_add_nc_u32_e32 v42, 1, v40
	v_add_nc_u32_e32 v43, 1, v39
	v_cndmask_b32_e64 v33, v33, v34, s3
	v_cndmask_b32_e64 v29, v29, v30, s2
	s_waitcnt lgkmcnt(0)
	v_cmp_lt_i32_e64 s6, v41, v38
	v_cndmask_b32_e64 v34, v42, v40, s5
	v_cndmask_b32_e64 v30, v39, v43, s5
	v_cndmask_b32_e32 v12, v12, v17, vcc_lo
	v_cndmask_b32_e64 v20, v20, v21, s0
	v_cndmask_b32_e64 v24, v24, v25, s1
	v_cmp_le_i32_e64 s7, 0x80, v34
	v_cmp_gt_i32_e64 s8, 0x100, v30
	v_cndmask_b32_e64 v44, v40, v39, s5
	v_cndmask_b32_e64 v36, v36, v37, s4
	s_or_b32 s6, s7, s6
	; wave barrier
	s_and_b32 s6, s8, s6
	ds_write2_b32 v2, v4, v5 offset1:1
	ds_write2_b32 v2, v6, v7 offset0:2 offset1:3
	ds_write2_b32 v2, v8, v9 offset0:4 offset1:5
	;; [unrolled: 1-line block ×3, first 2 shown]
	v_cndmask_b32_e64 v21, v34, v30, s6
	v_lshl_add_u32 v4, v12, 2, v1
	v_lshl_add_u32 v5, v20, 2, v1
	;; [unrolled: 1-line block ×8, first 2 shown]
	; wave barrier
	ds_read_b32 v4, v4
	ds_read_b32 v5, v5
	;; [unrolled: 1-line block ×8, first 2 shown]
	v_or_b32_e32 v12, 0xffffff00, v3
	v_cndmask_b32_e32 v13, v13, v14, vcc_lo
	v_cmp_lt_i32_e32 vcc_lo, 0xff, v3
	v_cndmask_b32_e64 v15, v15, v16, s0
	v_cndmask_b32_e64 v22, v22, v23, s2
	;; [unrolled: 1-line block ×4, first 2 shown]
	v_cndmask_b32_e32 v12, 0, v12, vcc_lo
	v_cndmask_b32_e64 v24, v26, v27, s3
	v_cndmask_b32_e64 v17, v38, v41, s6
	;; [unrolled: 1-line block ×3, first 2 shown]
	s_mov_b32 s0, exec_lo
	; wave barrier
	ds_write2_b32 v2, v13, v15 offset1:1
	ds_write2_b32 v2, v18, v22 offset0:2 offset1:3
	ds_write2_b32 v2, v24, v21 offset0:4 offset1:5
	;; [unrolled: 1-line block ×3, first 2 shown]
	; wave barrier
	v_cmpx_lt_i32_e64 v12, v3
	s_cbranch_execz .LBB45_166
; %bb.163:
	v_lshlrev_b32_e32 v13, 2, v3
	v_mov_b32_e32 v14, v3
	s_mov_b32 s1, 0
	v_add3_u32 v13, 0x400, v1, v13
	.p2align	6
.LBB45_164:                             ; =>This Inner Loop Header: Depth=1
	v_sub_nc_u32_e32 v15, v14, v12
	v_lshrrev_b32_e32 v15, 1, v15
	v_add_nc_u32_e32 v15, v15, v12
	v_not_b32_e32 v16, v15
	v_lshl_add_u32 v17, v15, 2, v1
	v_add_nc_u32_e32 v18, 1, v15
	v_lshl_add_u32 v16, v16, 2, v13
	ds_read_b32 v17, v17
	ds_read_b32 v16, v16
	s_waitcnt lgkmcnt(0)
	v_cmp_lt_i32_e32 vcc_lo, v16, v17
	v_cndmask_b32_e32 v14, v14, v15, vcc_lo
	v_cndmask_b32_e32 v12, v18, v12, vcc_lo
	v_cmp_ge_i32_e32 vcc_lo, v12, v14
	s_or_b32 s1, vcc_lo, s1
	s_andn2_b32 exec_lo, exec_lo, s1
	s_cbranch_execnz .LBB45_164
; %bb.165:
	s_or_b32 exec_lo, exec_lo, s1
.LBB45_166:
	s_or_b32 exec_lo, exec_lo, s0
	v_add_nc_u32_e32 v3, 0x100, v3
	v_lshl_add_u32 v15, v12, 2, v1
	v_cmp_le_i32_e32 vcc_lo, 0x100, v12
                                        ; implicit-def: $vgpr14
	v_sub_nc_u32_e32 v16, v3, v12
	v_lshl_add_u32 v17, v16, 2, v1
	v_cmp_gt_i32_e64 s1, 0x200, v16
	ds_read_b32 v3, v15
	ds_read_b32 v13, v17
	s_waitcnt lgkmcnt(0)
	v_cmp_lt_i32_e64 s0, v13, v3
	s_or_b32 s0, vcc_lo, s0
	s_and_b32 vcc_lo, s1, s0
	s_xor_b32 s0, vcc_lo, -1
	s_and_saveexec_b32 s1, s0
	s_xor_b32 s0, exec_lo, s1
; %bb.167:
	ds_read_b32 v14, v15 offset:4
                                        ; implicit-def: $vgpr17
; %bb.168:
	s_or_saveexec_b32 s0, s0
	v_mov_b32_e32 v15, v13
	s_xor_b32 exec_lo, exec_lo, s0
	s_cbranch_execz .LBB45_170
; %bb.169:
	ds_read_b32 v15, v17 offset:4
	s_waitcnt lgkmcnt(1)
	v_mov_b32_e32 v14, v3
.LBB45_170:
	s_or_b32 exec_lo, exec_lo, s0
	v_add_nc_u32_e32 v17, 1, v12
	v_add_nc_u32_e32 v18, 1, v16
	s_waitcnt lgkmcnt(0)
	v_cmp_lt_i32_e64 s1, v15, v14
	v_cndmask_b32_e32 v19, v17, v12, vcc_lo
	v_cndmask_b32_e32 v20, v16, v18, vcc_lo
                                        ; implicit-def: $vgpr17
	v_cmp_le_i32_e64 s0, 0x100, v19
	v_cmp_gt_i32_e64 s2, 0x200, v20
	s_or_b32 s0, s0, s1
	s_and_b32 s0, s2, s0
	s_xor_b32 s1, s0, -1
	s_and_saveexec_b32 s2, s1
	s_xor_b32 s1, exec_lo, s2
; %bb.171:
	v_lshl_add_u32 v17, v19, 2, v1
	ds_read_b32 v17, v17 offset:4
; %bb.172:
	s_or_saveexec_b32 s1, s1
	v_mov_b32_e32 v18, v15
	s_xor_b32 exec_lo, exec_lo, s1
	s_cbranch_execz .LBB45_174
; %bb.173:
	s_waitcnt lgkmcnt(0)
	v_lshl_add_u32 v17, v20, 2, v1
	ds_read_b32 v18, v17 offset:4
	v_mov_b32_e32 v17, v14
.LBB45_174:
	s_or_b32 exec_lo, exec_lo, s1
	v_add_nc_u32_e32 v21, 1, v19
	v_add_nc_u32_e32 v22, 1, v20
	s_waitcnt lgkmcnt(0)
	v_cmp_lt_i32_e64 s2, v18, v17
	v_cndmask_b32_e64 v23, v21, v19, s0
	v_cndmask_b32_e64 v24, v20, v22, s0
                                        ; implicit-def: $vgpr21
	v_cmp_le_i32_e64 s1, 0x100, v23
	v_cmp_gt_i32_e64 s3, 0x200, v24
	s_or_b32 s1, s1, s2
	s_and_b32 s1, s3, s1
	s_xor_b32 s2, s1, -1
	s_and_saveexec_b32 s3, s2
	s_xor_b32 s2, exec_lo, s3
; %bb.175:
	v_lshl_add_u32 v21, v23, 2, v1
	ds_read_b32 v21, v21 offset:4
; %bb.176:
	s_or_saveexec_b32 s2, s2
	v_mov_b32_e32 v22, v18
	s_xor_b32 exec_lo, exec_lo, s2
	s_cbranch_execz .LBB45_178
; %bb.177:
	s_waitcnt lgkmcnt(0)
	v_lshl_add_u32 v21, v24, 2, v1
	ds_read_b32 v22, v21 offset:4
	v_mov_b32_e32 v21, v17
.LBB45_178:
	s_or_b32 exec_lo, exec_lo, s2
	v_add_nc_u32_e32 v25, 1, v23
	v_add_nc_u32_e32 v26, 1, v24
	s_waitcnt lgkmcnt(0)
	v_cmp_lt_i32_e64 s3, v22, v21
	v_cndmask_b32_e64 v27, v25, v23, s1
	v_cndmask_b32_e64 v28, v24, v26, s1
                                        ; implicit-def: $vgpr25
	v_cmp_le_i32_e64 s2, 0x100, v27
	v_cmp_gt_i32_e64 s4, 0x200, v28
	s_or_b32 s2, s2, s3
	s_and_b32 s2, s4, s2
	s_xor_b32 s3, s2, -1
	s_and_saveexec_b32 s4, s3
	s_xor_b32 s3, exec_lo, s4
; %bb.179:
	v_lshl_add_u32 v25, v27, 2, v1
	ds_read_b32 v25, v25 offset:4
; %bb.180:
	s_or_saveexec_b32 s3, s3
	v_mov_b32_e32 v26, v22
	s_xor_b32 exec_lo, exec_lo, s3
	s_cbranch_execz .LBB45_182
; %bb.181:
	s_waitcnt lgkmcnt(0)
	v_lshl_add_u32 v25, v28, 2, v1
	ds_read_b32 v26, v25 offset:4
	v_mov_b32_e32 v25, v21
.LBB45_182:
	s_or_b32 exec_lo, exec_lo, s3
	v_add_nc_u32_e32 v29, 1, v27
	v_add_nc_u32_e32 v30, 1, v28
	s_waitcnt lgkmcnt(0)
	v_cmp_lt_i32_e64 s4, v26, v25
	v_cndmask_b32_e64 v31, v29, v27, s2
	v_cndmask_b32_e64 v32, v28, v30, s2
                                        ; implicit-def: $vgpr29
	v_cmp_le_i32_e64 s3, 0x100, v31
	v_cmp_gt_i32_e64 s5, 0x200, v32
	s_or_b32 s3, s3, s4
	s_and_b32 s3, s5, s3
	s_xor_b32 s4, s3, -1
	s_and_saveexec_b32 s5, s4
	s_xor_b32 s4, exec_lo, s5
; %bb.183:
	v_lshl_add_u32 v29, v31, 2, v1
	ds_read_b32 v29, v29 offset:4
; %bb.184:
	s_or_saveexec_b32 s4, s4
	v_mov_b32_e32 v30, v26
	s_xor_b32 exec_lo, exec_lo, s4
	s_cbranch_execz .LBB45_186
; %bb.185:
	s_waitcnt lgkmcnt(0)
	v_lshl_add_u32 v29, v32, 2, v1
	ds_read_b32 v30, v29 offset:4
	v_mov_b32_e32 v29, v25
.LBB45_186:
	s_or_b32 exec_lo, exec_lo, s4
	v_add_nc_u32_e32 v33, 1, v31
	v_add_nc_u32_e32 v34, 1, v32
	s_waitcnt lgkmcnt(0)
	v_cmp_lt_i32_e64 s5, v30, v29
                                        ; implicit-def: $vgpr38
	v_cndmask_b32_e64 v33, v33, v31, s3
	v_cndmask_b32_e64 v34, v32, v34, s3
	v_cmp_le_i32_e64 s4, 0x100, v33
	v_cmp_gt_i32_e64 s6, 0x200, v34
	s_or_b32 s4, s4, s5
	s_and_b32 s4, s6, s4
	s_xor_b32 s5, s4, -1
	s_and_saveexec_b32 s6, s5
	s_xor_b32 s5, exec_lo, s6
; %bb.187:
	v_lshl_add_u32 v35, v33, 2, v1
	ds_read_b32 v38, v35 offset:4
; %bb.188:
	s_or_saveexec_b32 s5, s5
	v_mov_b32_e32 v36, v30
	s_xor_b32 exec_lo, exec_lo, s5
	s_cbranch_execz .LBB45_190
; %bb.189:
	v_lshl_add_u32 v35, v34, 2, v1
	s_waitcnt lgkmcnt(0)
	v_mov_b32_e32 v38, v29
	ds_read_b32 v36, v35 offset:4
.LBB45_190:
	s_or_b32 exec_lo, exec_lo, s5
	v_add_nc_u32_e32 v35, 1, v33
	v_add_nc_u32_e32 v37, 1, v34
	s_waitcnt lgkmcnt(0)
	v_cmp_ge_i32_e64 s6, v36, v38
                                        ; implicit-def: $vgpr41
                                        ; implicit-def: $vgpr40
	v_cndmask_b32_e64 v42, v35, v33, s4
	v_cndmask_b32_e64 v37, v34, v37, s4
	v_cmp_gt_i32_e64 s5, 0x100, v42
	v_cmp_le_i32_e64 s7, 0x200, v37
	s_and_b32 s5, s5, s6
	s_or_b32 s5, s7, s5
	s_and_saveexec_b32 s6, s5
	s_xor_b32 s5, exec_lo, s6
; %bb.191:
	v_lshl_add_u32 v35, v42, 2, v1
	v_add_nc_u32_e32 v40, 1, v42
	ds_read_b32 v41, v35 offset:4
; %bb.192:
	s_or_saveexec_b32 s5, s5
	v_mov_b32_e32 v35, v38
	v_mov_b32_e32 v39, v42
	s_xor_b32 exec_lo, exec_lo, s5
	s_cbranch_execz .LBB45_194
; %bb.193:
	v_lshl_add_u32 v35, v37, 2, v1
	s_waitcnt lgkmcnt(0)
	v_add_nc_u32_e32 v41, 1, v37
	v_mov_b32_e32 v39, v37
	v_mov_b32_e32 v40, v42
	ds_read_b32 v43, v35 offset:4
	v_mov_b32_e32 v35, v36
	v_mov_b32_e32 v37, v41
	;; [unrolled: 1-line block ×3, first 2 shown]
	s_waitcnt lgkmcnt(0)
	v_mov_b32_e32 v36, v43
.LBB45_194:
	s_or_b32 exec_lo, exec_lo, s5
	v_cmp_le_i32_e64 s5, 0x100, v40
	s_waitcnt lgkmcnt(0)
	v_cmp_lt_i32_e64 s6, v36, v41
	v_cmp_gt_i32_e64 s7, 0x200, v37
	v_cndmask_b32_e32 v12, v12, v16, vcc_lo
	v_cndmask_b32_e64 v19, v19, v20, s0
	v_cndmask_b32_e64 v23, v23, v24, s1
	s_or_b32 s5, s5, s6
	v_cndmask_b32_e64 v27, v27, v28, s2
	s_and_b32 s5, s7, s5
	v_cndmask_b32_e64 v33, v33, v34, s4
	v_cndmask_b32_e64 v31, v31, v32, s3
	;; [unrolled: 1-line block ×3, first 2 shown]
	; wave barrier
	ds_write2_b32 v2, v4, v5 offset1:1
	ds_write2_b32 v2, v6, v7 offset0:2 offset1:3
	ds_write2_b32 v2, v8, v9 offset0:4 offset1:5
	;; [unrolled: 1-line block ×3, first 2 shown]
	v_lshl_add_u32 v2, v12, 2, v1
	v_lshl_add_u32 v4, v19, 2, v1
	v_lshl_add_u32 v5, v23, 2, v1
	v_lshl_add_u32 v6, v27, 2, v1
	v_lshl_add_u32 v7, v31, 2, v1
	v_lshl_add_u32 v8, v33, 2, v1
	v_lshl_add_u32 v9, v39, 2, v1
	; wave barrier
	v_lshl_add_u32 v1, v20, 2, v1
	ds_read_b32 v2, v2
	ds_read_b32 v4, v4
	;; [unrolled: 1-line block ×8, first 2 shown]
	v_cndmask_b32_e32 v1, v3, v13, vcc_lo
	v_cndmask_b32_e64 v3, v14, v15, s0
	v_cndmask_b32_e64 v12, v17, v18, s1
	;; [unrolled: 1-line block ×6, first 2 shown]
	v_lshlrev_b32_e32 v0, 2, v0
	s_add_u32 s0, s22, s24
	s_addc_u32 s1, s23, s25
	s_waitcnt lgkmcnt(7)
	v_add_nc_u32_e32 v1, v2, v1
	s_waitcnt lgkmcnt(6)
	v_add_nc_u32_e32 v2, v4, v3
	;; [unrolled: 2-line block ×8, first 2 shown]
	global_store_dwordx4 v0, v[1:4], s[0:1]
	global_store_dwordx4 v0, v[5:8], s[0:1] offset:16
	s_endpgm
	.section	.rodata,"a",@progbits
	.p2align	6, 0x0
	.amdhsa_kernel _Z10sort_pairsILj256ELj64ELj8EiN10test_utils4lessEEvPKT2_PS2_T3_
		.amdhsa_group_segment_fixed_size 8208
		.amdhsa_private_segment_fixed_size 0
		.amdhsa_kernarg_size 20
		.amdhsa_user_sgpr_count 6
		.amdhsa_user_sgpr_private_segment_buffer 1
		.amdhsa_user_sgpr_dispatch_ptr 0
		.amdhsa_user_sgpr_queue_ptr 0
		.amdhsa_user_sgpr_kernarg_segment_ptr 1
		.amdhsa_user_sgpr_dispatch_id 0
		.amdhsa_user_sgpr_flat_scratch_init 0
		.amdhsa_user_sgpr_private_segment_size 0
		.amdhsa_wavefront_size32 1
		.amdhsa_uses_dynamic_stack 0
		.amdhsa_system_sgpr_private_segment_wavefront_offset 0
		.amdhsa_system_sgpr_workgroup_id_x 1
		.amdhsa_system_sgpr_workgroup_id_y 0
		.amdhsa_system_sgpr_workgroup_id_z 0
		.amdhsa_system_sgpr_workgroup_info 0
		.amdhsa_system_vgpr_workitem_id 0
		.amdhsa_next_free_vgpr 52
		.amdhsa_next_free_sgpr 26
		.amdhsa_reserve_vcc 1
		.amdhsa_reserve_flat_scratch 0
		.amdhsa_float_round_mode_32 0
		.amdhsa_float_round_mode_16_64 0
		.amdhsa_float_denorm_mode_32 3
		.amdhsa_float_denorm_mode_16_64 3
		.amdhsa_dx10_clamp 1
		.amdhsa_ieee_mode 1
		.amdhsa_fp16_overflow 0
		.amdhsa_workgroup_processor_mode 1
		.amdhsa_memory_ordered 1
		.amdhsa_forward_progress 1
		.amdhsa_shared_vgpr_count 0
		.amdhsa_exception_fp_ieee_invalid_op 0
		.amdhsa_exception_fp_denorm_src 0
		.amdhsa_exception_fp_ieee_div_zero 0
		.amdhsa_exception_fp_ieee_overflow 0
		.amdhsa_exception_fp_ieee_underflow 0
		.amdhsa_exception_fp_ieee_inexact 0
		.amdhsa_exception_int_div_zero 0
	.end_amdhsa_kernel
	.section	.text._Z10sort_pairsILj256ELj64ELj8EiN10test_utils4lessEEvPKT2_PS2_T3_,"axG",@progbits,_Z10sort_pairsILj256ELj64ELj8EiN10test_utils4lessEEvPKT2_PS2_T3_,comdat
.Lfunc_end45:
	.size	_Z10sort_pairsILj256ELj64ELj8EiN10test_utils4lessEEvPKT2_PS2_T3_, .Lfunc_end45-_Z10sort_pairsILj256ELj64ELj8EiN10test_utils4lessEEvPKT2_PS2_T3_
                                        ; -- End function
	.set _Z10sort_pairsILj256ELj64ELj8EiN10test_utils4lessEEvPKT2_PS2_T3_.num_vgpr, 52
	.set _Z10sort_pairsILj256ELj64ELj8EiN10test_utils4lessEEvPKT2_PS2_T3_.num_agpr, 0
	.set _Z10sort_pairsILj256ELj64ELj8EiN10test_utils4lessEEvPKT2_PS2_T3_.numbered_sgpr, 26
	.set _Z10sort_pairsILj256ELj64ELj8EiN10test_utils4lessEEvPKT2_PS2_T3_.num_named_barrier, 0
	.set _Z10sort_pairsILj256ELj64ELj8EiN10test_utils4lessEEvPKT2_PS2_T3_.private_seg_size, 0
	.set _Z10sort_pairsILj256ELj64ELj8EiN10test_utils4lessEEvPKT2_PS2_T3_.uses_vcc, 1
	.set _Z10sort_pairsILj256ELj64ELj8EiN10test_utils4lessEEvPKT2_PS2_T3_.uses_flat_scratch, 0
	.set _Z10sort_pairsILj256ELj64ELj8EiN10test_utils4lessEEvPKT2_PS2_T3_.has_dyn_sized_stack, 0
	.set _Z10sort_pairsILj256ELj64ELj8EiN10test_utils4lessEEvPKT2_PS2_T3_.has_recursion, 0
	.set _Z10sort_pairsILj256ELj64ELj8EiN10test_utils4lessEEvPKT2_PS2_T3_.has_indirect_call, 0
	.section	.AMDGPU.csdata,"",@progbits
; Kernel info:
; codeLenInByte = 10396
; TotalNumSgprs: 28
; NumVgprs: 52
; ScratchSize: 0
; MemoryBound: 0
; FloatMode: 240
; IeeeMode: 1
; LDSByteSize: 8208 bytes/workgroup (compile time only)
; SGPRBlocks: 0
; VGPRBlocks: 6
; NumSGPRsForWavesPerEU: 28
; NumVGPRsForWavesPerEU: 52
; Occupancy: 16
; WaveLimiterHint : 0
; COMPUTE_PGM_RSRC2:SCRATCH_EN: 0
; COMPUTE_PGM_RSRC2:USER_SGPR: 6
; COMPUTE_PGM_RSRC2:TRAP_HANDLER: 0
; COMPUTE_PGM_RSRC2:TGID_X_EN: 1
; COMPUTE_PGM_RSRC2:TGID_Y_EN: 0
; COMPUTE_PGM_RSRC2:TGID_Z_EN: 0
; COMPUTE_PGM_RSRC2:TIDIG_COMP_CNT: 0
	.section	.text._Z19sort_keys_segmentedILj256ELj64ELj8EiN10test_utils4lessEEvPKT2_PS2_PKjT3_,"axG",@progbits,_Z19sort_keys_segmentedILj256ELj64ELj8EiN10test_utils4lessEEvPKT2_PS2_PKjT3_,comdat
	.protected	_Z19sort_keys_segmentedILj256ELj64ELj8EiN10test_utils4lessEEvPKT2_PS2_PKjT3_ ; -- Begin function _Z19sort_keys_segmentedILj256ELj64ELj8EiN10test_utils4lessEEvPKT2_PS2_PKjT3_
	.globl	_Z19sort_keys_segmentedILj256ELj64ELj8EiN10test_utils4lessEEvPKT2_PS2_PKjT3_
	.p2align	8
	.type	_Z19sort_keys_segmentedILj256ELj64ELj8EiN10test_utils4lessEEvPKT2_PS2_PKjT3_,@function
_Z19sort_keys_segmentedILj256ELj64ELj8EiN10test_utils4lessEEvPKT2_PS2_PKjT3_: ; @_Z19sort_keys_segmentedILj256ELj64ELj8EiN10test_utils4lessEEvPKT2_PS2_PKjT3_
; %bb.0:
	s_clause 0x1
	s_load_dwordx2 s[0:1], s[4:5], 0x10
	s_load_dwordx4 s[16:19], s[4:5], 0x0
	v_lshrrev_b32_e32 v8, 6, v0
	v_mov_b32_e32 v2, 0
	v_mbcnt_lo_u32_b32 v0, -1, 0
	v_lshl_or_b32 v1, s6, 2, v8
	v_mov_b32_e32 v10, v2
	v_lshlrev_b32_e32 v6, 3, v0
	v_mov_b32_e32 v16, v2
	v_mov_b32_e32 v17, v2
	v_lshlrev_b64 v[3:4], 2, v[1:2]
	v_lshlrev_b32_e32 v1, 9, v1
	v_mov_b32_e32 v15, v2
	v_mov_b32_e32 v12, v2
	;; [unrolled: 1-line block ×4, first 2 shown]
	s_waitcnt lgkmcnt(0)
	v_add_co_u32 v3, vcc_lo, s0, v3
	v_add_co_ci_u32_e64 v4, null, s1, v4, vcc_lo
	global_load_dword v5, v[3:4], off
	v_lshlrev_b32_e32 v3, 5, v0
	v_lshlrev_b64 v[0:1], 2, v[1:2]
	v_add_co_u32 v4, vcc_lo, s16, v0
	v_add_co_ci_u32_e64 v7, null, s17, v1, vcc_lo
	v_add_co_u32 v3, vcc_lo, v4, v3
	v_add_co_ci_u32_e64 v4, null, 0, v7, vcc_lo
	s_waitcnt vmcnt(0)
	v_cmp_lt_u32_e32 vcc_lo, v6, v5
	s_and_saveexec_b32 s0, vcc_lo
	s_cbranch_execz .LBB46_2
; %bb.1:
	global_load_dword v10, v[3:4], off
	v_mov_b32_e32 v16, v2
	v_mov_b32_e32 v17, v2
	;; [unrolled: 1-line block ×6, first 2 shown]
.LBB46_2:
	s_or_b32 exec_lo, exec_lo, s0
	v_or_b32_e32 v7, 1, v6
	v_cmp_lt_u32_e64 s0, v7, v5
	s_and_saveexec_b32 s1, s0
	s_cbranch_execz .LBB46_4
; %bb.3:
	global_load_dword v2, v[3:4], off offset:4
.LBB46_4:
	s_or_b32 exec_lo, exec_lo, s1
	v_or_b32_e32 v9, 2, v6
	v_cmp_lt_u32_e64 s1, v9, v5
	s_and_saveexec_b32 s2, s1
	s_cbranch_execz .LBB46_6
; %bb.5:
	global_load_dword v16, v[3:4], off offset:8
.LBB46_6:
	;; [unrolled: 8-line block ×7, first 2 shown]
	s_or_b32 exec_lo, exec_lo, s7
	v_cmp_lt_i32_e64 s8, v20, v5
	v_cmp_lt_i32_e64 s9, v21, v5
	;; [unrolled: 1-line block ×6, first 2 shown]
	s_or_b32 s8, s9, s8
	s_waitcnt vmcnt(0)
	v_cndmask_b32_e64 v13, 0x7fffffff, v13, s9
	v_cndmask_b32_e64 v12, 0x7fffffff, v12, s8
	s_or_b32 s8, s8, s11
	s_mov_b32 s9, exec_lo
	v_cndmask_b32_e64 v15, 0x7fffffff, v15, s8
	s_or_b32 s8, s8, s12
	v_cndmask_b32_e64 v17, 0x7fffffff, v17, s8
	s_or_b32 s8, s8, s10
	s_brev_b32 s10, -2
	s_or_b32 s7, s8, s7
	v_cndmask_b32_e64 v16, 0x7fffffff, v16, s8
	v_cndmask_b32_e64 v2, 0x7fffffff, v2, s7
	v_cmp_lt_i32_e64 s8, v19, v5
	v_cmpx_ge_i32_e64 v19, v5
; %bb.17:
	v_cmp_lt_i32_e64 s7, v6, v5
	v_mov_b32_e32 v14, s10
	s_andn2_b32 s8, s8, exec_lo
	s_and_b32 s7, s7, exec_lo
	s_or_b32 s8, s8, s7
; %bb.18:
	s_or_b32 exec_lo, exec_lo, s9
	s_and_saveexec_b32 s10, s8
	s_cbranch_execz .LBB46_22
; %bb.19:
	v_cmp_lt_i32_e64 s7, v2, v10
	v_min_i32_e32 v4, v2, v10
	v_cmp_lt_i32_e64 s8, v17, v16
	v_max_i32_e32 v7, v2, v10
	v_max_i32_e32 v11, v17, v16
	v_cndmask_b32_e64 v3, v10, v2, s7
	v_cndmask_b32_e64 v2, v2, v10, s7
	v_cmp_lt_i32_e64 s7, v12, v15
	v_cndmask_b32_e64 v9, v17, v16, s8
	v_cndmask_b32_e64 v10, v16, v17, s8
	v_min_i32_e32 v16, v17, v16
	v_max_i32_e32 v19, v12, v15
	v_cndmask_b32_e64 v17, v12, v15, s7
	v_cndmask_b32_e64 v18, v15, v12, s7
	v_cmp_lt_i32_e64 s7, v14, v13
	v_min_i32_e32 v12, v12, v15
	v_cmp_lt_i32_e64 s8, v16, v7
	v_max_i32_e32 v21, v14, v13
	v_cndmask_b32_e64 v15, v14, v13, s7
	v_cndmask_b32_e64 v20, v13, v14, s7
	v_min_i32_e32 v13, v14, v13
	v_cndmask_b32_e64 v10, v10, v7, s8
	v_cndmask_b32_e64 v2, v2, v16, s8
	v_cmp_lt_i32_e64 s7, v12, v11
	v_max_i32_e32 v14, v16, v7
	v_cmp_lt_i32_e64 s8, v13, v19
	v_min_i32_e32 v7, v16, v7
	v_max_i32_e32 v22, v12, v11
	v_cndmask_b32_e64 v18, v18, v11, s7
	v_cndmask_b32_e64 v9, v9, v12, s7
	v_min_i32_e32 v11, v12, v11
	v_cndmask_b32_e64 v17, v17, v13, s8
	v_cmp_lt_i32_e64 s7, v16, v4
	v_max_i32_e32 v16, v13, v19
	v_min_i32_e32 v13, v13, v19
	v_cndmask_b32_e64 v12, v20, v19, s8
	v_cmp_lt_i32_e64 s8, v11, v14
	v_cndmask_b32_e64 v3, v3, v7, s7
	v_cndmask_b32_e64 v2, v2, v4, s7
	;; [unrolled: 1-line block ×4, first 2 shown]
	v_cmp_lt_i32_e64 s7, v13, v22
	v_cndmask_b32_e64 v7, v9, v14, s8
	v_cndmask_b32_e64 v9, v10, v11, s8
	v_max_i32_e32 v10, v11, v14
	v_min_i32_e32 v11, v11, v14
	v_cndmask_b32_e64 v14, v17, v22, s7
	v_cmp_gt_i32_e64 s8, v19, v21
	v_cndmask_b32_e64 v17, v18, v13, s7
	v_max_i32_e32 v18, v13, v22
	v_min_i32_e32 v13, v13, v22
	v_cmp_lt_i32_e64 s7, v11, v4
	v_cndmask_b32_e64 v15, v15, v16, s8
	v_cndmask_b32_e64 v12, v12, v21, s8
	;; [unrolled: 1-line block ×4, first 2 shown]
	v_cmp_lt_i32_e64 s8, v13, v10
	v_cndmask_b32_e64 v9, v9, v4, s7
	v_cndmask_b32_e64 v2, v2, v11, s7
	v_max_i32_e32 v21, v11, v4
	v_min_i32_e32 v4, v11, v4
	v_cndmask_b32_e64 v11, v17, v10, s8
	v_cmp_lt_i32_e64 s7, v16, v18
	v_max_i32_e32 v17, v13, v10
	v_min_i32_e32 v10, v13, v10
	v_cndmask_b32_e64 v7, v7, v13, s8
	v_cmp_lt_i32_e64 s8, v4, v20
	v_cndmask_b32_e64 v12, v12, v18, s7
	v_cndmask_b32_e64 v13, v14, v16, s7
	v_max_i32_e32 v14, v16, v18
	v_min_i32_e32 v16, v16, v18
	v_cmp_lt_i32_e64 s7, v10, v21
	v_cndmask_b32_e64 v3, v3, v4, s8
	v_cndmask_b32_e64 v2, v2, v20, s8
	v_min_i32_e32 v18, v4, v20
	v_max_i32_e32 v4, v4, v20
	v_cndmask_b32_e64 v7, v7, v21, s7
	v_cmp_lt_i32_e64 s8, v16, v17
	v_cndmask_b32_e64 v9, v9, v10, s7
	v_max_i32_e32 v20, v10, v21
	v_min_i32_e32 v10, v10, v21
	v_cmp_lt_i32_e64 s7, v19, v14
	v_cndmask_b32_e64 v13, v13, v17, s8
	v_cndmask_b32_e64 v11, v11, v16, s8
	v_max_i32_e32 v21, v16, v17
	v_min_i32_e32 v16, v16, v17
	v_cndmask_b32_e64 v15, v15, v14, s7
	v_cmp_lt_i32_e64 s8, v10, v4
	v_max_i32_e32 v17, v19, v14
	v_min_i32_e32 v14, v19, v14
	v_cndmask_b32_e64 v12, v12, v19, s7
	v_cmp_lt_i32_e64 s7, v16, v20
	v_cndmask_b32_e64 v2, v2, v10, s8
	v_cndmask_b32_e64 v9, v9, v4, s8
	v_cmp_lt_i32_e64 s8, v14, v21
	v_max_i32_e32 v19, v10, v4
	v_min_i32_e32 v4, v10, v4
	v_cndmask_b32_e64 v11, v11, v20, s7
	v_cndmask_b32_e64 v7, v7, v16, s7
	v_max_i32_e32 v22, v16, v20
	v_min_i32_e32 v16, v16, v20
	v_cndmask_b32_e64 v20, v12, v21, s8
	v_cndmask_b32_e64 v12, v13, v14, s8
	v_cmp_lt_i32_e64 s7, v10, v18
	v_min_i32_e32 v13, v14, v21
	v_cmp_lt_i32_e64 s8, v16, v19
	v_max_i32_e32 v23, v14, v21
	v_max_i32_e32 v24, v16, v19
	v_cndmask_b32_e64 v10, v3, v4, s7
	v_cndmask_b32_e64 v2, v2, v18, s7
	;; [unrolled: 1-line block ×3, first 2 shown]
	v_cmp_lt_i32_e64 s7, v13, v22
	v_cndmask_b32_e64 v7, v7, v19, s8
	v_min_i32_e32 v19, v16, v19
	v_cndmask_b32_e64 v9, v9, v16, s8
	v_max_i32_e32 v3, v13, v22
	v_cndmask_b32_e64 v12, v12, v22, s7
	v_cndmask_b32_e64 v11, v11, v13, s7
	v_cmp_gt_i32_e64 s7, v21, v17
	v_min_i32_e32 v21, v13, v22
	v_cmp_lt_i32_e64 s8, v19, v18
	v_cndmask_b32_e64 v14, v15, v23, s7
	v_cmp_lt_i32_e64 s9, v21, v24
	v_cndmask_b32_e64 v13, v20, v17, s7
	v_cndmask_b32_e64 v4, v23, v17, s7
	;; [unrolled: 1-line block ×6, first 2 shown]
	s_mov_b32 s8, exec_lo
	v_cmpx_lt_i32_e64 v4, v3
; %bb.20:
	v_mov_b32_e32 v12, v4
	v_mov_b32_e32 v13, v3
; %bb.21:
	s_or_b32 exec_lo, exec_lo, s8
.LBB46_22:
	s_or_b32 exec_lo, exec_lo, s10
	v_and_b32_e32 v3, 0xf0, v6
	v_and_b32_e32 v4, 8, v6
	; wave barrier
	s_mov_b32 s9, 0
	v_min_i32_e32 v18, v5, v3
	v_min_i32_e32 v19, v5, v4
	v_mul_u32_u24_e32 v4, 0x804, v8
	s_mov_b32 s8, exec_lo
	v_add_nc_u32_e32 v3, 8, v18
	v_lshlrev_b32_e32 v23, 2, v18
	v_min_i32_e32 v11, v5, v3
	v_add_nc_u32_e32 v3, 8, v11
	v_sub_nc_u32_e32 v22, v11, v18
	v_min_i32_e32 v9, v5, v3
	v_lshlrev_b32_e32 v3, 2, v6
	v_sub_nc_u32_e32 v20, v9, v11
	v_mad_u32_u24 v7, 0x804, v8, v3
	ds_write2_b32 v7, v10, v2 offset1:1
	ds_write2_b32 v7, v16, v17 offset0:2 offset1:3
	ds_write2_b32 v7, v15, v12 offset0:4 offset1:5
	v_sub_nc_u32_e32 v21, v19, v20
	v_cmp_ge_i32_e64 s7, v19, v20
	v_mad_u32_u24 v2, 0x804, v8, v23
	ds_write2_b32 v7, v13, v14 offset0:6 offset1:7
	; wave barrier
	v_cndmask_b32_e64 v20, 0, v21, s7
	v_min_i32_e32 v21, v19, v22
	v_cmpx_lt_i32_e64 v20, v21
	s_cbranch_execz .LBB46_26
; %bb.23:
	v_lshlrev_b32_e32 v8, 2, v11
	v_lshlrev_b32_e32 v10, 2, v19
	v_add3_u32 v8, v4, v8, v10
	.p2align	6
.LBB46_24:                              ; =>This Inner Loop Header: Depth=1
	v_sub_nc_u32_e32 v10, v21, v20
	v_lshrrev_b32_e32 v10, 1, v10
	v_add_nc_u32_e32 v10, v10, v20
	v_not_b32_e32 v12, v10
	v_lshl_add_u32 v13, v10, 2, v2
	v_add_nc_u32_e32 v14, 1, v10
	v_lshl_add_u32 v12, v12, 2, v8
	ds_read_b32 v13, v13
	ds_read_b32 v12, v12
	s_waitcnt lgkmcnt(0)
	v_cmp_lt_i32_e64 s7, v12, v13
	v_cndmask_b32_e64 v21, v21, v10, s7
	v_cndmask_b32_e64 v20, v14, v20, s7
	v_cmp_ge_i32_e64 s7, v20, v21
	s_or_b32 s9, s7, s9
	s_andn2_b32 exec_lo, exec_lo, s9
	s_cbranch_execnz .LBB46_24
; %bb.25:
	s_or_b32 exec_lo, exec_lo, s9
.LBB46_26:
	s_or_b32 exec_lo, exec_lo, s8
	v_add_nc_u32_e32 v8, v11, v19
	v_lshl_add_u32 v13, v20, 2, v2
	v_add_nc_u32_e32 v2, v20, v18
                                        ; implicit-def: $vgpr12
	v_sub_nc_u32_e32 v14, v8, v20
	v_cmp_le_i32_e64 s7, v11, v2
	v_lshl_add_u32 v15, v14, 2, v4
	v_cmp_gt_i32_e64 s9, v9, v14
	ds_read_b32 v8, v13
	ds_read_b32 v10, v15
	s_waitcnt lgkmcnt(0)
	v_cmp_lt_i32_e64 s8, v10, v8
	s_or_b32 s7, s7, s8
	s_and_b32 s7, s9, s7
	s_xor_b32 s8, s7, -1
	s_and_saveexec_b32 s9, s8
	s_xor_b32 s8, exec_lo, s9
; %bb.27:
	ds_read_b32 v12, v13 offset:4
                                        ; implicit-def: $vgpr15
; %bb.28:
	s_or_saveexec_b32 s8, s8
	v_mov_b32_e32 v13, v10
	s_xor_b32 exec_lo, exec_lo, s8
	s_cbranch_execz .LBB46_30
; %bb.29:
	ds_read_b32 v13, v15 offset:4
	s_waitcnt lgkmcnt(1)
	v_mov_b32_e32 v12, v8
.LBB46_30:
	s_or_b32 exec_lo, exec_lo, s8
	v_add_nc_u32_e32 v15, 1, v2
	v_add_nc_u32_e32 v17, 1, v14
	s_waitcnt lgkmcnt(0)
	v_cmp_lt_i32_e64 s9, v13, v12
	v_cndmask_b32_e64 v16, v15, v2, s7
	v_cndmask_b32_e64 v2, v14, v17, s7
                                        ; implicit-def: $vgpr14
	v_cmp_ge_i32_e64 s8, v16, v11
	v_cmp_lt_i32_e64 s10, v2, v9
	s_or_b32 s8, s8, s9
	s_and_b32 s8, s10, s8
	s_xor_b32 s9, s8, -1
	s_and_saveexec_b32 s10, s9
	s_xor_b32 s9, exec_lo, s10
; %bb.31:
	v_lshl_add_u32 v14, v16, 2, v4
	ds_read_b32 v14, v14 offset:4
; %bb.32:
	s_or_saveexec_b32 s9, s9
	v_mov_b32_e32 v15, v13
	s_xor_b32 exec_lo, exec_lo, s9
	s_cbranch_execz .LBB46_34
; %bb.33:
	s_waitcnt lgkmcnt(0)
	v_lshl_add_u32 v14, v2, 2, v4
	ds_read_b32 v15, v14 offset:4
	v_mov_b32_e32 v14, v12
.LBB46_34:
	s_or_b32 exec_lo, exec_lo, s9
	v_add_nc_u32_e32 v17, 1, v16
	v_add_nc_u32_e32 v19, 1, v2
	s_waitcnt lgkmcnt(0)
	v_cmp_lt_i32_e64 s10, v15, v14
	v_cndmask_b32_e64 v18, v17, v16, s8
	v_cndmask_b32_e64 v2, v2, v19, s8
                                        ; implicit-def: $vgpr16
	v_cmp_ge_i32_e64 s9, v18, v11
	v_cmp_lt_i32_e64 s11, v2, v9
	s_or_b32 s9, s9, s10
	s_and_b32 s9, s11, s9
	s_xor_b32 s10, s9, -1
	s_and_saveexec_b32 s11, s10
	s_xor_b32 s10, exec_lo, s11
; %bb.35:
	v_lshl_add_u32 v16, v18, 2, v4
	ds_read_b32 v16, v16 offset:4
; %bb.36:
	s_or_saveexec_b32 s10, s10
	v_mov_b32_e32 v17, v15
	s_xor_b32 exec_lo, exec_lo, s10
	s_cbranch_execz .LBB46_38
; %bb.37:
	s_waitcnt lgkmcnt(0)
	v_lshl_add_u32 v16, v2, 2, v4
	ds_read_b32 v17, v16 offset:4
	v_mov_b32_e32 v16, v14
.LBB46_38:
	s_or_b32 exec_lo, exec_lo, s10
	v_add_nc_u32_e32 v19, 1, v18
	v_add_nc_u32_e32 v21, 1, v2
	s_waitcnt lgkmcnt(0)
	v_cmp_lt_i32_e64 s11, v17, v16
	v_cndmask_b32_e64 v20, v19, v18, s9
	v_cndmask_b32_e64 v2, v2, v21, s9
                                        ; implicit-def: $vgpr18
	v_cmp_ge_i32_e64 s10, v20, v11
	v_cmp_lt_i32_e64 s12, v2, v9
	s_or_b32 s10, s10, s11
	s_and_b32 s10, s12, s10
	s_xor_b32 s11, s10, -1
	s_and_saveexec_b32 s12, s11
	s_xor_b32 s11, exec_lo, s12
; %bb.39:
	v_lshl_add_u32 v18, v20, 2, v4
	ds_read_b32 v18, v18 offset:4
; %bb.40:
	s_or_saveexec_b32 s11, s11
	v_mov_b32_e32 v19, v17
	s_xor_b32 exec_lo, exec_lo, s11
	s_cbranch_execz .LBB46_42
; %bb.41:
	s_waitcnt lgkmcnt(0)
	v_lshl_add_u32 v18, v2, 2, v4
	ds_read_b32 v19, v18 offset:4
	v_mov_b32_e32 v18, v16
.LBB46_42:
	s_or_b32 exec_lo, exec_lo, s11
	v_add_nc_u32_e32 v21, 1, v20
	v_add_nc_u32_e32 v23, 1, v2
	s_waitcnt lgkmcnt(0)
	v_cmp_lt_i32_e64 s12, v19, v18
	v_cndmask_b32_e64 v22, v21, v20, s10
	v_cndmask_b32_e64 v2, v2, v23, s10
                                        ; implicit-def: $vgpr20
	v_cmp_ge_i32_e64 s11, v22, v11
	v_cmp_lt_i32_e64 s13, v2, v9
	s_or_b32 s11, s11, s12
	s_and_b32 s11, s13, s11
	s_xor_b32 s12, s11, -1
	s_and_saveexec_b32 s13, s12
	s_xor_b32 s12, exec_lo, s13
; %bb.43:
	v_lshl_add_u32 v20, v22, 2, v4
	ds_read_b32 v20, v20 offset:4
; %bb.44:
	s_or_saveexec_b32 s12, s12
	v_mov_b32_e32 v21, v19
	s_xor_b32 exec_lo, exec_lo, s12
	s_cbranch_execz .LBB46_46
; %bb.45:
	s_waitcnt lgkmcnt(0)
	v_lshl_add_u32 v20, v2, 2, v4
	ds_read_b32 v21, v20 offset:4
	v_mov_b32_e32 v20, v18
.LBB46_46:
	s_or_b32 exec_lo, exec_lo, s12
	v_add_nc_u32_e32 v23, 1, v22
	v_add_nc_u32_e32 v25, 1, v2
	s_waitcnt lgkmcnt(0)
	v_cmp_lt_i32_e64 s13, v21, v20
	v_cndmask_b32_e64 v24, v23, v22, s11
	v_cndmask_b32_e64 v22, v2, v25, s11
                                        ; implicit-def: $vgpr2
	v_cmp_ge_i32_e64 s12, v24, v11
	v_cmp_lt_i32_e64 s14, v22, v9
	s_or_b32 s12, s12, s13
	s_and_b32 s12, s14, s12
	s_xor_b32 s13, s12, -1
	s_and_saveexec_b32 s14, s13
	s_xor_b32 s13, exec_lo, s14
; %bb.47:
	v_lshl_add_u32 v2, v24, 2, v4
	ds_read_b32 v2, v2 offset:4
; %bb.48:
	s_or_saveexec_b32 s13, s13
	v_mov_b32_e32 v23, v21
	s_xor_b32 exec_lo, exec_lo, s13
	s_cbranch_execz .LBB46_50
; %bb.49:
	s_waitcnt lgkmcnt(0)
	v_lshl_add_u32 v2, v22, 2, v4
	ds_read_b32 v23, v2 offset:4
	v_mov_b32_e32 v2, v20
.LBB46_50:
	s_or_b32 exec_lo, exec_lo, s13
	v_add_nc_u32_e32 v25, 1, v24
	v_add_nc_u32_e32 v27, 1, v22
	s_waitcnt lgkmcnt(0)
	v_cmp_lt_i32_e64 s14, v23, v2
	v_cndmask_b32_e64 v26, v25, v24, s12
	v_cndmask_b32_e64 v25, v22, v27, s12
                                        ; implicit-def: $vgpr24
	v_cmp_ge_i32_e64 s13, v26, v11
	v_cmp_lt_i32_e64 s15, v25, v9
	s_or_b32 s13, s13, s14
	s_and_b32 s13, s15, s13
	s_xor_b32 s14, s13, -1
	s_and_saveexec_b32 s15, s14
	s_xor_b32 s14, exec_lo, s15
; %bb.51:
	v_lshl_add_u32 v22, v26, 2, v4
	ds_read_b32 v24, v22 offset:4
; %bb.52:
	s_or_saveexec_b32 s14, s14
	v_mov_b32_e32 v27, v23
	s_xor_b32 exec_lo, exec_lo, s14
	s_cbranch_execz .LBB46_54
; %bb.53:
	v_lshl_add_u32 v22, v25, 2, v4
	s_waitcnt lgkmcnt(0)
	v_mov_b32_e32 v24, v2
	ds_read_b32 v27, v22 offset:4
.LBB46_54:
	s_or_b32 exec_lo, exec_lo, s14
	v_and_b32_e32 v22, 0xe0, v6
	v_cndmask_b32_e64 v23, v2, v23, s13
	v_add_nc_u32_e32 v30, 1, v26
	v_add_nc_u32_e32 v29, 1, v25
	v_cndmask_b32_e64 v14, v14, v15, s9
	v_min_i32_e32 v22, v5, v22
	v_cndmask_b32_e64 v13, v12, v13, s8
	v_cndmask_b32_e64 v12, v30, v26, s13
	;; [unrolled: 1-line block ×4, first 2 shown]
	v_add_nc_u32_e32 v28, 16, v22
	v_and_b32_e32 v8, 24, v6
	s_waitcnt lgkmcnt(0)
	v_cmp_lt_i32_e64 s7, v27, v24
	v_cmp_ge_i32_e64 s8, v12, v11
	v_cndmask_b32_e64 v18, v18, v19, s11
	v_min_i32_e32 v2, v5, v28
	v_min_i32_e32 v8, v5, v8
	v_cndmask_b32_e64 v20, v20, v21, s12
	s_or_b32 s7, s8, s7
	s_mov_b32 s8, exec_lo
	v_add_nc_u32_e32 v15, 16, v2
	; wave barrier
	ds_write2_b32 v7, v17, v13 offset1:1
	ds_write2_b32 v7, v14, v16 offset0:2 offset1:3
	ds_write2_b32 v7, v18, v20 offset0:4 offset1:5
	v_min_i32_e32 v10, v5, v15
	v_cndmask_b32_e64 v15, v25, v29, s13
	v_sub_nc_u32_e32 v11, v10, v2
	v_cmp_lt_i32_e64 s9, v15, v9
	v_sub_nc_u32_e32 v15, v2, v22
	v_sub_nc_u32_e32 v9, v8, v11
	s_and_b32 s7, s9, s7
	s_mov_b32 s9, 0
	v_cndmask_b32_e64 v19, v24, v27, s7
	v_cmp_ge_i32_e64 s7, v8, v11
	v_min_i32_e32 v11, v8, v15
	ds_write2_b32 v7, v23, v19 offset0:6 offset1:7
	v_cndmask_b32_e64 v12, 0, v9, s7
	v_lshl_add_u32 v9, v22, 2, v4
	; wave barrier
	v_cmpx_lt_i32_e64 v12, v11
	s_cbranch_execz .LBB46_58
; %bb.55:
	v_lshlrev_b32_e32 v13, 2, v2
	v_lshlrev_b32_e32 v14, 2, v8
	v_add3_u32 v13, v4, v13, v14
	.p2align	6
.LBB46_56:                              ; =>This Inner Loop Header: Depth=1
	v_sub_nc_u32_e32 v14, v11, v12
	v_lshrrev_b32_e32 v14, 1, v14
	v_add_nc_u32_e32 v14, v14, v12
	v_not_b32_e32 v15, v14
	v_lshl_add_u32 v16, v14, 2, v9
	v_add_nc_u32_e32 v17, 1, v14
	v_lshl_add_u32 v15, v15, 2, v13
	ds_read_b32 v16, v16
	ds_read_b32 v15, v15
	s_waitcnt lgkmcnt(0)
	v_cmp_lt_i32_e64 s7, v15, v16
	v_cndmask_b32_e64 v11, v11, v14, s7
	v_cndmask_b32_e64 v12, v17, v12, s7
	v_cmp_ge_i32_e64 s7, v12, v11
	s_or_b32 s9, s7, s9
	s_andn2_b32 exec_lo, exec_lo, s9
	s_cbranch_execnz .LBB46_56
; %bb.57:
	s_or_b32 exec_lo, exec_lo, s9
.LBB46_58:
	s_or_b32 exec_lo, exec_lo, s8
	v_add_nc_u32_e32 v8, v2, v8
	v_lshl_add_u32 v13, v12, 2, v9
	v_add_nc_u32_e32 v14, v12, v22
	v_sub_nc_u32_e32 v8, v8, v12
                                        ; implicit-def: $vgpr12
	v_cmp_le_i32_e64 s7, v2, v14
	v_lshl_add_u32 v15, v8, 2, v4
	v_cmp_gt_i32_e64 s9, v10, v8
	ds_read_b32 v9, v13
	ds_read_b32 v11, v15
	s_waitcnt lgkmcnt(0)
	v_cmp_lt_i32_e64 s8, v11, v9
	s_or_b32 s7, s7, s8
	s_and_b32 s7, s9, s7
	s_xor_b32 s8, s7, -1
	s_and_saveexec_b32 s9, s8
	s_xor_b32 s8, exec_lo, s9
; %bb.59:
	ds_read_b32 v12, v13 offset:4
                                        ; implicit-def: $vgpr15
; %bb.60:
	s_or_saveexec_b32 s8, s8
	v_mov_b32_e32 v13, v11
	s_xor_b32 exec_lo, exec_lo, s8
	s_cbranch_execz .LBB46_62
; %bb.61:
	ds_read_b32 v13, v15 offset:4
	s_waitcnt lgkmcnt(1)
	v_mov_b32_e32 v12, v9
.LBB46_62:
	s_or_b32 exec_lo, exec_lo, s8
	v_add_nc_u32_e32 v15, 1, v14
	v_add_nc_u32_e32 v17, 1, v8
	s_waitcnt lgkmcnt(0)
	v_cmp_lt_i32_e64 s9, v13, v12
	v_cndmask_b32_e64 v16, v15, v14, s7
	v_cndmask_b32_e64 v8, v8, v17, s7
                                        ; implicit-def: $vgpr14
	v_cmp_ge_i32_e64 s8, v16, v2
	v_cmp_lt_i32_e64 s10, v8, v10
	s_or_b32 s8, s8, s9
	s_and_b32 s8, s10, s8
	s_xor_b32 s9, s8, -1
	s_and_saveexec_b32 s10, s9
	s_xor_b32 s9, exec_lo, s10
; %bb.63:
	v_lshl_add_u32 v14, v16, 2, v4
	ds_read_b32 v14, v14 offset:4
; %bb.64:
	s_or_saveexec_b32 s9, s9
	v_mov_b32_e32 v15, v13
	s_xor_b32 exec_lo, exec_lo, s9
	s_cbranch_execz .LBB46_66
; %bb.65:
	s_waitcnt lgkmcnt(0)
	v_lshl_add_u32 v14, v8, 2, v4
	ds_read_b32 v15, v14 offset:4
	v_mov_b32_e32 v14, v12
.LBB46_66:
	s_or_b32 exec_lo, exec_lo, s9
	v_add_nc_u32_e32 v17, 1, v16
	v_add_nc_u32_e32 v19, 1, v8
	s_waitcnt lgkmcnt(0)
	v_cmp_lt_i32_e64 s10, v15, v14
	v_cndmask_b32_e64 v18, v17, v16, s8
	v_cndmask_b32_e64 v8, v8, v19, s8
                                        ; implicit-def: $vgpr16
	v_cmp_ge_i32_e64 s9, v18, v2
	v_cmp_lt_i32_e64 s11, v8, v10
	s_or_b32 s9, s9, s10
	s_and_b32 s9, s11, s9
	s_xor_b32 s10, s9, -1
	s_and_saveexec_b32 s11, s10
	s_xor_b32 s10, exec_lo, s11
; %bb.67:
	v_lshl_add_u32 v16, v18, 2, v4
	ds_read_b32 v16, v16 offset:4
; %bb.68:
	s_or_saveexec_b32 s10, s10
	v_mov_b32_e32 v17, v15
	s_xor_b32 exec_lo, exec_lo, s10
	s_cbranch_execz .LBB46_70
; %bb.69:
	s_waitcnt lgkmcnt(0)
	v_lshl_add_u32 v16, v8, 2, v4
	ds_read_b32 v17, v16 offset:4
	v_mov_b32_e32 v16, v14
.LBB46_70:
	s_or_b32 exec_lo, exec_lo, s10
	v_add_nc_u32_e32 v19, 1, v18
	v_add_nc_u32_e32 v21, 1, v8
	s_waitcnt lgkmcnt(0)
	v_cmp_lt_i32_e64 s11, v17, v16
	v_cndmask_b32_e64 v20, v19, v18, s9
	v_cndmask_b32_e64 v8, v8, v21, s9
                                        ; implicit-def: $vgpr18
	v_cmp_ge_i32_e64 s10, v20, v2
	v_cmp_lt_i32_e64 s12, v8, v10
	s_or_b32 s10, s10, s11
	s_and_b32 s10, s12, s10
	s_xor_b32 s11, s10, -1
	s_and_saveexec_b32 s12, s11
	s_xor_b32 s11, exec_lo, s12
; %bb.71:
	v_lshl_add_u32 v18, v20, 2, v4
	ds_read_b32 v18, v18 offset:4
; %bb.72:
	s_or_saveexec_b32 s11, s11
	v_mov_b32_e32 v19, v17
	s_xor_b32 exec_lo, exec_lo, s11
	s_cbranch_execz .LBB46_74
; %bb.73:
	s_waitcnt lgkmcnt(0)
	v_lshl_add_u32 v18, v8, 2, v4
	ds_read_b32 v19, v18 offset:4
	v_mov_b32_e32 v18, v16
.LBB46_74:
	s_or_b32 exec_lo, exec_lo, s11
	v_add_nc_u32_e32 v21, 1, v20
	v_add_nc_u32_e32 v23, 1, v8
	s_waitcnt lgkmcnt(0)
	v_cmp_lt_i32_e64 s12, v19, v18
	v_cndmask_b32_e64 v22, v21, v20, s10
	v_cndmask_b32_e64 v8, v8, v23, s10
                                        ; implicit-def: $vgpr20
	v_cmp_ge_i32_e64 s11, v22, v2
	v_cmp_lt_i32_e64 s13, v8, v10
	s_or_b32 s11, s11, s12
	s_and_b32 s11, s13, s11
	s_xor_b32 s12, s11, -1
	s_and_saveexec_b32 s13, s12
	s_xor_b32 s12, exec_lo, s13
; %bb.75:
	v_lshl_add_u32 v20, v22, 2, v4
	ds_read_b32 v20, v20 offset:4
; %bb.76:
	s_or_saveexec_b32 s12, s12
	v_mov_b32_e32 v21, v19
	s_xor_b32 exec_lo, exec_lo, s12
	s_cbranch_execz .LBB46_78
; %bb.77:
	s_waitcnt lgkmcnt(0)
	v_lshl_add_u32 v20, v8, 2, v4
	ds_read_b32 v21, v20 offset:4
	v_mov_b32_e32 v20, v18
.LBB46_78:
	s_or_b32 exec_lo, exec_lo, s12
	v_add_nc_u32_e32 v23, 1, v22
	v_add_nc_u32_e32 v25, 1, v8
	s_waitcnt lgkmcnt(0)
	v_cmp_lt_i32_e64 s13, v21, v20
	v_cndmask_b32_e64 v24, v23, v22, s11
	v_cndmask_b32_e64 v22, v8, v25, s11
                                        ; implicit-def: $vgpr8
	v_cmp_ge_i32_e64 s12, v24, v2
	v_cmp_lt_i32_e64 s14, v22, v10
	s_or_b32 s12, s12, s13
	s_and_b32 s12, s14, s12
	s_xor_b32 s13, s12, -1
	s_and_saveexec_b32 s14, s13
	s_xor_b32 s13, exec_lo, s14
; %bb.79:
	v_lshl_add_u32 v8, v24, 2, v4
	ds_read_b32 v8, v8 offset:4
; %bb.80:
	s_or_saveexec_b32 s13, s13
	v_mov_b32_e32 v23, v21
	s_xor_b32 exec_lo, exec_lo, s13
	s_cbranch_execz .LBB46_82
; %bb.81:
	s_waitcnt lgkmcnt(0)
	v_lshl_add_u32 v8, v22, 2, v4
	ds_read_b32 v23, v8 offset:4
	v_mov_b32_e32 v8, v20
.LBB46_82:
	s_or_b32 exec_lo, exec_lo, s13
	v_add_nc_u32_e32 v25, 1, v24
	v_add_nc_u32_e32 v27, 1, v22
	s_waitcnt lgkmcnt(0)
	v_cmp_lt_i32_e64 s14, v23, v8
	v_cndmask_b32_e64 v26, v25, v24, s12
	v_cndmask_b32_e64 v25, v22, v27, s12
                                        ; implicit-def: $vgpr24
	v_cmp_ge_i32_e64 s13, v26, v2
	v_cmp_lt_i32_e64 s15, v25, v10
	s_or_b32 s13, s13, s14
	s_and_b32 s13, s15, s13
	s_xor_b32 s14, s13, -1
	s_and_saveexec_b32 s15, s14
	s_xor_b32 s14, exec_lo, s15
; %bb.83:
	v_lshl_add_u32 v22, v26, 2, v4
	ds_read_b32 v24, v22 offset:4
; %bb.84:
	s_or_saveexec_b32 s14, s14
	v_mov_b32_e32 v27, v23
	s_xor_b32 exec_lo, exec_lo, s14
	s_cbranch_execz .LBB46_86
; %bb.85:
	v_lshl_add_u32 v22, v25, 2, v4
	s_waitcnt lgkmcnt(0)
	v_mov_b32_e32 v24, v8
	ds_read_b32 v27, v22 offset:4
.LBB46_86:
	s_or_b32 exec_lo, exec_lo, s14
	v_and_b32_e32 v22, 0xc0, v6
	v_cndmask_b32_e64 v23, v8, v23, s13
	v_add_nc_u32_e32 v30, 1, v26
	v_add_nc_u32_e32 v29, 1, v25
	v_cndmask_b32_e64 v14, v14, v15, s9
	v_min_i32_e32 v22, v5, v22
	v_cndmask_b32_e64 v13, v12, v13, s8
	v_cndmask_b32_e64 v12, v30, v26, s13
	;; [unrolled: 1-line block ×4, first 2 shown]
	v_add_nc_u32_e32 v28, 32, v22
	v_and_b32_e32 v9, 56, v6
	s_waitcnt lgkmcnt(0)
	v_cmp_lt_i32_e64 s7, v27, v24
	v_cmp_ge_i32_e64 s8, v12, v2
	v_cndmask_b32_e64 v18, v18, v19, s11
	v_min_i32_e32 v8, v5, v28
	v_min_i32_e32 v9, v5, v9
	v_cndmask_b32_e64 v20, v20, v21, s12
	s_or_b32 s7, s8, s7
	s_mov_b32 s8, exec_lo
	v_add_nc_u32_e32 v15, 32, v8
	; wave barrier
	ds_write2_b32 v7, v17, v13 offset1:1
	ds_write2_b32 v7, v14, v16 offset0:2 offset1:3
	ds_write2_b32 v7, v18, v20 offset0:4 offset1:5
	v_min_i32_e32 v11, v5, v15
	v_cndmask_b32_e64 v15, v25, v29, s13
	v_sub_nc_u32_e32 v2, v11, v8
	v_cmp_lt_i32_e64 s9, v15, v10
	v_sub_nc_u32_e32 v15, v8, v22
	v_sub_nc_u32_e32 v10, v9, v2
	s_and_b32 s7, s9, s7
	s_mov_b32 s9, 0
	v_cndmask_b32_e64 v19, v24, v27, s7
	v_cmp_ge_i32_e64 s7, v9, v2
	v_lshl_add_u32 v2, v22, 2, v4
	ds_write2_b32 v7, v23, v19 offset0:6 offset1:7
	v_cndmask_b32_e64 v12, 0, v10, s7
	v_min_i32_e32 v10, v9, v15
	; wave barrier
	v_cmpx_lt_i32_e64 v12, v10
	s_cbranch_execz .LBB46_90
; %bb.87:
	v_lshlrev_b32_e32 v13, 2, v8
	v_lshlrev_b32_e32 v14, 2, v9
	v_add3_u32 v13, v4, v13, v14
	.p2align	6
.LBB46_88:                              ; =>This Inner Loop Header: Depth=1
	v_sub_nc_u32_e32 v14, v10, v12
	v_lshrrev_b32_e32 v14, 1, v14
	v_add_nc_u32_e32 v14, v14, v12
	v_not_b32_e32 v15, v14
	v_lshl_add_u32 v16, v14, 2, v2
	v_add_nc_u32_e32 v17, 1, v14
	v_lshl_add_u32 v15, v15, 2, v13
	ds_read_b32 v16, v16
	ds_read_b32 v15, v15
	s_waitcnt lgkmcnt(0)
	v_cmp_lt_i32_e64 s7, v15, v16
	v_cndmask_b32_e64 v10, v10, v14, s7
	v_cndmask_b32_e64 v12, v17, v12, s7
	v_cmp_ge_i32_e64 s7, v12, v10
	s_or_b32 s9, s7, s9
	s_andn2_b32 exec_lo, exec_lo, s9
	s_cbranch_execnz .LBB46_88
; %bb.89:
	s_or_b32 exec_lo, exec_lo, s9
.LBB46_90:
	s_or_b32 exec_lo, exec_lo, s8
	v_add_nc_u32_e32 v9, v8, v9
	v_lshl_add_u32 v13, v12, 2, v2
	v_add_nc_u32_e32 v14, v12, v22
	v_sub_nc_u32_e32 v9, v9, v12
                                        ; implicit-def: $vgpr12
	v_cmp_le_i32_e64 s7, v8, v14
	v_lshl_add_u32 v15, v9, 2, v4
	v_cmp_gt_i32_e64 s9, v11, v9
	ds_read_b32 v2, v13
	ds_read_b32 v10, v15
	s_waitcnt lgkmcnt(0)
	v_cmp_lt_i32_e64 s8, v10, v2
	s_or_b32 s7, s7, s8
	s_and_b32 s7, s9, s7
	s_xor_b32 s8, s7, -1
	s_and_saveexec_b32 s9, s8
	s_xor_b32 s8, exec_lo, s9
; %bb.91:
	ds_read_b32 v12, v13 offset:4
                                        ; implicit-def: $vgpr15
; %bb.92:
	s_or_saveexec_b32 s8, s8
	v_mov_b32_e32 v13, v10
	s_xor_b32 exec_lo, exec_lo, s8
	s_cbranch_execz .LBB46_94
; %bb.93:
	ds_read_b32 v13, v15 offset:4
	s_waitcnt lgkmcnt(1)
	v_mov_b32_e32 v12, v2
.LBB46_94:
	s_or_b32 exec_lo, exec_lo, s8
	v_add_nc_u32_e32 v15, 1, v14
	v_add_nc_u32_e32 v17, 1, v9
	s_waitcnt lgkmcnt(0)
	v_cmp_lt_i32_e64 s9, v13, v12
	v_cndmask_b32_e64 v16, v15, v14, s7
	v_cndmask_b32_e64 v9, v9, v17, s7
                                        ; implicit-def: $vgpr14
	v_cmp_ge_i32_e64 s8, v16, v8
	v_cmp_lt_i32_e64 s10, v9, v11
	s_or_b32 s8, s8, s9
	s_and_b32 s8, s10, s8
	s_xor_b32 s9, s8, -1
	s_and_saveexec_b32 s10, s9
	s_xor_b32 s9, exec_lo, s10
; %bb.95:
	v_lshl_add_u32 v14, v16, 2, v4
	ds_read_b32 v14, v14 offset:4
; %bb.96:
	s_or_saveexec_b32 s9, s9
	v_mov_b32_e32 v15, v13
	s_xor_b32 exec_lo, exec_lo, s9
	s_cbranch_execz .LBB46_98
; %bb.97:
	s_waitcnt lgkmcnt(0)
	v_lshl_add_u32 v14, v9, 2, v4
	ds_read_b32 v15, v14 offset:4
	v_mov_b32_e32 v14, v12
.LBB46_98:
	s_or_b32 exec_lo, exec_lo, s9
	v_add_nc_u32_e32 v17, 1, v16
	v_add_nc_u32_e32 v19, 1, v9
	s_waitcnt lgkmcnt(0)
	v_cmp_lt_i32_e64 s10, v15, v14
	v_cndmask_b32_e64 v18, v17, v16, s8
	v_cndmask_b32_e64 v9, v9, v19, s8
                                        ; implicit-def: $vgpr16
	v_cmp_ge_i32_e64 s9, v18, v8
	v_cmp_lt_i32_e64 s11, v9, v11
	s_or_b32 s9, s9, s10
	s_and_b32 s9, s11, s9
	s_xor_b32 s10, s9, -1
	s_and_saveexec_b32 s11, s10
	s_xor_b32 s10, exec_lo, s11
; %bb.99:
	v_lshl_add_u32 v16, v18, 2, v4
	ds_read_b32 v16, v16 offset:4
; %bb.100:
	s_or_saveexec_b32 s10, s10
	v_mov_b32_e32 v17, v15
	s_xor_b32 exec_lo, exec_lo, s10
	s_cbranch_execz .LBB46_102
; %bb.101:
	s_waitcnt lgkmcnt(0)
	v_lshl_add_u32 v16, v9, 2, v4
	ds_read_b32 v17, v16 offset:4
	v_mov_b32_e32 v16, v14
.LBB46_102:
	s_or_b32 exec_lo, exec_lo, s10
	v_add_nc_u32_e32 v19, 1, v18
	v_add_nc_u32_e32 v21, 1, v9
	s_waitcnt lgkmcnt(0)
	v_cmp_lt_i32_e64 s11, v17, v16
	v_cndmask_b32_e64 v20, v19, v18, s9
	v_cndmask_b32_e64 v9, v9, v21, s9
                                        ; implicit-def: $vgpr18
	v_cmp_ge_i32_e64 s10, v20, v8
	v_cmp_lt_i32_e64 s12, v9, v11
	s_or_b32 s10, s10, s11
	s_and_b32 s10, s12, s10
	s_xor_b32 s11, s10, -1
	s_and_saveexec_b32 s12, s11
	s_xor_b32 s11, exec_lo, s12
; %bb.103:
	v_lshl_add_u32 v18, v20, 2, v4
	ds_read_b32 v18, v18 offset:4
; %bb.104:
	s_or_saveexec_b32 s11, s11
	v_mov_b32_e32 v19, v17
	s_xor_b32 exec_lo, exec_lo, s11
	s_cbranch_execz .LBB46_106
; %bb.105:
	s_waitcnt lgkmcnt(0)
	v_lshl_add_u32 v18, v9, 2, v4
	ds_read_b32 v19, v18 offset:4
	v_mov_b32_e32 v18, v16
.LBB46_106:
	s_or_b32 exec_lo, exec_lo, s11
	v_add_nc_u32_e32 v21, 1, v20
	v_add_nc_u32_e32 v23, 1, v9
	s_waitcnt lgkmcnt(0)
	v_cmp_lt_i32_e64 s12, v19, v18
	v_cndmask_b32_e64 v22, v21, v20, s10
	v_cndmask_b32_e64 v9, v9, v23, s10
                                        ; implicit-def: $vgpr20
	v_cmp_ge_i32_e64 s11, v22, v8
	v_cmp_lt_i32_e64 s13, v9, v11
	s_or_b32 s11, s11, s12
	s_and_b32 s11, s13, s11
	s_xor_b32 s12, s11, -1
	s_and_saveexec_b32 s13, s12
	s_xor_b32 s12, exec_lo, s13
; %bb.107:
	v_lshl_add_u32 v20, v22, 2, v4
	ds_read_b32 v20, v20 offset:4
; %bb.108:
	s_or_saveexec_b32 s12, s12
	v_mov_b32_e32 v21, v19
	s_xor_b32 exec_lo, exec_lo, s12
	s_cbranch_execz .LBB46_110
; %bb.109:
	s_waitcnt lgkmcnt(0)
	v_lshl_add_u32 v20, v9, 2, v4
	ds_read_b32 v21, v20 offset:4
	v_mov_b32_e32 v20, v18
.LBB46_110:
	s_or_b32 exec_lo, exec_lo, s12
	v_add_nc_u32_e32 v23, 1, v22
	v_add_nc_u32_e32 v25, 1, v9
	s_waitcnt lgkmcnt(0)
	v_cmp_lt_i32_e64 s13, v21, v20
	v_cndmask_b32_e64 v24, v23, v22, s11
	v_cndmask_b32_e64 v22, v9, v25, s11
                                        ; implicit-def: $vgpr9
	v_cmp_ge_i32_e64 s12, v24, v8
	v_cmp_lt_i32_e64 s14, v22, v11
	s_or_b32 s12, s12, s13
	s_and_b32 s12, s14, s12
	s_xor_b32 s13, s12, -1
	s_and_saveexec_b32 s14, s13
	s_xor_b32 s13, exec_lo, s14
; %bb.111:
	v_lshl_add_u32 v9, v24, 2, v4
	ds_read_b32 v9, v9 offset:4
; %bb.112:
	s_or_saveexec_b32 s13, s13
	v_mov_b32_e32 v23, v21
	s_xor_b32 exec_lo, exec_lo, s13
	s_cbranch_execz .LBB46_114
; %bb.113:
	s_waitcnt lgkmcnt(0)
	v_lshl_add_u32 v9, v22, 2, v4
	ds_read_b32 v23, v9 offset:4
	v_mov_b32_e32 v9, v20
.LBB46_114:
	s_or_b32 exec_lo, exec_lo, s13
	v_add_nc_u32_e32 v25, 1, v24
	v_add_nc_u32_e32 v27, 1, v22
	s_waitcnt lgkmcnt(0)
	v_cmp_lt_i32_e64 s14, v23, v9
	v_cndmask_b32_e64 v26, v25, v24, s12
	v_cndmask_b32_e64 v25, v22, v27, s12
                                        ; implicit-def: $vgpr24
	v_cmp_ge_i32_e64 s13, v26, v8
	v_cmp_lt_i32_e64 s15, v25, v11
	s_or_b32 s13, s13, s14
	s_and_b32 s13, s15, s13
	s_xor_b32 s14, s13, -1
	s_and_saveexec_b32 s15, s14
	s_xor_b32 s14, exec_lo, s15
; %bb.115:
	v_lshl_add_u32 v22, v26, 2, v4
	ds_read_b32 v24, v22 offset:4
; %bb.116:
	s_or_saveexec_b32 s14, s14
	v_mov_b32_e32 v27, v23
	s_xor_b32 exec_lo, exec_lo, s14
	s_cbranch_execz .LBB46_118
; %bb.117:
	v_lshl_add_u32 v22, v25, 2, v4
	s_waitcnt lgkmcnt(0)
	v_mov_b32_e32 v24, v9
	ds_read_b32 v27, v22 offset:4
.LBB46_118:
	s_or_b32 exec_lo, exec_lo, s14
	v_and_b32_e32 v22, 0x80, v6
	v_cndmask_b32_e64 v23, v9, v23, s13
	v_add_nc_u32_e32 v30, 1, v26
	v_add_nc_u32_e32 v29, 1, v25
	v_cndmask_b32_e64 v14, v14, v15, s9
	v_min_i32_e32 v22, v5, v22
	v_cndmask_b32_e64 v13, v12, v13, s8
	v_cndmask_b32_e64 v12, v30, v26, s13
	;; [unrolled: 1-line block ×4, first 2 shown]
	v_add_nc_u32_e32 v28, 64, v22
	v_and_b32_e32 v2, 0x78, v6
	s_waitcnt lgkmcnt(0)
	v_cmp_lt_i32_e64 s7, v27, v24
	v_cmp_ge_i32_e64 s8, v12, v8
	v_cndmask_b32_e64 v20, v20, v21, s12
	v_min_i32_e32 v9, v5, v28
	v_min_i32_e32 v2, v5, v2
	v_cndmask_b32_e64 v18, v18, v19, s11
	s_or_b32 s7, s8, s7
	s_mov_b32 s8, exec_lo
	v_add_nc_u32_e32 v15, 64, v9
	v_sub_nc_u32_e32 v12, v9, v22
	; wave barrier
	ds_write2_b32 v7, v17, v13 offset1:1
	ds_write2_b32 v7, v14, v16 offset0:2 offset1:3
	ds_write2_b32 v7, v18, v20 offset0:4 offset1:5
	v_min_i32_e32 v10, v5, v15
	v_cndmask_b32_e64 v15, v25, v29, s13
	v_min_i32_e32 v12, v2, v12
	v_sub_nc_u32_e32 v8, v10, v9
	v_cmp_lt_i32_e64 s9, v15, v11
	v_sub_nc_u32_e32 v11, v2, v8
	s_and_b32 s7, s9, s7
	s_mov_b32 s9, 0
	v_cndmask_b32_e64 v15, v24, v27, s7
	v_cmp_ge_i32_e64 s7, v2, v8
	v_lshl_add_u32 v8, v22, 2, v4
	ds_write2_b32 v7, v23, v15 offset0:6 offset1:7
	v_cndmask_b32_e64 v11, 0, v11, s7
	; wave barrier
	v_cmpx_lt_i32_e64 v11, v12
	s_cbranch_execz .LBB46_122
; %bb.119:
	v_lshlrev_b32_e32 v13, 2, v9
	v_lshlrev_b32_e32 v14, 2, v2
	v_add3_u32 v13, v4, v13, v14
	.p2align	6
.LBB46_120:                             ; =>This Inner Loop Header: Depth=1
	v_sub_nc_u32_e32 v14, v12, v11
	v_lshrrev_b32_e32 v14, 1, v14
	v_add_nc_u32_e32 v14, v14, v11
	v_not_b32_e32 v15, v14
	v_lshl_add_u32 v16, v14, 2, v8
	v_add_nc_u32_e32 v17, 1, v14
	v_lshl_add_u32 v15, v15, 2, v13
	ds_read_b32 v16, v16
	ds_read_b32 v15, v15
	s_waitcnt lgkmcnt(0)
	v_cmp_lt_i32_e64 s7, v15, v16
	v_cndmask_b32_e64 v12, v12, v14, s7
	v_cndmask_b32_e64 v11, v17, v11, s7
	v_cmp_ge_i32_e64 s7, v11, v12
	s_or_b32 s9, s7, s9
	s_andn2_b32 exec_lo, exec_lo, s9
	s_cbranch_execnz .LBB46_120
; %bb.121:
	s_or_b32 exec_lo, exec_lo, s9
.LBB46_122:
	s_or_b32 exec_lo, exec_lo, s8
	v_add_nc_u32_e32 v2, v9, v2
	v_lshl_add_u32 v14, v11, 2, v8
                                        ; implicit-def: $vgpr13
	v_sub_nc_u32_e32 v2, v2, v11
	v_add_nc_u32_e32 v11, v11, v22
	v_lshl_add_u32 v15, v2, 2, v4
	v_cmp_le_i32_e64 s7, v9, v11
	v_cmp_gt_i32_e64 s9, v10, v2
	ds_read_b32 v8, v14
	ds_read_b32 v12, v15
	s_waitcnt lgkmcnt(0)
	v_cmp_lt_i32_e64 s8, v12, v8
	s_or_b32 s7, s7, s8
	s_and_b32 s7, s9, s7
	s_xor_b32 s8, s7, -1
	s_and_saveexec_b32 s9, s8
	s_xor_b32 s8, exec_lo, s9
; %bb.123:
	ds_read_b32 v13, v14 offset:4
                                        ; implicit-def: $vgpr15
; %bb.124:
	s_or_saveexec_b32 s8, s8
	v_mov_b32_e32 v14, v12
	s_xor_b32 exec_lo, exec_lo, s8
	s_cbranch_execz .LBB46_126
; %bb.125:
	ds_read_b32 v14, v15 offset:4
	s_waitcnt lgkmcnt(1)
	v_mov_b32_e32 v13, v8
.LBB46_126:
	s_or_b32 exec_lo, exec_lo, s8
	v_add_nc_u32_e32 v15, 1, v11
	v_add_nc_u32_e32 v16, 1, v2
	s_waitcnt lgkmcnt(0)
	v_cmp_lt_i32_e64 s9, v14, v13
	v_cndmask_b32_e64 v11, v15, v11, s7
	v_cndmask_b32_e64 v2, v2, v16, s7
                                        ; implicit-def: $vgpr15
	v_cmp_ge_i32_e64 s8, v11, v9
	v_cmp_lt_i32_e64 s10, v2, v10
	s_or_b32 s8, s8, s9
	s_and_b32 s8, s10, s8
	s_xor_b32 s9, s8, -1
	s_and_saveexec_b32 s10, s9
	s_xor_b32 s9, exec_lo, s10
; %bb.127:
	v_lshl_add_u32 v15, v11, 2, v4
	ds_read_b32 v15, v15 offset:4
; %bb.128:
	s_or_saveexec_b32 s9, s9
	v_mov_b32_e32 v16, v14
	s_xor_b32 exec_lo, exec_lo, s9
	s_cbranch_execz .LBB46_130
; %bb.129:
	s_waitcnt lgkmcnt(0)
	v_lshl_add_u32 v15, v2, 2, v4
	ds_read_b32 v16, v15 offset:4
	v_mov_b32_e32 v15, v13
.LBB46_130:
	s_or_b32 exec_lo, exec_lo, s9
	v_add_nc_u32_e32 v17, 1, v11
	v_add_nc_u32_e32 v18, 1, v2
	s_waitcnt lgkmcnt(0)
	v_cmp_lt_i32_e64 s10, v16, v15
	v_cndmask_b32_e64 v11, v17, v11, s8
	v_cndmask_b32_e64 v2, v2, v18, s8
                                        ; implicit-def: $vgpr17
	v_cmp_ge_i32_e64 s9, v11, v9
	v_cmp_lt_i32_e64 s11, v2, v10
	s_or_b32 s9, s9, s10
	s_and_b32 s9, s11, s9
	s_xor_b32 s10, s9, -1
	s_and_saveexec_b32 s11, s10
	s_xor_b32 s10, exec_lo, s11
; %bb.131:
	v_lshl_add_u32 v17, v11, 2, v4
	ds_read_b32 v17, v17 offset:4
; %bb.132:
	s_or_saveexec_b32 s10, s10
	v_mov_b32_e32 v18, v16
	s_xor_b32 exec_lo, exec_lo, s10
	s_cbranch_execz .LBB46_134
; %bb.133:
	s_waitcnt lgkmcnt(0)
	v_lshl_add_u32 v17, v2, 2, v4
	ds_read_b32 v18, v17 offset:4
	v_mov_b32_e32 v17, v15
.LBB46_134:
	s_or_b32 exec_lo, exec_lo, s10
	v_add_nc_u32_e32 v19, 1, v11
	v_add_nc_u32_e32 v20, 1, v2
	s_waitcnt lgkmcnt(0)
	v_cmp_lt_i32_e64 s11, v18, v17
	v_cndmask_b32_e64 v11, v19, v11, s9
	v_cndmask_b32_e64 v2, v2, v20, s9
                                        ; implicit-def: $vgpr19
	v_cmp_ge_i32_e64 s10, v11, v9
	v_cmp_lt_i32_e64 s12, v2, v10
	s_or_b32 s10, s10, s11
	s_and_b32 s10, s12, s10
	s_xor_b32 s11, s10, -1
	s_and_saveexec_b32 s12, s11
	s_xor_b32 s11, exec_lo, s12
; %bb.135:
	v_lshl_add_u32 v19, v11, 2, v4
	ds_read_b32 v19, v19 offset:4
; %bb.136:
	s_or_saveexec_b32 s11, s11
	v_mov_b32_e32 v20, v18
	s_xor_b32 exec_lo, exec_lo, s11
	s_cbranch_execz .LBB46_138
; %bb.137:
	s_waitcnt lgkmcnt(0)
	v_lshl_add_u32 v19, v2, 2, v4
	ds_read_b32 v20, v19 offset:4
	v_mov_b32_e32 v19, v17
.LBB46_138:
	s_or_b32 exec_lo, exec_lo, s11
	v_add_nc_u32_e32 v21, 1, v11
	v_add_nc_u32_e32 v22, 1, v2
	s_waitcnt lgkmcnt(0)
	v_cmp_lt_i32_e64 s12, v20, v19
	v_cndmask_b32_e64 v11, v21, v11, s10
	v_cndmask_b32_e64 v2, v2, v22, s10
                                        ; implicit-def: $vgpr21
	v_cmp_ge_i32_e64 s11, v11, v9
	v_cmp_lt_i32_e64 s13, v2, v10
	s_or_b32 s11, s11, s12
	s_and_b32 s11, s13, s11
	s_xor_b32 s12, s11, -1
	s_and_saveexec_b32 s13, s12
	s_xor_b32 s12, exec_lo, s13
; %bb.139:
	v_lshl_add_u32 v21, v11, 2, v4
	ds_read_b32 v21, v21 offset:4
; %bb.140:
	s_or_saveexec_b32 s12, s12
	v_mov_b32_e32 v22, v20
	s_xor_b32 exec_lo, exec_lo, s12
	s_cbranch_execz .LBB46_142
; %bb.141:
	s_waitcnt lgkmcnt(0)
	v_lshl_add_u32 v21, v2, 2, v4
	ds_read_b32 v22, v21 offset:4
	v_mov_b32_e32 v21, v19
.LBB46_142:
	s_or_b32 exec_lo, exec_lo, s12
	v_add_nc_u32_e32 v23, 1, v11
	v_add_nc_u32_e32 v25, 1, v2
	s_waitcnt lgkmcnt(0)
	v_cmp_lt_i32_e64 s13, v22, v21
	v_cndmask_b32_e64 v24, v23, v11, s11
	v_cndmask_b32_e64 v2, v2, v25, s11
                                        ; implicit-def: $vgpr11
	v_cmp_ge_i32_e64 s12, v24, v9
	v_cmp_lt_i32_e64 s14, v2, v10
	s_or_b32 s12, s12, s13
	s_and_b32 s12, s14, s12
	s_xor_b32 s13, s12, -1
	s_and_saveexec_b32 s14, s13
	s_xor_b32 s13, exec_lo, s14
; %bb.143:
	v_lshl_add_u32 v11, v24, 2, v4
	ds_read_b32 v11, v11 offset:4
; %bb.144:
	s_or_saveexec_b32 s13, s13
	v_mov_b32_e32 v23, v22
	s_xor_b32 exec_lo, exec_lo, s13
	s_cbranch_execz .LBB46_146
; %bb.145:
	s_waitcnt lgkmcnt(0)
	v_lshl_add_u32 v11, v2, 2, v4
	ds_read_b32 v23, v11 offset:4
	v_mov_b32_e32 v11, v21
.LBB46_146:
	s_or_b32 exec_lo, exec_lo, s13
	v_add_nc_u32_e32 v25, 1, v24
	v_add_nc_u32_e32 v27, 1, v2
	s_waitcnt lgkmcnt(0)
	v_cmp_lt_i32_e64 s14, v23, v11
	v_cndmask_b32_e64 v26, v25, v24, s12
	v_cndmask_b32_e64 v25, v2, v27, s12
                                        ; implicit-def: $vgpr24
	v_cmp_ge_i32_e64 s13, v26, v9
	v_cmp_lt_i32_e64 s15, v25, v10
	s_or_b32 s13, s13, s14
	s_and_b32 s13, s15, s13
	s_xor_b32 s14, s13, -1
	s_and_saveexec_b32 s15, s14
	s_xor_b32 s14, exec_lo, s15
; %bb.147:
	v_lshl_add_u32 v2, v26, 2, v4
	ds_read_b32 v24, v2 offset:4
; %bb.148:
	s_or_saveexec_b32 s14, s14
	v_mov_b32_e32 v27, v23
	s_xor_b32 exec_lo, exec_lo, s14
	s_cbranch_execz .LBB46_150
; %bb.149:
	v_lshl_add_u32 v2, v25, 2, v4
	s_waitcnt lgkmcnt(0)
	v_mov_b32_e32 v24, v11
	ds_read_b32 v27, v2 offset:4
.LBB46_150:
	s_or_b32 exec_lo, exec_lo, s14
	v_min_i32_e32 v2, 0, v5
	v_cndmask_b32_e64 v23, v11, v23, s13
	v_add_nc_u32_e32 v30, 1, v26
	v_add_nc_u32_e32 v29, 1, v25
	v_cndmask_b32_e64 v15, v15, v16, s9
	v_add_nc_u32_e32 v28, 0x80, v2
	v_cndmask_b32_e64 v13, v13, v14, s8
	v_cndmask_b32_e64 v14, v8, v12, s7
	;; [unrolled: 1-line block ×3, first 2 shown]
	v_and_b32_e32 v6, 0xf8, v6
	v_min_i32_e32 v11, v5, v28
	s_waitcnt lgkmcnt(0)
	v_cmp_lt_i32_e64 s7, v27, v24
	v_cndmask_b32_e64 v17, v17, v18, s10
	v_cmp_ge_i32_e64 s8, v8, v9
	v_min_i32_e32 v6, v5, v6
	v_add_nc_u32_e32 v16, 0x80, v11
	v_cndmask_b32_e64 v21, v21, v22, s12
	v_cndmask_b32_e64 v19, v19, v20, s11
	s_or_b32 s7, s8, s7
	s_mov_b32 s8, exec_lo
	v_min_i32_e32 v12, v5, v16
	v_cndmask_b32_e64 v16, v25, v29, s13
	; wave barrier
	ds_write2_b32 v7, v14, v13 offset1:1
	ds_write2_b32 v7, v15, v17 offset0:2 offset1:3
	ds_write2_b32 v7, v19, v21 offset0:4 offset1:5
	v_sub_nc_u32_e32 v8, v12, v11
	v_cmp_lt_i32_e64 s9, v16, v10
	v_sub_nc_u32_e32 v10, v11, v2
	v_sub_nc_u32_e32 v9, v6, v8
	s_and_b32 s7, s9, s7
	v_min_i32_e32 v10, v6, v10
	v_cndmask_b32_e64 v16, v24, v27, s7
	v_cmp_ge_i32_e64 s7, v6, v8
	s_mov_b32 s9, 0
	ds_write2_b32 v7, v23, v16 offset0:6 offset1:7
	v_cndmask_b32_e64 v8, 0, v9, s7
	v_lshl_add_u32 v9, v2, 2, v4
	; wave barrier
	v_cmpx_lt_i32_e64 v8, v10
	s_cbranch_execz .LBB46_154
; %bb.151:
	v_lshlrev_b32_e32 v13, 2, v11
	v_lshlrev_b32_e32 v14, 2, v6
	v_add3_u32 v13, v4, v13, v14
	.p2align	6
.LBB46_152:                             ; =>This Inner Loop Header: Depth=1
	v_sub_nc_u32_e32 v14, v10, v8
	v_lshrrev_b32_e32 v14, 1, v14
	v_add_nc_u32_e32 v14, v14, v8
	v_not_b32_e32 v15, v14
	v_lshl_add_u32 v16, v14, 2, v9
	v_add_nc_u32_e32 v17, 1, v14
	v_lshl_add_u32 v15, v15, 2, v13
	ds_read_b32 v16, v16
	ds_read_b32 v15, v15
	s_waitcnt lgkmcnt(0)
	v_cmp_lt_i32_e64 s7, v15, v16
	v_cndmask_b32_e64 v10, v10, v14, s7
	v_cndmask_b32_e64 v8, v17, v8, s7
	v_cmp_ge_i32_e64 s7, v8, v10
	s_or_b32 s9, s7, s9
	s_andn2_b32 exec_lo, exec_lo, s9
	s_cbranch_execnz .LBB46_152
; %bb.153:
	s_or_b32 exec_lo, exec_lo, s9
.LBB46_154:
	s_or_b32 exec_lo, exec_lo, s8
	v_add_nc_u32_e32 v10, v11, v6
	v_lshl_add_u32 v15, v8, 2, v9
                                        ; implicit-def: $vgpr14
	v_sub_nc_u32_e32 v16, v10, v8
	v_add_nc_u32_e32 v8, v8, v2
	v_lshl_add_u32 v17, v16, 2, v4
	v_cmp_le_i32_e64 s7, v11, v8
	v_cmp_gt_i32_e64 s9, v12, v16
	ds_read_b32 v10, v15
	ds_read_b32 v13, v17
	s_waitcnt lgkmcnt(0)
	v_cmp_lt_i32_e64 s8, v13, v10
	s_or_b32 s7, s7, s8
	s_and_b32 s7, s9, s7
	s_xor_b32 s8, s7, -1
	s_and_saveexec_b32 s9, s8
	s_xor_b32 s8, exec_lo, s9
; %bb.155:
	ds_read_b32 v14, v15 offset:4
                                        ; implicit-def: $vgpr17
; %bb.156:
	s_or_saveexec_b32 s8, s8
	v_mov_b32_e32 v15, v13
	s_xor_b32 exec_lo, exec_lo, s8
	s_cbranch_execz .LBB46_158
; %bb.157:
	ds_read_b32 v15, v17 offset:4
	s_waitcnt lgkmcnt(1)
	v_mov_b32_e32 v14, v10
.LBB46_158:
	s_or_b32 exec_lo, exec_lo, s8
	v_add_nc_u32_e32 v17, 1, v8
	v_add_nc_u32_e32 v19, 1, v16
	s_waitcnt lgkmcnt(0)
	v_cmp_lt_i32_e64 s9, v15, v14
	v_cndmask_b32_e64 v18, v17, v8, s7
	v_cndmask_b32_e64 v8, v16, v19, s7
                                        ; implicit-def: $vgpr16
	v_cmp_ge_i32_e64 s8, v18, v11
	v_cmp_lt_i32_e64 s10, v8, v12
	s_or_b32 s8, s8, s9
	s_and_b32 s8, s10, s8
	s_xor_b32 s9, s8, -1
	s_and_saveexec_b32 s10, s9
	s_xor_b32 s9, exec_lo, s10
; %bb.159:
	v_lshl_add_u32 v16, v18, 2, v4
	ds_read_b32 v16, v16 offset:4
; %bb.160:
	s_or_saveexec_b32 s9, s9
	v_mov_b32_e32 v17, v15
	s_xor_b32 exec_lo, exec_lo, s9
	s_cbranch_execz .LBB46_162
; %bb.161:
	s_waitcnt lgkmcnt(0)
	v_lshl_add_u32 v16, v8, 2, v4
	ds_read_b32 v17, v16 offset:4
	v_mov_b32_e32 v16, v14
.LBB46_162:
	s_or_b32 exec_lo, exec_lo, s9
	v_add_nc_u32_e32 v19, 1, v18
	v_add_nc_u32_e32 v21, 1, v8
	s_waitcnt lgkmcnt(0)
	v_cmp_lt_i32_e64 s10, v17, v16
	v_cndmask_b32_e64 v20, v19, v18, s8
	v_cndmask_b32_e64 v8, v8, v21, s8
                                        ; implicit-def: $vgpr18
	v_cmp_ge_i32_e64 s9, v20, v11
	v_cmp_lt_i32_e64 s11, v8, v12
	s_or_b32 s9, s9, s10
	s_and_b32 s9, s11, s9
	s_xor_b32 s10, s9, -1
	s_and_saveexec_b32 s11, s10
	s_xor_b32 s10, exec_lo, s11
; %bb.163:
	v_lshl_add_u32 v18, v20, 2, v4
	ds_read_b32 v18, v18 offset:4
; %bb.164:
	s_or_saveexec_b32 s10, s10
	v_mov_b32_e32 v19, v17
	s_xor_b32 exec_lo, exec_lo, s10
	s_cbranch_execz .LBB46_166
; %bb.165:
	s_waitcnt lgkmcnt(0)
	v_lshl_add_u32 v18, v8, 2, v4
	ds_read_b32 v19, v18 offset:4
	v_mov_b32_e32 v18, v16
.LBB46_166:
	s_or_b32 exec_lo, exec_lo, s10
	v_add_nc_u32_e32 v21, 1, v20
	v_add_nc_u32_e32 v23, 1, v8
	s_waitcnt lgkmcnt(0)
	v_cmp_lt_i32_e64 s11, v19, v18
	v_cndmask_b32_e64 v22, v21, v20, s9
	v_cndmask_b32_e64 v8, v8, v23, s9
                                        ; implicit-def: $vgpr20
	v_cmp_ge_i32_e64 s10, v22, v11
	v_cmp_lt_i32_e64 s12, v8, v12
	s_or_b32 s10, s10, s11
	s_and_b32 s10, s12, s10
	s_xor_b32 s11, s10, -1
	s_and_saveexec_b32 s12, s11
	s_xor_b32 s11, exec_lo, s12
; %bb.167:
	v_lshl_add_u32 v20, v22, 2, v4
	ds_read_b32 v20, v20 offset:4
; %bb.168:
	s_or_saveexec_b32 s11, s11
	v_mov_b32_e32 v21, v19
	s_xor_b32 exec_lo, exec_lo, s11
	s_cbranch_execz .LBB46_170
; %bb.169:
	s_waitcnt lgkmcnt(0)
	v_lshl_add_u32 v20, v8, 2, v4
	ds_read_b32 v21, v20 offset:4
	v_mov_b32_e32 v20, v18
.LBB46_170:
	s_or_b32 exec_lo, exec_lo, s11
	v_add_nc_u32_e32 v23, 1, v22
	v_add_nc_u32_e32 v25, 1, v8
	s_waitcnt lgkmcnt(0)
	v_cmp_lt_i32_e64 s12, v21, v20
	v_cndmask_b32_e64 v24, v23, v22, s10
	v_cndmask_b32_e64 v8, v8, v25, s10
                                        ; implicit-def: $vgpr22
	v_cmp_ge_i32_e64 s11, v24, v11
	v_cmp_lt_i32_e64 s13, v8, v12
	s_or_b32 s11, s11, s12
	s_and_b32 s11, s13, s11
	s_xor_b32 s12, s11, -1
	s_and_saveexec_b32 s13, s12
	s_xor_b32 s12, exec_lo, s13
; %bb.171:
	v_lshl_add_u32 v22, v24, 2, v4
	ds_read_b32 v22, v22 offset:4
; %bb.172:
	s_or_saveexec_b32 s12, s12
	v_mov_b32_e32 v23, v21
	s_xor_b32 exec_lo, exec_lo, s12
	s_cbranch_execz .LBB46_174
; %bb.173:
	s_waitcnt lgkmcnt(0)
	v_lshl_add_u32 v22, v8, 2, v4
	ds_read_b32 v23, v22 offset:4
	v_mov_b32_e32 v22, v20
.LBB46_174:
	s_or_b32 exec_lo, exec_lo, s12
	v_add_nc_u32_e32 v25, 1, v24
	v_add_nc_u32_e32 v27, 1, v8
	s_waitcnt lgkmcnt(0)
	v_cmp_lt_i32_e64 s13, v23, v22
	v_cndmask_b32_e64 v26, v25, v24, s11
	v_cndmask_b32_e64 v8, v8, v27, s11
                                        ; implicit-def: $vgpr24
	v_cmp_ge_i32_e64 s12, v26, v11
	v_cmp_lt_i32_e64 s14, v8, v12
	s_or_b32 s12, s12, s13
	s_and_b32 s12, s14, s12
	s_xor_b32 s13, s12, -1
	s_and_saveexec_b32 s14, s13
	s_xor_b32 s13, exec_lo, s14
; %bb.175:
	v_lshl_add_u32 v24, v26, 2, v4
	ds_read_b32 v24, v24 offset:4
; %bb.176:
	s_or_saveexec_b32 s13, s13
	v_mov_b32_e32 v25, v23
	s_xor_b32 exec_lo, exec_lo, s13
	s_cbranch_execz .LBB46_178
; %bb.177:
	s_waitcnt lgkmcnt(0)
	v_lshl_add_u32 v24, v8, 2, v4
	ds_read_b32 v25, v24 offset:4
	v_mov_b32_e32 v24, v22
.LBB46_178:
	s_or_b32 exec_lo, exec_lo, s13
	v_add_nc_u32_e32 v27, 1, v26
	v_add_nc_u32_e32 v29, 1, v8
	s_waitcnt lgkmcnt(0)
	v_cmp_lt_i32_e64 s14, v25, v24
	v_cndmask_b32_e64 v28, v27, v26, s12
	v_cndmask_b32_e64 v26, v8, v29, s12
                                        ; implicit-def: $vgpr27
	v_cmp_ge_i32_e64 s13, v28, v11
	v_cmp_lt_i32_e64 s15, v26, v12
	s_or_b32 s13, s13, s14
	s_and_b32 s13, s15, s13
	s_xor_b32 s14, s13, -1
	s_and_saveexec_b32 s15, s14
	s_xor_b32 s14, exec_lo, s15
; %bb.179:
	v_lshl_add_u32 v8, v28, 2, v4
	ds_read_b32 v27, v8 offset:4
; %bb.180:
	s_or_saveexec_b32 s14, s14
	v_mov_b32_e32 v29, v25
	s_xor_b32 exec_lo, exec_lo, s14
	s_cbranch_execz .LBB46_182
; %bb.181:
	v_lshl_add_u32 v8, v26, 2, v4
	s_waitcnt lgkmcnt(0)
	v_mov_b32_e32 v27, v24
	ds_read_b32 v29, v8 offset:4
.LBB46_182:
	s_or_b32 exec_lo, exec_lo, s14
	v_add_nc_u32_e32 v8, 0x100, v2
	v_add_nc_u32_e32 v30, 1, v28
	v_cndmask_b32_e64 v24, v24, v25, s13
	v_add_nc_u32_e32 v25, 1, v26
	v_cndmask_b32_e64 v22, v22, v23, s12
	v_min_i32_e32 v8, v5, v8
	v_cndmask_b32_e64 v16, v16, v17, s9
	v_cndmask_b32_e64 v17, v30, v28, s13
	;; [unrolled: 1-line block ×4, first 2 shown]
	v_add_nc_u32_e32 v23, 0x100, v8
	s_waitcnt lgkmcnt(0)
	v_cmp_lt_i32_e64 s8, v29, v27
	v_cmp_ge_i32_e64 s9, v17, v11
	v_cndmask_b32_e64 v13, v10, v13, s7
	v_cmp_lt_i32_e64 s7, v15, v12
	v_min_i32_e32 v5, v5, v23
	v_sub_nc_u32_e32 v12, v8, v2
	s_or_b32 s8, s9, s8
	v_cndmask_b32_e64 v18, v18, v19, s10
	s_and_b32 s7, s7, s8
	v_sub_nc_u32_e32 v11, v5, v8
	v_cndmask_b32_e64 v15, v27, v29, s7
	v_cndmask_b32_e64 v20, v20, v21, s11
	s_mov_b32 s9, 0
	s_mov_b32 s8, exec_lo
	v_sub_nc_u32_e32 v10, v6, v11
	v_cmp_ge_i32_e64 s7, v6, v11
	v_min_i32_e32 v11, v6, v12
	; wave barrier
	ds_write2_b32 v7, v13, v14 offset1:1
	ds_write2_b32 v7, v16, v18 offset0:2 offset1:3
	ds_write2_b32 v7, v20, v22 offset0:4 offset1:5
	;; [unrolled: 1-line block ×3, first 2 shown]
	v_cndmask_b32_e64 v10, 0, v10, s7
	; wave barrier
	v_cmpx_lt_i32_e64 v10, v11
	s_cbranch_execz .LBB46_186
; %bb.183:
	v_lshlrev_b32_e32 v7, 2, v8
	v_lshlrev_b32_e32 v12, 2, v6
	v_add3_u32 v7, v4, v7, v12
	.p2align	6
.LBB46_184:                             ; =>This Inner Loop Header: Depth=1
	v_sub_nc_u32_e32 v12, v11, v10
	v_lshrrev_b32_e32 v12, 1, v12
	v_add_nc_u32_e32 v12, v12, v10
	v_not_b32_e32 v13, v12
	v_lshl_add_u32 v14, v12, 2, v9
	v_add_nc_u32_e32 v15, 1, v12
	v_lshl_add_u32 v13, v13, 2, v7
	ds_read_b32 v14, v14
	ds_read_b32 v13, v13
	s_waitcnt lgkmcnt(0)
	v_cmp_lt_i32_e64 s7, v13, v14
	v_cndmask_b32_e64 v11, v11, v12, s7
	v_cndmask_b32_e64 v10, v15, v10, s7
	v_cmp_ge_i32_e64 s7, v10, v11
	s_or_b32 s9, s7, s9
	s_andn2_b32 exec_lo, exec_lo, s9
	s_cbranch_execnz .LBB46_184
; %bb.185:
	s_or_b32 exec_lo, exec_lo, s9
.LBB46_186:
	s_or_b32 exec_lo, exec_lo, s8
	v_add_nc_u32_e32 v6, v8, v6
	v_lshl_add_u32 v9, v10, 2, v9
	v_sub_nc_u32_e32 v11, v6, v10
	v_add_nc_u32_e32 v10, v10, v2
                                        ; implicit-def: $vgpr2
	v_lshl_add_u32 v12, v11, 2, v4
	v_cmp_le_i32_e64 s7, v8, v10
	v_cmp_gt_i32_e64 s9, v5, v11
	ds_read_b32 v6, v9
	ds_read_b32 v7, v12
	s_waitcnt lgkmcnt(0)
	v_cmp_lt_i32_e64 s8, v7, v6
	s_or_b32 s7, s7, s8
	s_and_b32 s7, s9, s7
	s_xor_b32 s8, s7, -1
	s_and_saveexec_b32 s9, s8
	s_xor_b32 s8, exec_lo, s9
; %bb.187:
	ds_read_b32 v2, v9 offset:4
                                        ; implicit-def: $vgpr12
; %bb.188:
	s_or_saveexec_b32 s8, s8
	v_mov_b32_e32 v9, v7
	s_xor_b32 exec_lo, exec_lo, s8
	s_cbranch_execz .LBB46_190
; %bb.189:
	ds_read_b32 v9, v12 offset:4
	s_waitcnt lgkmcnt(1)
	v_mov_b32_e32 v2, v6
.LBB46_190:
	s_or_b32 exec_lo, exec_lo, s8
	v_add_nc_u32_e32 v12, 1, v10
	v_add_nc_u32_e32 v14, 1, v11
	s_waitcnt lgkmcnt(0)
	v_cmp_lt_i32_e64 s9, v9, v2
	v_cndmask_b32_e64 v13, v12, v10, s7
	v_cndmask_b32_e64 v12, v11, v14, s7
                                        ; implicit-def: $vgpr10
	v_cmp_ge_i32_e64 s8, v13, v8
	v_cmp_lt_i32_e64 s10, v12, v5
	s_or_b32 s8, s8, s9
	s_and_b32 s8, s10, s8
	s_xor_b32 s9, s8, -1
	s_and_saveexec_b32 s10, s9
	s_xor_b32 s9, exec_lo, s10
; %bb.191:
	v_lshl_add_u32 v10, v13, 2, v4
	ds_read_b32 v10, v10 offset:4
; %bb.192:
	s_or_saveexec_b32 s9, s9
	v_mov_b32_e32 v11, v9
	s_xor_b32 exec_lo, exec_lo, s9
	s_cbranch_execz .LBB46_194
; %bb.193:
	s_waitcnt lgkmcnt(0)
	v_lshl_add_u32 v10, v12, 2, v4
	ds_read_b32 v11, v10 offset:4
	v_mov_b32_e32 v10, v2
.LBB46_194:
	s_or_b32 exec_lo, exec_lo, s9
	v_add_nc_u32_e32 v14, 1, v13
	v_add_nc_u32_e32 v16, 1, v12
	s_waitcnt lgkmcnt(0)
	v_cmp_lt_i32_e64 s10, v11, v10
	v_cndmask_b32_e64 v15, v14, v13, s8
	v_cndmask_b32_e64 v14, v12, v16, s8
                                        ; implicit-def: $vgpr12
	v_cmp_ge_i32_e64 s9, v15, v8
	v_cmp_lt_i32_e64 s11, v14, v5
	s_or_b32 s9, s9, s10
	s_and_b32 s9, s11, s9
	s_xor_b32 s10, s9, -1
	s_and_saveexec_b32 s11, s10
	s_xor_b32 s10, exec_lo, s11
; %bb.195:
	v_lshl_add_u32 v12, v15, 2, v4
	ds_read_b32 v12, v12 offset:4
; %bb.196:
	s_or_saveexec_b32 s10, s10
	v_mov_b32_e32 v13, v11
	s_xor_b32 exec_lo, exec_lo, s10
	s_cbranch_execz .LBB46_198
; %bb.197:
	s_waitcnt lgkmcnt(0)
	v_lshl_add_u32 v12, v14, 2, v4
	ds_read_b32 v13, v12 offset:4
	v_mov_b32_e32 v12, v10
.LBB46_198:
	s_or_b32 exec_lo, exec_lo, s10
	v_add_nc_u32_e32 v16, 1, v15
	v_add_nc_u32_e32 v18, 1, v14
	s_waitcnt lgkmcnt(0)
	v_cmp_lt_i32_e64 s11, v13, v12
	v_cndmask_b32_e64 v17, v16, v15, s9
	v_cndmask_b32_e64 v16, v14, v18, s9
                                        ; implicit-def: $vgpr14
	v_cmp_ge_i32_e64 s10, v17, v8
	v_cmp_lt_i32_e64 s12, v16, v5
	s_or_b32 s10, s10, s11
	s_and_b32 s10, s12, s10
	s_xor_b32 s11, s10, -1
	s_and_saveexec_b32 s12, s11
	s_xor_b32 s11, exec_lo, s12
; %bb.199:
	v_lshl_add_u32 v14, v17, 2, v4
	ds_read_b32 v14, v14 offset:4
; %bb.200:
	s_or_saveexec_b32 s11, s11
	v_mov_b32_e32 v15, v13
	s_xor_b32 exec_lo, exec_lo, s11
	s_cbranch_execz .LBB46_202
; %bb.201:
	s_waitcnt lgkmcnt(0)
	v_lshl_add_u32 v14, v16, 2, v4
	ds_read_b32 v15, v14 offset:4
	v_mov_b32_e32 v14, v12
.LBB46_202:
	s_or_b32 exec_lo, exec_lo, s11
	v_add_nc_u32_e32 v18, 1, v17
	v_add_nc_u32_e32 v20, 1, v16
	s_waitcnt lgkmcnt(0)
	v_cmp_lt_i32_e64 s12, v15, v14
	v_cndmask_b32_e64 v19, v18, v17, s10
	v_cndmask_b32_e64 v18, v16, v20, s10
                                        ; implicit-def: $vgpr16
	v_cmp_ge_i32_e64 s11, v19, v8
	v_cmp_lt_i32_e64 s13, v18, v5
	s_or_b32 s11, s11, s12
	s_and_b32 s11, s13, s11
	s_xor_b32 s12, s11, -1
	s_and_saveexec_b32 s13, s12
	s_xor_b32 s12, exec_lo, s13
; %bb.203:
	v_lshl_add_u32 v16, v19, 2, v4
	ds_read_b32 v16, v16 offset:4
; %bb.204:
	s_or_saveexec_b32 s12, s12
	v_mov_b32_e32 v17, v15
	s_xor_b32 exec_lo, exec_lo, s12
	s_cbranch_execz .LBB46_206
; %bb.205:
	s_waitcnt lgkmcnt(0)
	v_lshl_add_u32 v16, v18, 2, v4
	ds_read_b32 v17, v16 offset:4
	v_mov_b32_e32 v16, v14
.LBB46_206:
	s_or_b32 exec_lo, exec_lo, s12
	v_add_nc_u32_e32 v20, 1, v19
	v_add_nc_u32_e32 v22, 1, v18
	s_waitcnt lgkmcnt(0)
	v_cmp_lt_i32_e64 s13, v17, v16
	v_cndmask_b32_e64 v21, v20, v19, s11
	v_cndmask_b32_e64 v20, v18, v22, s11
                                        ; implicit-def: $vgpr18
	v_cmp_ge_i32_e64 s12, v21, v8
	v_cmp_lt_i32_e64 s14, v20, v5
	s_or_b32 s12, s12, s13
	s_and_b32 s12, s14, s12
	s_xor_b32 s13, s12, -1
	s_and_saveexec_b32 s14, s13
	s_xor_b32 s13, exec_lo, s14
; %bb.207:
	v_lshl_add_u32 v18, v21, 2, v4
	ds_read_b32 v18, v18 offset:4
; %bb.208:
	s_or_saveexec_b32 s13, s13
	v_mov_b32_e32 v19, v17
	s_xor_b32 exec_lo, exec_lo, s13
	s_cbranch_execz .LBB46_210
; %bb.209:
	s_waitcnt lgkmcnt(0)
	v_lshl_add_u32 v18, v20, 2, v4
	ds_read_b32 v19, v18 offset:4
	v_mov_b32_e32 v18, v16
.LBB46_210:
	s_or_b32 exec_lo, exec_lo, s13
	v_add_nc_u32_e32 v22, 1, v21
	v_add_nc_u32_e32 v23, 1, v20
	s_waitcnt lgkmcnt(0)
	v_cmp_lt_i32_e64 s14, v19, v18
	v_cndmask_b32_e64 v24, v22, v21, s12
	v_cndmask_b32_e64 v20, v20, v23, s12
                                        ; implicit-def: $vgpr21
                                        ; implicit-def: $vgpr22
	v_cmp_ge_i32_e64 s13, v24, v8
	v_cmp_lt_i32_e64 s15, v20, v5
	s_or_b32 s13, s13, s14
	s_and_b32 s13, s15, s13
	s_xor_b32 s14, s13, -1
	s_and_saveexec_b32 s15, s14
	s_xor_b32 s14, exec_lo, s15
; %bb.211:
	v_lshl_add_u32 v4, v24, 2, v4
	v_add_nc_u32_e32 v22, 1, v24
                                        ; implicit-def: $vgpr24
	ds_read_b32 v21, v4 offset:4
                                        ; implicit-def: $vgpr4
; %bb.212:
	s_or_saveexec_b32 s14, s14
	v_mov_b32_e32 v23, v19
	s_xor_b32 exec_lo, exec_lo, s14
	s_cbranch_execz .LBB46_214
; %bb.213:
	v_lshl_add_u32 v4, v20, 2, v4
	v_add_nc_u32_e32 v20, 1, v20
	v_mov_b32_e32 v22, v24
	s_waitcnt lgkmcnt(0)
	v_mov_b32_e32 v21, v18
	ds_read_b32 v23, v4 offset:4
.LBB46_214:
	s_or_b32 exec_lo, exec_lo, s14
	v_add_co_u32 v0, s14, s18, v0
	v_add_co_ci_u32_e64 v1, null, s19, v1, s14
	v_add_co_u32 v0, s14, v0, v3
	v_add_co_ci_u32_e64 v1, null, 0, v1, s14
	s_and_saveexec_b32 s14, vcc_lo
	s_cbranch_execnz .LBB46_223
; %bb.215:
	s_or_b32 exec_lo, exec_lo, s14
	s_and_saveexec_b32 s7, s0
	s_cbranch_execnz .LBB46_224
.LBB46_216:
	s_or_b32 exec_lo, exec_lo, s7
	s_and_saveexec_b32 s0, s1
	s_cbranch_execnz .LBB46_225
.LBB46_217:
	s_or_b32 exec_lo, exec_lo, s0
	s_and_saveexec_b32 s0, s2
	s_cbranch_execnz .LBB46_226
.LBB46_218:
	s_or_b32 exec_lo, exec_lo, s0
	s_and_saveexec_b32 s0, s3
	s_cbranch_execnz .LBB46_227
.LBB46_219:
	s_or_b32 exec_lo, exec_lo, s0
	s_and_saveexec_b32 s0, s4
	s_cbranch_execnz .LBB46_228
.LBB46_220:
	s_or_b32 exec_lo, exec_lo, s0
	s_and_saveexec_b32 s0, s5
	s_cbranch_execnz .LBB46_229
.LBB46_221:
	s_or_b32 exec_lo, exec_lo, s0
	s_and_saveexec_b32 s0, s6
	s_cbranch_execnz .LBB46_230
.LBB46_222:
	s_endpgm
.LBB46_223:
	v_cndmask_b32_e64 v3, v6, v7, s7
	global_store_dword v[0:1], v3, off
	s_or_b32 exec_lo, exec_lo, s14
	s_and_saveexec_b32 s7, s0
	s_cbranch_execz .LBB46_216
.LBB46_224:
	v_cndmask_b32_e64 v2, v2, v9, s8
	global_store_dword v[0:1], v2, off offset:4
	s_or_b32 exec_lo, exec_lo, s7
	s_and_saveexec_b32 s0, s1
	s_cbranch_execz .LBB46_217
.LBB46_225:
	v_cndmask_b32_e64 v2, v10, v11, s9
	global_store_dword v[0:1], v2, off offset:8
	s_or_b32 exec_lo, exec_lo, s0
	s_and_saveexec_b32 s0, s2
	s_cbranch_execz .LBB46_218
.LBB46_226:
	v_cndmask_b32_e64 v2, v12, v13, s10
	global_store_dword v[0:1], v2, off offset:12
	s_or_b32 exec_lo, exec_lo, s0
	s_and_saveexec_b32 s0, s3
	s_cbranch_execz .LBB46_219
.LBB46_227:
	v_cndmask_b32_e64 v2, v14, v15, s11
	global_store_dword v[0:1], v2, off offset:16
	s_or_b32 exec_lo, exec_lo, s0
	s_and_saveexec_b32 s0, s4
	s_cbranch_execz .LBB46_220
.LBB46_228:
	v_cndmask_b32_e64 v2, v16, v17, s12
	global_store_dword v[0:1], v2, off offset:20
	s_or_b32 exec_lo, exec_lo, s0
	s_and_saveexec_b32 s0, s5
	s_cbranch_execz .LBB46_221
.LBB46_229:
	v_cndmask_b32_e64 v2, v18, v19, s13
	global_store_dword v[0:1], v2, off offset:24
	s_or_b32 exec_lo, exec_lo, s0
	s_and_saveexec_b32 s0, s6
	s_cbranch_execz .LBB46_222
.LBB46_230:
	v_cmp_ge_i32_e32 vcc_lo, v22, v8
	s_waitcnt lgkmcnt(0)
	v_cmp_lt_i32_e64 s0, v23, v21
	v_cmp_lt_i32_e64 s1, v20, v5
	s_or_b32 s0, vcc_lo, s0
	s_and_b32 vcc_lo, s1, s0
	v_cndmask_b32_e32 v2, v21, v23, vcc_lo
	global_store_dword v[0:1], v2, off offset:28
	s_endpgm
	.section	.rodata,"a",@progbits
	.p2align	6, 0x0
	.amdhsa_kernel _Z19sort_keys_segmentedILj256ELj64ELj8EiN10test_utils4lessEEvPKT2_PS2_PKjT3_
		.amdhsa_group_segment_fixed_size 8208
		.amdhsa_private_segment_fixed_size 0
		.amdhsa_kernarg_size 28
		.amdhsa_user_sgpr_count 6
		.amdhsa_user_sgpr_private_segment_buffer 1
		.amdhsa_user_sgpr_dispatch_ptr 0
		.amdhsa_user_sgpr_queue_ptr 0
		.amdhsa_user_sgpr_kernarg_segment_ptr 1
		.amdhsa_user_sgpr_dispatch_id 0
		.amdhsa_user_sgpr_flat_scratch_init 0
		.amdhsa_user_sgpr_private_segment_size 0
		.amdhsa_wavefront_size32 1
		.amdhsa_uses_dynamic_stack 0
		.amdhsa_system_sgpr_private_segment_wavefront_offset 0
		.amdhsa_system_sgpr_workgroup_id_x 1
		.amdhsa_system_sgpr_workgroup_id_y 0
		.amdhsa_system_sgpr_workgroup_id_z 0
		.amdhsa_system_sgpr_workgroup_info 0
		.amdhsa_system_vgpr_workitem_id 0
		.amdhsa_next_free_vgpr 31
		.amdhsa_next_free_sgpr 20
		.amdhsa_reserve_vcc 1
		.amdhsa_reserve_flat_scratch 0
		.amdhsa_float_round_mode_32 0
		.amdhsa_float_round_mode_16_64 0
		.amdhsa_float_denorm_mode_32 3
		.amdhsa_float_denorm_mode_16_64 3
		.amdhsa_dx10_clamp 1
		.amdhsa_ieee_mode 1
		.amdhsa_fp16_overflow 0
		.amdhsa_workgroup_processor_mode 1
		.amdhsa_memory_ordered 1
		.amdhsa_forward_progress 1
		.amdhsa_shared_vgpr_count 0
		.amdhsa_exception_fp_ieee_invalid_op 0
		.amdhsa_exception_fp_denorm_src 0
		.amdhsa_exception_fp_ieee_div_zero 0
		.amdhsa_exception_fp_ieee_overflow 0
		.amdhsa_exception_fp_ieee_underflow 0
		.amdhsa_exception_fp_ieee_inexact 0
		.amdhsa_exception_int_div_zero 0
	.end_amdhsa_kernel
	.section	.text._Z19sort_keys_segmentedILj256ELj64ELj8EiN10test_utils4lessEEvPKT2_PS2_PKjT3_,"axG",@progbits,_Z19sort_keys_segmentedILj256ELj64ELj8EiN10test_utils4lessEEvPKT2_PS2_PKjT3_,comdat
.Lfunc_end46:
	.size	_Z19sort_keys_segmentedILj256ELj64ELj8EiN10test_utils4lessEEvPKT2_PS2_PKjT3_, .Lfunc_end46-_Z19sort_keys_segmentedILj256ELj64ELj8EiN10test_utils4lessEEvPKT2_PS2_PKjT3_
                                        ; -- End function
	.set _Z19sort_keys_segmentedILj256ELj64ELj8EiN10test_utils4lessEEvPKT2_PS2_PKjT3_.num_vgpr, 31
	.set _Z19sort_keys_segmentedILj256ELj64ELj8EiN10test_utils4lessEEvPKT2_PS2_PKjT3_.num_agpr, 0
	.set _Z19sort_keys_segmentedILj256ELj64ELj8EiN10test_utils4lessEEvPKT2_PS2_PKjT3_.numbered_sgpr, 20
	.set _Z19sort_keys_segmentedILj256ELj64ELj8EiN10test_utils4lessEEvPKT2_PS2_PKjT3_.num_named_barrier, 0
	.set _Z19sort_keys_segmentedILj256ELj64ELj8EiN10test_utils4lessEEvPKT2_PS2_PKjT3_.private_seg_size, 0
	.set _Z19sort_keys_segmentedILj256ELj64ELj8EiN10test_utils4lessEEvPKT2_PS2_PKjT3_.uses_vcc, 1
	.set _Z19sort_keys_segmentedILj256ELj64ELj8EiN10test_utils4lessEEvPKT2_PS2_PKjT3_.uses_flat_scratch, 0
	.set _Z19sort_keys_segmentedILj256ELj64ELj8EiN10test_utils4lessEEvPKT2_PS2_PKjT3_.has_dyn_sized_stack, 0
	.set _Z19sort_keys_segmentedILj256ELj64ELj8EiN10test_utils4lessEEvPKT2_PS2_PKjT3_.has_recursion, 0
	.set _Z19sort_keys_segmentedILj256ELj64ELj8EiN10test_utils4lessEEvPKT2_PS2_PKjT3_.has_indirect_call, 0
	.section	.AMDGPU.csdata,"",@progbits
; Kernel info:
; codeLenInByte = 9868
; TotalNumSgprs: 22
; NumVgprs: 31
; ScratchSize: 0
; MemoryBound: 0
; FloatMode: 240
; IeeeMode: 1
; LDSByteSize: 8208 bytes/workgroup (compile time only)
; SGPRBlocks: 0
; VGPRBlocks: 3
; NumSGPRsForWavesPerEU: 22
; NumVGPRsForWavesPerEU: 31
; Occupancy: 16
; WaveLimiterHint : 0
; COMPUTE_PGM_RSRC2:SCRATCH_EN: 0
; COMPUTE_PGM_RSRC2:USER_SGPR: 6
; COMPUTE_PGM_RSRC2:TRAP_HANDLER: 0
; COMPUTE_PGM_RSRC2:TGID_X_EN: 1
; COMPUTE_PGM_RSRC2:TGID_Y_EN: 0
; COMPUTE_PGM_RSRC2:TGID_Z_EN: 0
; COMPUTE_PGM_RSRC2:TIDIG_COMP_CNT: 0
	.section	.text._Z20sort_pairs_segmentedILj256ELj64ELj8EiN10test_utils4lessEEvPKT2_PS2_PKjT3_,"axG",@progbits,_Z20sort_pairs_segmentedILj256ELj64ELj8EiN10test_utils4lessEEvPKT2_PS2_PKjT3_,comdat
	.protected	_Z20sort_pairs_segmentedILj256ELj64ELj8EiN10test_utils4lessEEvPKT2_PS2_PKjT3_ ; -- Begin function _Z20sort_pairs_segmentedILj256ELj64ELj8EiN10test_utils4lessEEvPKT2_PS2_PKjT3_
	.globl	_Z20sort_pairs_segmentedILj256ELj64ELj8EiN10test_utils4lessEEvPKT2_PS2_PKjT3_
	.p2align	8
	.type	_Z20sort_pairs_segmentedILj256ELj64ELj8EiN10test_utils4lessEEvPKT2_PS2_PKjT3_,@function
_Z20sort_pairs_segmentedILj256ELj64ELj8EiN10test_utils4lessEEvPKT2_PS2_PKjT3_: ; @_Z20sort_pairs_segmentedILj256ELj64ELj8EiN10test_utils4lessEEvPKT2_PS2_PKjT3_
; %bb.0:
	s_clause 0x1
	s_load_dwordx2 s[0:1], s[4:5], 0x10
	s_load_dwordx4 s[16:19], s[4:5], 0x0
	v_lshrrev_b32_e32 v7, 6, v0
	v_mov_b32_e32 v2, 0
	v_mbcnt_lo_u32_b32 v0, -1, 0
	v_lshl_or_b32 v1, s6, 2, v7
	v_mov_b32_e32 v8, v2
	v_lshlrev_b32_e32 v6, 3, v0
	v_mov_b32_e32 v9, v2
	v_mov_b32_e32 v10, v2
	v_lshlrev_b64 v[3:4], 2, v[1:2]
	v_lshlrev_b32_e32 v1, 9, v1
	v_mov_b32_e32 v11, v2
	v_mov_b32_e32 v16, v2
	v_mov_b32_e32 v18, v2
	v_mov_b32_e32 v24, v2
	s_waitcnt lgkmcnt(0)
	v_add_co_u32 v3, vcc_lo, s0, v3
	v_add_co_ci_u32_e64 v4, null, s1, v4, vcc_lo
	global_load_dword v5, v[3:4], off
	v_lshlrev_b32_e32 v3, 5, v0
	v_lshlrev_b64 v[0:1], 2, v[1:2]
	v_add_co_u32 v4, vcc_lo, s16, v0
	v_add_co_ci_u32_e64 v12, null, s17, v1, vcc_lo
	v_add_co_u32 v3, vcc_lo, v4, v3
	v_add_co_ci_u32_e64 v4, null, 0, v12, vcc_lo
	s_waitcnt vmcnt(0)
	v_cmp_lt_u32_e32 vcc_lo, v6, v5
	s_and_saveexec_b32 s0, vcc_lo
	s_cbranch_execz .LBB47_2
; %bb.1:
	global_load_dword v8, v[3:4], off
	v_mov_b32_e32 v9, v2
	v_mov_b32_e32 v10, v2
	;; [unrolled: 1-line block ×6, first 2 shown]
.LBB47_2:
	s_or_b32 exec_lo, exec_lo, s0
	v_or_b32_e32 v12, 1, v6
	v_cmp_lt_u32_e64 s0, v12, v5
	s_and_saveexec_b32 s1, s0
	s_cbranch_execz .LBB47_4
; %bb.3:
	global_load_dword v2, v[3:4], off offset:4
.LBB47_4:
	s_or_b32 exec_lo, exec_lo, s1
	v_or_b32_e32 v13, 2, v6
	v_cmp_lt_u32_e64 s1, v13, v5
	s_and_saveexec_b32 s2, s1
	s_cbranch_execz .LBB47_6
; %bb.5:
	global_load_dword v9, v[3:4], off offset:8
.LBB47_6:
	s_or_b32 exec_lo, exec_lo, s2
	v_or_b32_e32 v14, 3, v6
	v_cmp_lt_u32_e64 s2, v14, v5
	s_and_saveexec_b32 s3, s2
	s_cbranch_execz .LBB47_8
; %bb.7:
	global_load_dword v10, v[3:4], off offset:12
.LBB47_8:
	s_or_b32 exec_lo, exec_lo, s3
	v_or_b32_e32 v15, 4, v6
	v_cmp_lt_u32_e64 s3, v15, v5
	s_and_saveexec_b32 s4, s3
	s_cbranch_execz .LBB47_10
; %bb.9:
	global_load_dword v11, v[3:4], off offset:16
.LBB47_10:
	s_or_b32 exec_lo, exec_lo, s4
	v_or_b32_e32 v17, 5, v6
	v_cmp_lt_u32_e64 s4, v17, v5
	s_and_saveexec_b32 s5, s4
	s_cbranch_execz .LBB47_12
; %bb.11:
	global_load_dword v16, v[3:4], off offset:20
.LBB47_12:
	s_or_b32 exec_lo, exec_lo, s5
	v_or_b32_e32 v19, 6, v6
	v_cmp_lt_u32_e64 s5, v19, v5
	s_and_saveexec_b32 s6, s5
	s_cbranch_execz .LBB47_14
; %bb.13:
	global_load_dword v18, v[3:4], off offset:24
.LBB47_14:
	s_or_b32 exec_lo, exec_lo, s6
	v_or_b32_e32 v25, 7, v6
	v_cmp_lt_u32_e64 s6, v25, v5
	s_and_saveexec_b32 s7, s6
	s_cbranch_execz .LBB47_16
; %bb.15:
	global_load_dword v24, v[3:4], off offset:28
.LBB47_16:
	s_or_b32 exec_lo, exec_lo, s7
	v_cmp_lt_i32_e64 s8, v17, v5
	v_cmp_lt_i32_e64 s9, v19, v5
	;; [unrolled: 1-line block ×6, first 2 shown]
	s_or_b32 s8, s9, s8
	s_waitcnt vmcnt(0)
	v_cndmask_b32_e64 v17, 0x7fffffff, v18, s9
	v_cndmask_b32_e64 v19, 0x7fffffff, v16, s8
	s_or_b32 s8, s8, s11
	v_mov_b32_e32 v4, v8
	v_cndmask_b32_e64 v20, 0x7fffffff, v11, s8
	s_or_b32 s8, s8, s12
	v_mov_b32_e32 v3, v24
	v_cndmask_b32_e64 v22, 0x7fffffff, v10, s8
	s_or_b32 s8, s8, s10
	s_brev_b32 s10, -2
	s_or_b32 s7, s8, s7
	v_cndmask_b32_e64 v21, 0x7fffffff, v9, s8
	v_cndmask_b32_e64 v23, 0x7fffffff, v2, s7
	v_cmp_ge_i32_e64 s7, v25, v5
	v_mov_b32_e32 v25, v8
	s_mov_b32 s8, 0
	s_and_saveexec_b32 s9, s7
	s_xor_b32 s9, exec_lo, s9
; %bb.17:
	v_cmp_lt_i32_e64 s7, v6, v5
	v_mov_b32_e32 v3, s10
	v_mov_b32_e32 v25, v4
	s_and_b32 s8, s7, exec_lo
; %bb.18:
	s_andn2_saveexec_b32 s7, s9
; %bb.19:
	s_or_b32 s8, s8, exec_lo
; %bb.20:
	s_or_b32 exec_lo, exec_lo, s7
	v_add_nc_u32_e32 v14, 1, v8
	v_add_nc_u32_e32 v15, 1, v2
	;; [unrolled: 1-line block ×8, first 2 shown]
	v_bfrev_b32_e32 v24, -2
	s_and_saveexec_b32 s12, s8
	s_cbranch_execz .LBB47_24
; %bb.21:
	v_cmp_lt_i32_e64 s7, v23, v25
	v_cmp_lt_i32_e64 s8, v22, v21
	s_mov_b32 s13, exec_lo
	v_cndmask_b32_e64 v2, v15, v14, s7
	v_cndmask_b32_e64 v14, v14, v15, s7
	v_cndmask_b32_e64 v15, v4, v23, s7
	v_cndmask_b32_e64 v4, v23, v4, s7
	v_cndmask_b32_e64 v16, v13, v12, s8
	v_cmp_lt_i32_e64 s7, v19, v20
	v_cndmask_b32_e64 v12, v12, v13, s8
	v_cndmask_b32_e64 v13, v22, v21, s8
	;; [unrolled: 1-line block ×3, first 2 shown]
	v_cmp_lt_i32_e64 s8, v3, v17
	v_cndmask_b32_e64 v21, v9, v11, s7
	v_cndmask_b32_e64 v9, v11, v9, s7
	;; [unrolled: 1-line block ×5, first 2 shown]
	v_cmp_lt_i32_e64 s7, v18, v4
	v_cndmask_b32_e64 v8, v8, v10, s8
	v_cndmask_b32_e64 v10, v3, v17, s8
	;; [unrolled: 1-line block ×3, first 2 shown]
	v_cmp_lt_i32_e64 s8, v19, v13
	v_cndmask_b32_e64 v17, v12, v2, s7
	v_cndmask_b32_e64 v2, v2, v12, s7
	;; [unrolled: 1-line block ×4, first 2 shown]
	v_cmp_lt_i32_e64 s7, v3, v11
	v_cndmask_b32_e64 v18, v9, v16, s8
	v_cndmask_b32_e64 v9, v16, v9, s8
	;; [unrolled: 1-line block ×6, first 2 shown]
	v_cmp_lt_i32_e64 s8, v4, v15
	v_cndmask_b32_e64 v21, v3, v11, s7
	v_cndmask_b32_e64 v3, v11, v3, s7
	v_cmp_lt_i32_e64 s7, v13, v12
	v_cndmask_b32_e64 v11, v2, v14, s8
	v_cndmask_b32_e64 v2, v14, v2, s8
	;; [unrolled: 1-line block ×4, first 2 shown]
	v_cmp_lt_i32_e64 s8, v3, v16
	v_cndmask_b32_e64 v15, v9, v17, s7
	v_cndmask_b32_e64 v9, v17, v9, s7
	;; [unrolled: 1-line block ×5, first 2 shown]
	v_cmp_lt_i32_e64 s7, v10, v21
	v_cndmask_b32_e64 v8, v18, v8, s8
	v_cndmask_b32_e64 v18, v3, v16, s8
	;; [unrolled: 1-line block ×3, first 2 shown]
	v_cmp_lt_i32_e64 s8, v12, v4
	v_cndmask_b32_e64 v16, v20, v19, s7
	v_cndmask_b32_e64 v19, v19, v20, s7
	;; [unrolled: 1-line block ×4, first 2 shown]
	v_cmp_lt_i32_e64 s7, v3, v17
	v_cndmask_b32_e64 v21, v9, v11, s8
	v_cndmask_b32_e64 v9, v11, v9, s8
	;; [unrolled: 1-line block ×6, first 2 shown]
	v_cmp_lt_i32_e64 s8, v10, v18
	v_cndmask_b32_e64 v15, v3, v17, s7
	v_cndmask_b32_e64 v3, v17, v3, s7
	v_cmp_lt_i32_e64 s7, v4, v14
	v_cndmask_b32_e64 v17, v19, v13, s8
	v_cndmask_b32_e64 v13, v13, v19, s8
	;; [unrolled: 1-line block ×4, first 2 shown]
	v_cmp_lt_i32_e64 s8, v3, v11
	v_cndmask_b32_e64 v18, v9, v2, s7
	v_cndmask_b32_e64 v2, v2, v9, s7
	;; [unrolled: 1-line block ×5, first 2 shown]
	v_cmp_lt_i32_e64 s7, v10, v15
	v_cndmask_b32_e64 v4, v21, v8, s8
	v_cndmask_b32_e64 v8, v3, v11, s8
	;; [unrolled: 1-line block ×3, first 2 shown]
	v_cmp_lt_i32_e64 s8, v20, v19
	v_cndmask_b32_e64 v21, v13, v12, s7
	v_cndmask_b32_e64 v12, v12, v13, s7
	;; [unrolled: 1-line block ×7, first 2 shown]
	v_cmp_lt_i32_e64 s7, v11, v14
	v_cndmask_b32_e64 v17, v20, v19, s8
	v_cmp_lt_i32_e64 s8, v10, v8
	v_cmp_lt_i32_e64 s9, v16, v13
	v_cndmask_b32_e64 v19, v4, v18, s7
	v_cndmask_b32_e64 v4, v18, v4, s7
	;; [unrolled: 1-line block ×11, first 2 shown]
	v_cmp_lt_i32_e64 s7, v14, v9
	v_cndmask_b32_e64 v23, v16, v13, s9
	v_cmp_lt_i32_e64 s8, v8, v18
	v_cmp_lt_i32_e64 s9, v24, v22
	v_cndmask_b32_e64 v25, v9, v14, s7
	v_cndmask_b32_e64 v9, v14, v9, s7
	;; [unrolled: 1-line block ×9, first 2 shown]
	v_cmp_lt_i32_e64 s8, v17, v23
	v_cndmask_b32_e64 v19, v24, v22, s9
	v_cmp_lt_i32_e64 s9, v18, v9
	v_cmp_lt_i32_e64 s10, v26, v14
	v_cndmask_b32_e64 v11, v4, v2, s7
	v_cndmask_b32_e64 v8, v10, v3, s8
	;; [unrolled: 1-line block ×8, first 2 shown]
	v_mov_b32_e32 v9, v12
	v_cmpx_lt_i32_e64 v17, v19
; %bb.22:
	v_mov_b32_e32 v14, v17
	v_swap_b32 v17, v19
	v_mov_b32_e32 v9, v8
	v_mov_b32_e32 v8, v12
; %bb.23:
	s_or_b32 exec_lo, exec_lo, s13
	v_cndmask_b32_e64 v14, v2, v4, s7
	v_cndmask_b32_e64 v10, v3, v10, s8
	;; [unrolled: 1-line block ×6, first 2 shown]
.LBB47_24:
	s_or_b32 exec_lo, exec_lo, s12
	v_and_b32_e32 v2, 0xf0, v6
	v_and_b32_e32 v3, 8, v6
	; wave barrier
	s_mov_b32 s9, 0
	v_min_i32_e32 v26, v5, v2
	v_min_i32_e32 v27, v5, v3
	v_mul_u32_u24_e32 v3, 0x804, v7
	s_mov_b32 s8, exec_lo
	v_add_nc_u32_e32 v2, 8, v26
	v_lshlrev_b32_e32 v31, 2, v26
	v_min_i32_e32 v18, v5, v2
	v_add_nc_u32_e32 v2, 8, v18
	v_sub_nc_u32_e32 v30, v18, v26
	v_min_i32_e32 v16, v5, v2
	v_lshlrev_b32_e32 v2, 2, v6
	v_sub_nc_u32_e32 v28, v16, v18
	v_mad_u32_u24 v4, 0x804, v7, v2
	ds_write2_b32 v4, v25, v23 offset1:1
	ds_write2_b32 v4, v21, v22 offset0:2 offset1:3
	ds_write2_b32 v4, v20, v19 offset0:4 offset1:5
	v_sub_nc_u32_e32 v29, v27, v28
	v_cmp_ge_i32_e64 s7, v27, v28
	v_mad_u32_u24 v19, 0x804, v7, v31
	ds_write2_b32 v4, v17, v24 offset0:6 offset1:7
	; wave barrier
	v_cndmask_b32_e64 v28, 0, v29, s7
	v_min_i32_e32 v29, v27, v30
	v_cmpx_lt_i32_e64 v28, v29
	s_cbranch_execz .LBB47_28
; %bb.25:
	v_lshlrev_b32_e32 v7, 2, v18
	v_lshlrev_b32_e32 v17, 2, v27
	v_add3_u32 v7, v3, v7, v17
	.p2align	6
.LBB47_26:                              ; =>This Inner Loop Header: Depth=1
	v_sub_nc_u32_e32 v17, v29, v28
	v_lshrrev_b32_e32 v17, 1, v17
	v_add_nc_u32_e32 v17, v17, v28
	v_not_b32_e32 v20, v17
	v_lshl_add_u32 v21, v17, 2, v19
	v_add_nc_u32_e32 v22, 1, v17
	v_lshl_add_u32 v20, v20, 2, v7
	ds_read_b32 v21, v21
	ds_read_b32 v20, v20
	s_waitcnt lgkmcnt(0)
	v_cmp_lt_i32_e64 s7, v20, v21
	v_cndmask_b32_e64 v29, v29, v17, s7
	v_cndmask_b32_e64 v28, v22, v28, s7
	v_cmp_ge_i32_e64 s7, v28, v29
	s_or_b32 s9, s7, s9
	s_andn2_b32 exec_lo, exec_lo, s9
	s_cbranch_execnz .LBB47_26
; %bb.27:
	s_or_b32 exec_lo, exec_lo, s9
.LBB47_28:
	s_or_b32 exec_lo, exec_lo, s8
	v_add_nc_u32_e32 v7, v18, v27
	v_lshl_add_u32 v21, v28, 2, v19
	v_add_nc_u32_e32 v22, v28, v26
                                        ; implicit-def: $vgpr20
	v_sub_nc_u32_e32 v7, v7, v28
	v_cmp_le_i32_e64 s7, v18, v22
	v_lshl_add_u32 v23, v7, 2, v3
	v_cmp_gt_i32_e64 s9, v16, v7
	ds_read_b32 v17, v21
	ds_read_b32 v19, v23
	s_waitcnt lgkmcnt(0)
	v_cmp_lt_i32_e64 s8, v19, v17
	s_or_b32 s7, s7, s8
	s_and_b32 s7, s9, s7
	s_xor_b32 s8, s7, -1
	s_and_saveexec_b32 s9, s8
	s_xor_b32 s8, exec_lo, s9
; %bb.29:
	ds_read_b32 v20, v21 offset:4
                                        ; implicit-def: $vgpr23
; %bb.30:
	s_or_saveexec_b32 s8, s8
	v_mov_b32_e32 v21, v19
	s_xor_b32 exec_lo, exec_lo, s8
	s_cbranch_execz .LBB47_32
; %bb.31:
	ds_read_b32 v21, v23 offset:4
	s_waitcnt lgkmcnt(1)
	v_mov_b32_e32 v20, v17
.LBB47_32:
	s_or_b32 exec_lo, exec_lo, s8
	v_add_nc_u32_e32 v23, 1, v22
	v_add_nc_u32_e32 v24, 1, v7
	s_waitcnt lgkmcnt(0)
	v_cmp_lt_i32_e64 s9, v21, v20
	v_cndmask_b32_e64 v25, v23, v22, s7
	v_cndmask_b32_e64 v26, v7, v24, s7
                                        ; implicit-def: $vgpr23
	v_cmp_ge_i32_e64 s8, v25, v18
	v_cmp_lt_i32_e64 s10, v26, v16
	s_or_b32 s8, s8, s9
	s_and_b32 s8, s10, s8
	s_xor_b32 s9, s8, -1
	s_and_saveexec_b32 s10, s9
	s_xor_b32 s9, exec_lo, s10
; %bb.33:
	v_lshl_add_u32 v23, v25, 2, v3
	ds_read_b32 v23, v23 offset:4
; %bb.34:
	s_or_saveexec_b32 s9, s9
	v_mov_b32_e32 v24, v21
	s_xor_b32 exec_lo, exec_lo, s9
	s_cbranch_execz .LBB47_36
; %bb.35:
	s_waitcnt lgkmcnt(0)
	v_lshl_add_u32 v23, v26, 2, v3
	ds_read_b32 v24, v23 offset:4
	v_mov_b32_e32 v23, v20
.LBB47_36:
	s_or_b32 exec_lo, exec_lo, s9
	v_add_nc_u32_e32 v27, 1, v25
	v_add_nc_u32_e32 v28, 1, v26
	s_waitcnt lgkmcnt(0)
	v_cmp_lt_i32_e64 s10, v24, v23
                                        ; implicit-def: $vgpr29
	v_cndmask_b32_e64 v27, v27, v25, s8
	v_cndmask_b32_e64 v28, v26, v28, s8
	v_cmp_ge_i32_e64 s9, v27, v18
	v_cmp_lt_i32_e64 s11, v28, v16
	s_or_b32 s9, s9, s10
	s_and_b32 s9, s11, s9
	s_xor_b32 s10, s9, -1
	s_and_saveexec_b32 s11, s10
	s_xor_b32 s10, exec_lo, s11
; %bb.37:
	v_lshl_add_u32 v29, v27, 2, v3
	ds_read_b32 v29, v29 offset:4
; %bb.38:
	s_or_saveexec_b32 s10, s10
	v_mov_b32_e32 v30, v24
	s_xor_b32 exec_lo, exec_lo, s10
	s_cbranch_execz .LBB47_40
; %bb.39:
	s_waitcnt lgkmcnt(0)
	v_lshl_add_u32 v29, v28, 2, v3
	ds_read_b32 v30, v29 offset:4
	v_mov_b32_e32 v29, v23
.LBB47_40:
	s_or_b32 exec_lo, exec_lo, s10
	v_add_nc_u32_e32 v31, 1, v27
	v_add_nc_u32_e32 v32, 1, v28
	s_waitcnt lgkmcnt(0)
	v_cmp_lt_i32_e64 s11, v30, v29
                                        ; implicit-def: $vgpr33
	v_cndmask_b32_e64 v31, v31, v27, s9
	v_cndmask_b32_e64 v32, v28, v32, s9
	v_cmp_ge_i32_e64 s10, v31, v18
	v_cmp_lt_i32_e64 s12, v32, v16
	s_or_b32 s10, s10, s11
	s_and_b32 s10, s12, s10
	s_xor_b32 s11, s10, -1
	s_and_saveexec_b32 s12, s11
	s_xor_b32 s11, exec_lo, s12
; %bb.41:
	v_lshl_add_u32 v33, v31, 2, v3
	ds_read_b32 v33, v33 offset:4
; %bb.42:
	s_or_saveexec_b32 s11, s11
	v_mov_b32_e32 v34, v30
	s_xor_b32 exec_lo, exec_lo, s11
	s_cbranch_execz .LBB47_44
; %bb.43:
	s_waitcnt lgkmcnt(0)
	v_lshl_add_u32 v33, v32, 2, v3
	ds_read_b32 v34, v33 offset:4
	v_mov_b32_e32 v33, v29
.LBB47_44:
	s_or_b32 exec_lo, exec_lo, s11
	v_add_nc_u32_e32 v35, 1, v31
	v_add_nc_u32_e32 v36, 1, v32
	s_waitcnt lgkmcnt(0)
	v_cmp_lt_i32_e64 s12, v34, v33
                                        ; implicit-def: $vgpr37
	v_cndmask_b32_e64 v35, v35, v31, s10
	v_cndmask_b32_e64 v36, v32, v36, s10
	v_cmp_ge_i32_e64 s11, v35, v18
	v_cmp_lt_i32_e64 s13, v36, v16
	s_or_b32 s11, s11, s12
	s_and_b32 s11, s13, s11
	s_xor_b32 s12, s11, -1
	s_and_saveexec_b32 s13, s12
	s_xor_b32 s12, exec_lo, s13
; %bb.45:
	v_lshl_add_u32 v37, v35, 2, v3
	ds_read_b32 v37, v37 offset:4
; %bb.46:
	s_or_saveexec_b32 s12, s12
	v_mov_b32_e32 v38, v34
	s_xor_b32 exec_lo, exec_lo, s12
	s_cbranch_execz .LBB47_48
; %bb.47:
	s_waitcnt lgkmcnt(0)
	v_lshl_add_u32 v37, v36, 2, v3
	ds_read_b32 v38, v37 offset:4
	v_mov_b32_e32 v37, v33
.LBB47_48:
	s_or_b32 exec_lo, exec_lo, s12
	v_add_nc_u32_e32 v39, 1, v35
	v_add_nc_u32_e32 v41, 1, v36
	s_waitcnt lgkmcnt(0)
	v_cmp_lt_i32_e64 s13, v38, v37
                                        ; implicit-def: $vgpr43
	v_cndmask_b32_e64 v40, v39, v35, s11
	v_cndmask_b32_e64 v41, v36, v41, s11
	v_cmp_ge_i32_e64 s12, v40, v18
	v_cmp_lt_i32_e64 s14, v41, v16
	s_or_b32 s12, s12, s13
	s_and_b32 s12, s14, s12
	s_xor_b32 s13, s12, -1
	s_and_saveexec_b32 s14, s13
	s_xor_b32 s13, exec_lo, s14
; %bb.49:
	v_lshl_add_u32 v39, v40, 2, v3
	ds_read_b32 v43, v39 offset:4
; %bb.50:
	s_or_saveexec_b32 s13, s13
	v_mov_b32_e32 v44, v38
	s_xor_b32 exec_lo, exec_lo, s13
	s_cbranch_execz .LBB47_52
; %bb.51:
	v_lshl_add_u32 v39, v41, 2, v3
	s_waitcnt lgkmcnt(0)
	v_mov_b32_e32 v43, v37
	ds_read_b32 v44, v39 offset:4
.LBB47_52:
	s_or_b32 exec_lo, exec_lo, s13
	v_add_nc_u32_e32 v39, 1, v40
	v_add_nc_u32_e32 v42, 1, v41
	s_waitcnt lgkmcnt(0)
	v_cmp_lt_i32_e64 s14, v44, v43
	v_cndmask_b32_e64 v45, v39, v40, s12
	v_cndmask_b32_e64 v46, v41, v42, s12
                                        ; implicit-def: $vgpr39
	v_cmp_ge_i32_e64 s13, v45, v18
	v_cmp_lt_i32_e64 s15, v46, v16
	s_or_b32 s13, s13, s14
	s_and_b32 s13, s15, s13
	s_xor_b32 s14, s13, -1
	s_and_saveexec_b32 s15, s14
	s_xor_b32 s14, exec_lo, s15
; %bb.53:
	v_lshl_add_u32 v39, v45, 2, v3
	ds_read_b32 v39, v39 offset:4
; %bb.54:
	s_or_saveexec_b32 s14, s14
	v_mov_b32_e32 v42, v44
	s_xor_b32 exec_lo, exec_lo, s14
	s_cbranch_execz .LBB47_56
; %bb.55:
	s_waitcnt lgkmcnt(0)
	v_lshl_add_u32 v39, v46, 2, v3
	ds_read_b32 v42, v39 offset:4
	v_mov_b32_e32 v39, v43
.LBB47_56:
	s_or_b32 exec_lo, exec_lo, s14
	v_add_nc_u32_e32 v48, 1, v45
	v_cndmask_b32_e64 v43, v43, v44, s13
	v_cndmask_b32_e64 v44, v45, v46, s13
	v_add_nc_u32_e32 v47, 1, v46
	v_cndmask_b32_e64 v29, v29, v30, s10
	v_cndmask_b32_e64 v45, v48, v45, s13
	;; [unrolled: 1-line block ×6, first 2 shown]
	v_cmp_ge_i32_e64 s10, v45, v18
	v_and_b32_e32 v18, 0xe0, v6
	v_cndmask_b32_e64 v38, v40, v41, s12
	v_cmp_lt_i32_e64 s12, v46, v16
	v_cndmask_b32_e64 v33, v33, v34, s11
	v_cndmask_b32_e64 v34, v35, v36, s11
	v_min_i32_e32 v22, v5, v18
	s_waitcnt lgkmcnt(0)
	v_cmp_lt_i32_e64 s11, v42, v39
	v_cndmask_b32_e64 v25, v25, v26, s8
	v_cndmask_b32_e64 v27, v27, v28, s9
	v_add_nc_u32_e32 v16, 16, v22
	s_or_b32 s10, s10, s11
	; wave barrier
	s_and_b32 s10, s12, s10
	ds_write2_b32 v4, v14, v15 offset1:1
	ds_write2_b32 v4, v12, v13 offset0:2 offset1:3
	ds_write2_b32 v4, v11, v9 offset0:4 offset1:5
	;; [unrolled: 1-line block ×3, first 2 shown]
	v_min_i32_e32 v16, v5, v16
	v_cndmask_b32_e64 v18, v45, v46, s10
	v_lshl_add_u32 v7, v7, 2, v3
	v_and_b32_e32 v13, 24, v6
	v_lshl_add_u32 v8, v25, 2, v3
	v_add_nc_u32_e32 v9, 16, v16
	v_lshl_add_u32 v10, v27, 2, v3
	v_lshl_add_u32 v11, v30, 2, v3
	;; [unrolled: 1-line block ×4, first 2 shown]
	; wave barrier
	v_min_i32_e32 v15, v5, v9
	v_lshl_add_u32 v25, v44, 2, v3
	v_lshl_add_u32 v27, v18, 2, v3
	v_min_i32_e32 v18, v5, v13
	ds_read_b32 v7, v7
	ds_read_b32 v8, v8
	;; [unrolled: 1-line block ×8, first 2 shown]
	v_sub_nc_u32_e32 v28, v15, v16
	v_cndmask_b32_e64 v21, v20, v21, s8
	v_cndmask_b32_e64 v17, v17, v19, s7
	v_sub_nc_u32_e32 v20, v16, v22
	v_cndmask_b32_e64 v23, v23, v24, s9
	v_sub_nc_u32_e32 v19, v18, v28
	v_cmp_ge_i32_e64 s7, v18, v28
	v_cndmask_b32_e64 v26, v39, v42, s10
	; wave barrier
	v_min_i32_e32 v20, v18, v20
	v_cndmask_b32_e64 v19, 0, v19, s7
	ds_write2_b32 v4, v17, v21 offset1:1
	ds_write2_b32 v4, v23, v29 offset0:2 offset1:3
	ds_write2_b32 v4, v33, v37 offset0:4 offset1:5
	v_lshl_add_u32 v17, v22, 2, v3
	s_mov_b32 s9, 0
	s_mov_b32 s8, exec_lo
	ds_write2_b32 v4, v43, v26 offset0:6 offset1:7
	; wave barrier
	v_cmpx_lt_i32_e64 v19, v20
	s_cbranch_execz .LBB47_60
; %bb.57:
	v_lshlrev_b32_e32 v21, 2, v16
	v_lshlrev_b32_e32 v23, 2, v18
	v_add3_u32 v21, v3, v21, v23
	.p2align	6
.LBB47_58:                              ; =>This Inner Loop Header: Depth=1
	v_sub_nc_u32_e32 v23, v20, v19
	v_lshrrev_b32_e32 v23, 1, v23
	v_add_nc_u32_e32 v23, v23, v19
	v_not_b32_e32 v24, v23
	v_lshl_add_u32 v25, v23, 2, v17
	v_add_nc_u32_e32 v26, 1, v23
	v_lshl_add_u32 v24, v24, 2, v21
	ds_read_b32 v25, v25
	ds_read_b32 v24, v24
	s_waitcnt lgkmcnt(0)
	v_cmp_lt_i32_e64 s7, v24, v25
	v_cndmask_b32_e64 v20, v20, v23, s7
	v_cndmask_b32_e64 v19, v26, v19, s7
	v_cmp_ge_i32_e64 s7, v19, v20
	s_or_b32 s9, s7, s9
	s_andn2_b32 exec_lo, exec_lo, s9
	s_cbranch_execnz .LBB47_58
; %bb.59:
	s_or_b32 exec_lo, exec_lo, s9
.LBB47_60:
	s_or_b32 exec_lo, exec_lo, s8
	v_add_nc_u32_e32 v18, v16, v18
	v_lshl_add_u32 v20, v19, 2, v17
	v_add_nc_u32_e32 v22, v19, v22
	v_sub_nc_u32_e32 v21, v18, v19
                                        ; implicit-def: $vgpr19
	v_cmp_le_i32_e64 s7, v16, v22
	v_lshl_add_u32 v23, v21, 2, v3
	v_cmp_gt_i32_e64 s9, v15, v21
	ds_read_b32 v17, v20
	ds_read_b32 v18, v23
	s_waitcnt lgkmcnt(0)
	v_cmp_lt_i32_e64 s8, v18, v17
	s_or_b32 s7, s7, s8
	s_and_b32 s7, s9, s7
	s_xor_b32 s8, s7, -1
	s_and_saveexec_b32 s9, s8
	s_xor_b32 s8, exec_lo, s9
; %bb.61:
	ds_read_b32 v19, v20 offset:4
                                        ; implicit-def: $vgpr23
; %bb.62:
	s_or_saveexec_b32 s8, s8
	v_mov_b32_e32 v20, v18
	s_xor_b32 exec_lo, exec_lo, s8
	s_cbranch_execz .LBB47_64
; %bb.63:
	ds_read_b32 v20, v23 offset:4
	s_waitcnt lgkmcnt(1)
	v_mov_b32_e32 v19, v17
.LBB47_64:
	s_or_b32 exec_lo, exec_lo, s8
	v_add_nc_u32_e32 v23, 1, v22
	v_add_nc_u32_e32 v24, 1, v21
	s_waitcnt lgkmcnt(0)
	v_cmp_lt_i32_e64 s9, v20, v19
	v_cndmask_b32_e64 v25, v23, v22, s7
	v_cndmask_b32_e64 v26, v21, v24, s7
                                        ; implicit-def: $vgpr23
	v_cmp_ge_i32_e64 s8, v25, v16
	v_cmp_lt_i32_e64 s10, v26, v15
	s_or_b32 s8, s8, s9
	s_and_b32 s8, s10, s8
	s_xor_b32 s9, s8, -1
	s_and_saveexec_b32 s10, s9
	s_xor_b32 s9, exec_lo, s10
; %bb.65:
	v_lshl_add_u32 v23, v25, 2, v3
	ds_read_b32 v23, v23 offset:4
; %bb.66:
	s_or_saveexec_b32 s9, s9
	v_mov_b32_e32 v24, v20
	s_xor_b32 exec_lo, exec_lo, s9
	s_cbranch_execz .LBB47_68
; %bb.67:
	s_waitcnt lgkmcnt(0)
	v_lshl_add_u32 v23, v26, 2, v3
	ds_read_b32 v24, v23 offset:4
	v_mov_b32_e32 v23, v19
.LBB47_68:
	s_or_b32 exec_lo, exec_lo, s9
	v_add_nc_u32_e32 v27, 1, v25
	v_add_nc_u32_e32 v28, 1, v26
	s_waitcnt lgkmcnt(0)
	v_cmp_lt_i32_e64 s10, v24, v23
                                        ; implicit-def: $vgpr29
	v_cndmask_b32_e64 v27, v27, v25, s8
	v_cndmask_b32_e64 v28, v26, v28, s8
	v_cmp_ge_i32_e64 s9, v27, v16
	v_cmp_lt_i32_e64 s11, v28, v15
	s_or_b32 s9, s9, s10
	s_and_b32 s9, s11, s9
	s_xor_b32 s10, s9, -1
	s_and_saveexec_b32 s11, s10
	s_xor_b32 s10, exec_lo, s11
; %bb.69:
	v_lshl_add_u32 v29, v27, 2, v3
	ds_read_b32 v29, v29 offset:4
; %bb.70:
	s_or_saveexec_b32 s10, s10
	v_mov_b32_e32 v30, v24
	s_xor_b32 exec_lo, exec_lo, s10
	s_cbranch_execz .LBB47_72
; %bb.71:
	s_waitcnt lgkmcnt(0)
	v_lshl_add_u32 v29, v28, 2, v3
	ds_read_b32 v30, v29 offset:4
	v_mov_b32_e32 v29, v23
.LBB47_72:
	s_or_b32 exec_lo, exec_lo, s10
	v_add_nc_u32_e32 v31, 1, v27
	v_add_nc_u32_e32 v32, 1, v28
	s_waitcnt lgkmcnt(0)
	v_cmp_lt_i32_e64 s11, v30, v29
                                        ; implicit-def: $vgpr33
	v_cndmask_b32_e64 v31, v31, v27, s9
	v_cndmask_b32_e64 v32, v28, v32, s9
	v_cmp_ge_i32_e64 s10, v31, v16
	v_cmp_lt_i32_e64 s12, v32, v15
	s_or_b32 s10, s10, s11
	s_and_b32 s10, s12, s10
	s_xor_b32 s11, s10, -1
	s_and_saveexec_b32 s12, s11
	s_xor_b32 s11, exec_lo, s12
; %bb.73:
	v_lshl_add_u32 v33, v31, 2, v3
	ds_read_b32 v33, v33 offset:4
; %bb.74:
	s_or_saveexec_b32 s11, s11
	v_mov_b32_e32 v34, v30
	s_xor_b32 exec_lo, exec_lo, s11
	s_cbranch_execz .LBB47_76
; %bb.75:
	s_waitcnt lgkmcnt(0)
	v_lshl_add_u32 v33, v32, 2, v3
	ds_read_b32 v34, v33 offset:4
	v_mov_b32_e32 v33, v29
.LBB47_76:
	s_or_b32 exec_lo, exec_lo, s11
	v_add_nc_u32_e32 v35, 1, v31
	v_add_nc_u32_e32 v36, 1, v32
	s_waitcnt lgkmcnt(0)
	v_cmp_lt_i32_e64 s12, v34, v33
                                        ; implicit-def: $vgpr37
	v_cndmask_b32_e64 v35, v35, v31, s10
	v_cndmask_b32_e64 v36, v32, v36, s10
	v_cmp_ge_i32_e64 s11, v35, v16
	v_cmp_lt_i32_e64 s13, v36, v15
	s_or_b32 s11, s11, s12
	s_and_b32 s11, s13, s11
	s_xor_b32 s12, s11, -1
	s_and_saveexec_b32 s13, s12
	s_xor_b32 s12, exec_lo, s13
; %bb.77:
	v_lshl_add_u32 v37, v35, 2, v3
	ds_read_b32 v37, v37 offset:4
; %bb.78:
	s_or_saveexec_b32 s12, s12
	v_mov_b32_e32 v38, v34
	s_xor_b32 exec_lo, exec_lo, s12
	s_cbranch_execz .LBB47_80
; %bb.79:
	s_waitcnt lgkmcnt(0)
	v_lshl_add_u32 v37, v36, 2, v3
	ds_read_b32 v38, v37 offset:4
	v_mov_b32_e32 v37, v33
.LBB47_80:
	s_or_b32 exec_lo, exec_lo, s12
	v_add_nc_u32_e32 v39, 1, v35
	v_add_nc_u32_e32 v41, 1, v36
	s_waitcnt lgkmcnt(0)
	v_cmp_lt_i32_e64 s13, v38, v37
                                        ; implicit-def: $vgpr43
	v_cndmask_b32_e64 v40, v39, v35, s11
	v_cndmask_b32_e64 v41, v36, v41, s11
	v_cmp_ge_i32_e64 s12, v40, v16
	v_cmp_lt_i32_e64 s14, v41, v15
	s_or_b32 s12, s12, s13
	s_and_b32 s12, s14, s12
	s_xor_b32 s13, s12, -1
	s_and_saveexec_b32 s14, s13
	s_xor_b32 s13, exec_lo, s14
; %bb.81:
	v_lshl_add_u32 v39, v40, 2, v3
	ds_read_b32 v43, v39 offset:4
; %bb.82:
	s_or_saveexec_b32 s13, s13
	v_mov_b32_e32 v44, v38
	s_xor_b32 exec_lo, exec_lo, s13
	s_cbranch_execz .LBB47_84
; %bb.83:
	v_lshl_add_u32 v39, v41, 2, v3
	s_waitcnt lgkmcnt(0)
	v_mov_b32_e32 v43, v37
	ds_read_b32 v44, v39 offset:4
.LBB47_84:
	s_or_b32 exec_lo, exec_lo, s13
	v_add_nc_u32_e32 v39, 1, v40
	v_add_nc_u32_e32 v42, 1, v41
	s_waitcnt lgkmcnt(0)
	v_cmp_lt_i32_e64 s14, v44, v43
	v_cndmask_b32_e64 v45, v39, v40, s12
	v_cndmask_b32_e64 v46, v41, v42, s12
                                        ; implicit-def: $vgpr39
	v_cmp_ge_i32_e64 s13, v45, v16
	v_cmp_lt_i32_e64 s15, v46, v15
	s_or_b32 s13, s13, s14
	s_and_b32 s13, s15, s13
	s_xor_b32 s14, s13, -1
	s_and_saveexec_b32 s15, s14
	s_xor_b32 s14, exec_lo, s15
; %bb.85:
	v_lshl_add_u32 v39, v45, 2, v3
	ds_read_b32 v39, v39 offset:4
; %bb.86:
	s_or_saveexec_b32 s14, s14
	v_mov_b32_e32 v42, v44
	s_xor_b32 exec_lo, exec_lo, s14
	s_cbranch_execz .LBB47_88
; %bb.87:
	s_waitcnt lgkmcnt(0)
	v_lshl_add_u32 v39, v46, 2, v3
	ds_read_b32 v42, v39 offset:4
	v_mov_b32_e32 v39, v43
.LBB47_88:
	s_or_b32 exec_lo, exec_lo, s14
	v_add_nc_u32_e32 v48, 1, v45
	v_cndmask_b32_e64 v43, v43, v44, s13
	v_cndmask_b32_e64 v44, v45, v46, s13
	v_cndmask_b32_e64 v29, v29, v30, s10
	v_cndmask_b32_e64 v30, v31, v32, s10
	v_cndmask_b32_e64 v45, v48, v45, s13
	v_add_nc_u32_e32 v47, 1, v46
	v_cndmask_b32_e64 v21, v22, v21, s7
	v_cndmask_b32_e64 v33, v33, v34, s11
	;; [unrolled: 1-line block ×3, first 2 shown]
	v_cmp_ge_i32_e64 s10, v45, v16
	v_and_b32_e32 v16, 0xc0, v6
	v_cndmask_b32_e64 v46, v46, v47, s13
	s_waitcnt lgkmcnt(0)
	v_cmp_lt_i32_e64 s11, v42, v39
	v_cndmask_b32_e64 v37, v37, v38, s12
	v_cndmask_b32_e64 v38, v40, v41, s12
	v_min_i32_e32 v22, v5, v16
	v_cmp_lt_i32_e64 s12, v46, v15
	v_cndmask_b32_e64 v15, v25, v26, s8
	s_or_b32 s10, s10, s11
	v_cndmask_b32_e64 v27, v27, v28, s9
	v_add_nc_u32_e32 v16, 32, v22
	s_and_b32 s10, s12, s10
	v_cndmask_b32_e64 v26, v45, v46, s10
	; wave barrier
	v_min_i32_e32 v16, v5, v16
	ds_write2_b32 v4, v7, v8 offset1:1
	ds_write2_b32 v4, v9, v10 offset0:2 offset1:3
	ds_write2_b32 v4, v11, v12 offset0:4 offset1:5
	;; [unrolled: 1-line block ×3, first 2 shown]
	v_lshl_add_u32 v7, v21, 2, v3
	v_and_b32_e32 v13, 56, v6
	v_lshl_add_u32 v8, v15, 2, v3
	v_add_nc_u32_e32 v9, 32, v16
	v_lshl_add_u32 v10, v27, 2, v3
	v_lshl_add_u32 v11, v30, 2, v3
	;; [unrolled: 1-line block ×4, first 2 shown]
	; wave barrier
	v_min_i32_e32 v15, v5, v9
	v_lshl_add_u32 v27, v44, 2, v3
	v_lshl_add_u32 v26, v26, 2, v3
	v_min_i32_e32 v21, v5, v13
	ds_read_b32 v7, v7
	ds_read_b32 v8, v8
	;; [unrolled: 1-line block ×8, first 2 shown]
	v_sub_nc_u32_e32 v28, v15, v16
	v_cndmask_b32_e64 v23, v23, v24, s9
	v_cndmask_b32_e64 v20, v19, v20, s8
	;; [unrolled: 1-line block ×3, first 2 shown]
	v_sub_nc_u32_e32 v24, v16, v22
	v_sub_nc_u32_e32 v18, v21, v28
	v_cmp_ge_i32_e64 s7, v21, v28
	v_cndmask_b32_e64 v25, v39, v42, s10
	; wave barrier
	ds_write2_b32 v4, v17, v20 offset1:1
	ds_write2_b32 v4, v23, v29 offset0:2 offset1:3
	ds_write2_b32 v4, v33, v37 offset0:4 offset1:5
	v_cndmask_b32_e64 v19, 0, v18, s7
	v_min_i32_e32 v18, v21, v24
	v_lshl_add_u32 v17, v22, 2, v3
	s_mov_b32 s9, 0
	s_mov_b32 s8, exec_lo
	ds_write2_b32 v4, v43, v25 offset0:6 offset1:7
	; wave barrier
	v_cmpx_lt_i32_e64 v19, v18
	s_cbranch_execz .LBB47_92
; %bb.89:
	v_lshlrev_b32_e32 v20, 2, v16
	v_lshlrev_b32_e32 v23, 2, v21
	v_add3_u32 v20, v3, v20, v23
	.p2align	6
.LBB47_90:                              ; =>This Inner Loop Header: Depth=1
	v_sub_nc_u32_e32 v23, v18, v19
	v_lshrrev_b32_e32 v23, 1, v23
	v_add_nc_u32_e32 v23, v23, v19
	v_not_b32_e32 v24, v23
	v_lshl_add_u32 v25, v23, 2, v17
	v_add_nc_u32_e32 v26, 1, v23
	v_lshl_add_u32 v24, v24, 2, v20
	ds_read_b32 v25, v25
	ds_read_b32 v24, v24
	s_waitcnt lgkmcnt(0)
	v_cmp_lt_i32_e64 s7, v24, v25
	v_cndmask_b32_e64 v18, v18, v23, s7
	v_cndmask_b32_e64 v19, v26, v19, s7
	v_cmp_ge_i32_e64 s7, v19, v18
	s_or_b32 s9, s7, s9
	s_andn2_b32 exec_lo, exec_lo, s9
	s_cbranch_execnz .LBB47_90
; %bb.91:
	s_or_b32 exec_lo, exec_lo, s9
.LBB47_92:
	s_or_b32 exec_lo, exec_lo, s8
	v_add_nc_u32_e32 v18, v16, v21
	v_lshl_add_u32 v20, v19, 2, v17
	v_add_nc_u32_e32 v22, v19, v22
	v_sub_nc_u32_e32 v21, v18, v19
                                        ; implicit-def: $vgpr19
	v_cmp_le_i32_e64 s7, v16, v22
	v_lshl_add_u32 v23, v21, 2, v3
	v_cmp_gt_i32_e64 s9, v15, v21
	ds_read_b32 v17, v20
	ds_read_b32 v18, v23
	s_waitcnt lgkmcnt(0)
	v_cmp_lt_i32_e64 s8, v18, v17
	s_or_b32 s7, s7, s8
	s_and_b32 s7, s9, s7
	s_xor_b32 s8, s7, -1
	s_and_saveexec_b32 s9, s8
	s_xor_b32 s8, exec_lo, s9
; %bb.93:
	ds_read_b32 v19, v20 offset:4
                                        ; implicit-def: $vgpr23
; %bb.94:
	s_or_saveexec_b32 s8, s8
	v_mov_b32_e32 v20, v18
	s_xor_b32 exec_lo, exec_lo, s8
	s_cbranch_execz .LBB47_96
; %bb.95:
	ds_read_b32 v20, v23 offset:4
	s_waitcnt lgkmcnt(1)
	v_mov_b32_e32 v19, v17
.LBB47_96:
	s_or_b32 exec_lo, exec_lo, s8
	v_add_nc_u32_e32 v23, 1, v22
	v_add_nc_u32_e32 v24, 1, v21
	s_waitcnt lgkmcnt(0)
	v_cmp_lt_i32_e64 s9, v20, v19
	v_cndmask_b32_e64 v25, v23, v22, s7
	v_cndmask_b32_e64 v26, v21, v24, s7
                                        ; implicit-def: $vgpr23
	v_cmp_ge_i32_e64 s8, v25, v16
	v_cmp_lt_i32_e64 s10, v26, v15
	s_or_b32 s8, s8, s9
	s_and_b32 s8, s10, s8
	s_xor_b32 s9, s8, -1
	s_and_saveexec_b32 s10, s9
	s_xor_b32 s9, exec_lo, s10
; %bb.97:
	v_lshl_add_u32 v23, v25, 2, v3
	ds_read_b32 v23, v23 offset:4
; %bb.98:
	s_or_saveexec_b32 s9, s9
	v_mov_b32_e32 v24, v20
	s_xor_b32 exec_lo, exec_lo, s9
	s_cbranch_execz .LBB47_100
; %bb.99:
	s_waitcnt lgkmcnt(0)
	v_lshl_add_u32 v23, v26, 2, v3
	ds_read_b32 v24, v23 offset:4
	v_mov_b32_e32 v23, v19
.LBB47_100:
	s_or_b32 exec_lo, exec_lo, s9
	v_add_nc_u32_e32 v27, 1, v25
	v_add_nc_u32_e32 v28, 1, v26
	s_waitcnt lgkmcnt(0)
	v_cmp_lt_i32_e64 s10, v24, v23
                                        ; implicit-def: $vgpr29
	v_cndmask_b32_e64 v27, v27, v25, s8
	v_cndmask_b32_e64 v28, v26, v28, s8
	v_cmp_ge_i32_e64 s9, v27, v16
	v_cmp_lt_i32_e64 s11, v28, v15
	s_or_b32 s9, s9, s10
	s_and_b32 s9, s11, s9
	s_xor_b32 s10, s9, -1
	s_and_saveexec_b32 s11, s10
	s_xor_b32 s10, exec_lo, s11
; %bb.101:
	v_lshl_add_u32 v29, v27, 2, v3
	ds_read_b32 v29, v29 offset:4
; %bb.102:
	s_or_saveexec_b32 s10, s10
	v_mov_b32_e32 v30, v24
	s_xor_b32 exec_lo, exec_lo, s10
	s_cbranch_execz .LBB47_104
; %bb.103:
	s_waitcnt lgkmcnt(0)
	v_lshl_add_u32 v29, v28, 2, v3
	ds_read_b32 v30, v29 offset:4
	v_mov_b32_e32 v29, v23
.LBB47_104:
	s_or_b32 exec_lo, exec_lo, s10
	v_add_nc_u32_e32 v31, 1, v27
	v_add_nc_u32_e32 v32, 1, v28
	s_waitcnt lgkmcnt(0)
	v_cmp_lt_i32_e64 s11, v30, v29
                                        ; implicit-def: $vgpr33
	v_cndmask_b32_e64 v31, v31, v27, s9
	v_cndmask_b32_e64 v32, v28, v32, s9
	v_cmp_ge_i32_e64 s10, v31, v16
	v_cmp_lt_i32_e64 s12, v32, v15
	s_or_b32 s10, s10, s11
	s_and_b32 s10, s12, s10
	s_xor_b32 s11, s10, -1
	s_and_saveexec_b32 s12, s11
	s_xor_b32 s11, exec_lo, s12
; %bb.105:
	v_lshl_add_u32 v33, v31, 2, v3
	ds_read_b32 v33, v33 offset:4
; %bb.106:
	s_or_saveexec_b32 s11, s11
	v_mov_b32_e32 v34, v30
	s_xor_b32 exec_lo, exec_lo, s11
	s_cbranch_execz .LBB47_108
; %bb.107:
	s_waitcnt lgkmcnt(0)
	v_lshl_add_u32 v33, v32, 2, v3
	ds_read_b32 v34, v33 offset:4
	v_mov_b32_e32 v33, v29
.LBB47_108:
	s_or_b32 exec_lo, exec_lo, s11
	v_add_nc_u32_e32 v35, 1, v31
	v_add_nc_u32_e32 v36, 1, v32
	s_waitcnt lgkmcnt(0)
	v_cmp_lt_i32_e64 s12, v34, v33
                                        ; implicit-def: $vgpr37
	v_cndmask_b32_e64 v35, v35, v31, s10
	v_cndmask_b32_e64 v36, v32, v36, s10
	v_cmp_ge_i32_e64 s11, v35, v16
	v_cmp_lt_i32_e64 s13, v36, v15
	s_or_b32 s11, s11, s12
	s_and_b32 s11, s13, s11
	s_xor_b32 s12, s11, -1
	s_and_saveexec_b32 s13, s12
	s_xor_b32 s12, exec_lo, s13
; %bb.109:
	v_lshl_add_u32 v37, v35, 2, v3
	ds_read_b32 v37, v37 offset:4
; %bb.110:
	s_or_saveexec_b32 s12, s12
	v_mov_b32_e32 v38, v34
	s_xor_b32 exec_lo, exec_lo, s12
	s_cbranch_execz .LBB47_112
; %bb.111:
	s_waitcnt lgkmcnt(0)
	v_lshl_add_u32 v37, v36, 2, v3
	ds_read_b32 v38, v37 offset:4
	v_mov_b32_e32 v37, v33
.LBB47_112:
	s_or_b32 exec_lo, exec_lo, s12
	v_add_nc_u32_e32 v39, 1, v35
	v_add_nc_u32_e32 v41, 1, v36
	s_waitcnt lgkmcnt(0)
	v_cmp_lt_i32_e64 s13, v38, v37
                                        ; implicit-def: $vgpr43
	v_cndmask_b32_e64 v40, v39, v35, s11
	v_cndmask_b32_e64 v41, v36, v41, s11
	v_cmp_ge_i32_e64 s12, v40, v16
	v_cmp_lt_i32_e64 s14, v41, v15
	s_or_b32 s12, s12, s13
	s_and_b32 s12, s14, s12
	s_xor_b32 s13, s12, -1
	s_and_saveexec_b32 s14, s13
	s_xor_b32 s13, exec_lo, s14
; %bb.113:
	v_lshl_add_u32 v39, v40, 2, v3
	ds_read_b32 v43, v39 offset:4
; %bb.114:
	s_or_saveexec_b32 s13, s13
	v_mov_b32_e32 v44, v38
	s_xor_b32 exec_lo, exec_lo, s13
	s_cbranch_execz .LBB47_116
; %bb.115:
	v_lshl_add_u32 v39, v41, 2, v3
	s_waitcnt lgkmcnt(0)
	v_mov_b32_e32 v43, v37
	ds_read_b32 v44, v39 offset:4
.LBB47_116:
	s_or_b32 exec_lo, exec_lo, s13
	v_add_nc_u32_e32 v39, 1, v40
	v_add_nc_u32_e32 v42, 1, v41
	s_waitcnt lgkmcnt(0)
	v_cmp_lt_i32_e64 s14, v44, v43
	v_cndmask_b32_e64 v45, v39, v40, s12
	v_cndmask_b32_e64 v46, v41, v42, s12
                                        ; implicit-def: $vgpr39
	v_cmp_ge_i32_e64 s13, v45, v16
	v_cmp_lt_i32_e64 s15, v46, v15
	s_or_b32 s13, s13, s14
	s_and_b32 s13, s15, s13
	s_xor_b32 s14, s13, -1
	s_and_saveexec_b32 s15, s14
	s_xor_b32 s14, exec_lo, s15
; %bb.117:
	v_lshl_add_u32 v39, v45, 2, v3
	ds_read_b32 v39, v39 offset:4
; %bb.118:
	s_or_saveexec_b32 s14, s14
	v_mov_b32_e32 v42, v44
	s_xor_b32 exec_lo, exec_lo, s14
	s_cbranch_execz .LBB47_120
; %bb.119:
	s_waitcnt lgkmcnt(0)
	v_lshl_add_u32 v39, v46, 2, v3
	ds_read_b32 v42, v39 offset:4
	v_mov_b32_e32 v39, v43
.LBB47_120:
	s_or_b32 exec_lo, exec_lo, s14
	v_add_nc_u32_e32 v48, 1, v45
	v_cndmask_b32_e64 v43, v43, v44, s13
	v_cndmask_b32_e64 v44, v45, v46, s13
	;; [unrolled: 1-line block ×5, first 2 shown]
	v_add_nc_u32_e32 v47, 1, v46
	v_cndmask_b32_e64 v22, v22, v21, s7
	v_cndmask_b32_e64 v33, v33, v34, s11
	;; [unrolled: 1-line block ×3, first 2 shown]
	v_cmp_ge_i32_e64 s10, v45, v16
	v_and_b32_e32 v16, 0x80, v6
	v_cndmask_b32_e64 v46, v46, v47, s13
	s_waitcnt lgkmcnt(0)
	v_cmp_lt_i32_e64 s11, v42, v39
	v_cndmask_b32_e64 v37, v37, v38, s12
	v_cndmask_b32_e64 v38, v40, v41, s12
	v_min_i32_e32 v21, v5, v16
	v_cmp_lt_i32_e64 s12, v46, v15
	; wave barrier
	ds_write2_b32 v4, v7, v8 offset1:1
	ds_write2_b32 v4, v9, v10 offset0:2 offset1:3
	ds_write2_b32 v4, v11, v12 offset0:4 offset1:5
	;; [unrolled: 1-line block ×3, first 2 shown]
	v_add_nc_u32_e32 v16, 64, v21
	v_cndmask_b32_e64 v15, v25, v26, s8
	s_or_b32 s10, s10, s11
	v_cndmask_b32_e64 v27, v27, v28, s9
	s_and_b32 s10, s12, s10
	v_min_i32_e32 v7, v5, v16
	v_cndmask_b32_e64 v26, v45, v46, s10
	v_lshl_add_u32 v8, v22, 2, v3
	v_and_b32_e32 v14, 0x78, v6
	v_lshl_add_u32 v9, v15, 2, v3
	v_add_nc_u32_e32 v10, 64, v7
	v_lshl_add_u32 v11, v27, 2, v3
	v_lshl_add_u32 v12, v30, 2, v3
	;; [unrolled: 1-line block ×4, first 2 shown]
	; wave barrier
	v_min_i32_e32 v16, v5, v10
	v_lshl_add_u32 v27, v44, 2, v3
	v_lshl_add_u32 v26, v26, 2, v3
	v_min_i32_e32 v22, v5, v14
	ds_read_b32 v8, v8
	ds_read_b32 v9, v9
	;; [unrolled: 1-line block ×8, first 2 shown]
	v_sub_nc_u32_e32 v28, v16, v7
	v_cndmask_b32_e64 v23, v23, v24, s9
	v_cndmask_b32_e64 v19, v19, v20, s8
	;; [unrolled: 1-line block ×3, first 2 shown]
	v_sub_nc_u32_e32 v24, v7, v21
	v_sub_nc_u32_e32 v17, v22, v28
	v_cmp_ge_i32_e64 s7, v22, v28
	v_cndmask_b32_e64 v25, v39, v42, s10
	; wave barrier
	ds_write2_b32 v4, v20, v19 offset1:1
	ds_write2_b32 v4, v23, v29 offset0:2 offset1:3
	ds_write2_b32 v4, v33, v37 offset0:4 offset1:5
	v_cndmask_b32_e64 v18, 0, v17, s7
	v_min_i32_e32 v17, v22, v24
	v_lshl_add_u32 v19, v21, 2, v3
	s_mov_b32 s9, 0
	s_mov_b32 s8, exec_lo
	ds_write2_b32 v4, v43, v25 offset0:6 offset1:7
	; wave barrier
	v_cmpx_lt_i32_e64 v18, v17
	s_cbranch_execz .LBB47_124
; %bb.121:
	v_lshlrev_b32_e32 v20, 2, v7
	v_lshlrev_b32_e32 v23, 2, v22
	v_add3_u32 v20, v3, v20, v23
	.p2align	6
.LBB47_122:                             ; =>This Inner Loop Header: Depth=1
	v_sub_nc_u32_e32 v23, v17, v18
	v_lshrrev_b32_e32 v23, 1, v23
	v_add_nc_u32_e32 v23, v23, v18
	v_not_b32_e32 v24, v23
	v_lshl_add_u32 v25, v23, 2, v19
	v_add_nc_u32_e32 v26, 1, v23
	v_lshl_add_u32 v24, v24, 2, v20
	ds_read_b32 v25, v25
	ds_read_b32 v24, v24
	s_waitcnt lgkmcnt(0)
	v_cmp_lt_i32_e64 s7, v24, v25
	v_cndmask_b32_e64 v17, v17, v23, s7
	v_cndmask_b32_e64 v18, v26, v18, s7
	v_cmp_ge_i32_e64 s7, v18, v17
	s_or_b32 s9, s7, s9
	s_andn2_b32 exec_lo, exec_lo, s9
	s_cbranch_execnz .LBB47_122
; %bb.123:
	s_or_b32 exec_lo, exec_lo, s9
.LBB47_124:
	s_or_b32 exec_lo, exec_lo, s8
	v_add_nc_u32_e32 v17, v7, v22
	v_lshl_add_u32 v22, v18, 2, v19
	v_sub_nc_u32_e32 v17, v17, v18
	v_add_nc_u32_e32 v18, v18, v21
                                        ; implicit-def: $vgpr21
	v_lshl_add_u32 v23, v17, 2, v3
	v_cmp_le_i32_e64 s7, v7, v18
	v_cmp_gt_i32_e64 s9, v16, v17
	ds_read_b32 v19, v22
	ds_read_b32 v20, v23
	s_waitcnt lgkmcnt(0)
	v_cmp_lt_i32_e64 s8, v20, v19
	s_or_b32 s7, s7, s8
	s_and_b32 s7, s9, s7
	s_xor_b32 s8, s7, -1
	s_and_saveexec_b32 s9, s8
	s_xor_b32 s8, exec_lo, s9
; %bb.125:
	ds_read_b32 v21, v22 offset:4
                                        ; implicit-def: $vgpr23
; %bb.126:
	s_or_saveexec_b32 s8, s8
	v_mov_b32_e32 v22, v20
	s_xor_b32 exec_lo, exec_lo, s8
	s_cbranch_execz .LBB47_128
; %bb.127:
	ds_read_b32 v22, v23 offset:4
	s_waitcnt lgkmcnt(1)
	v_mov_b32_e32 v21, v19
.LBB47_128:
	s_or_b32 exec_lo, exec_lo, s8
	v_add_nc_u32_e32 v23, 1, v18
	v_add_nc_u32_e32 v24, 1, v17
	s_waitcnt lgkmcnt(0)
	v_cmp_lt_i32_e64 s9, v22, v21
	v_cndmask_b32_e64 v25, v23, v18, s7
	v_cndmask_b32_e64 v26, v17, v24, s7
                                        ; implicit-def: $vgpr23
	v_cmp_ge_i32_e64 s8, v25, v7
	v_cmp_lt_i32_e64 s10, v26, v16
	s_or_b32 s8, s8, s9
	s_and_b32 s8, s10, s8
	s_xor_b32 s9, s8, -1
	s_and_saveexec_b32 s10, s9
	s_xor_b32 s9, exec_lo, s10
; %bb.129:
	v_lshl_add_u32 v23, v25, 2, v3
	ds_read_b32 v23, v23 offset:4
; %bb.130:
	s_or_saveexec_b32 s9, s9
	v_mov_b32_e32 v24, v22
	s_xor_b32 exec_lo, exec_lo, s9
	s_cbranch_execz .LBB47_132
; %bb.131:
	s_waitcnt lgkmcnt(0)
	v_lshl_add_u32 v23, v26, 2, v3
	ds_read_b32 v24, v23 offset:4
	v_mov_b32_e32 v23, v21
.LBB47_132:
	s_or_b32 exec_lo, exec_lo, s9
	v_add_nc_u32_e32 v27, 1, v25
	v_add_nc_u32_e32 v28, 1, v26
	s_waitcnt lgkmcnt(0)
	v_cmp_lt_i32_e64 s10, v24, v23
                                        ; implicit-def: $vgpr29
	v_cndmask_b32_e64 v27, v27, v25, s8
	v_cndmask_b32_e64 v28, v26, v28, s8
	v_cmp_ge_i32_e64 s9, v27, v7
	v_cmp_lt_i32_e64 s11, v28, v16
	s_or_b32 s9, s9, s10
	s_and_b32 s9, s11, s9
	s_xor_b32 s10, s9, -1
	s_and_saveexec_b32 s11, s10
	s_xor_b32 s10, exec_lo, s11
; %bb.133:
	v_lshl_add_u32 v29, v27, 2, v3
	ds_read_b32 v29, v29 offset:4
; %bb.134:
	s_or_saveexec_b32 s10, s10
	v_mov_b32_e32 v30, v24
	s_xor_b32 exec_lo, exec_lo, s10
	s_cbranch_execz .LBB47_136
; %bb.135:
	s_waitcnt lgkmcnt(0)
	v_lshl_add_u32 v29, v28, 2, v3
	ds_read_b32 v30, v29 offset:4
	v_mov_b32_e32 v29, v23
.LBB47_136:
	s_or_b32 exec_lo, exec_lo, s10
	v_add_nc_u32_e32 v31, 1, v27
	v_add_nc_u32_e32 v32, 1, v28
	s_waitcnt lgkmcnt(0)
	v_cmp_lt_i32_e64 s11, v30, v29
                                        ; implicit-def: $vgpr33
	v_cndmask_b32_e64 v31, v31, v27, s9
	v_cndmask_b32_e64 v32, v28, v32, s9
	v_cmp_ge_i32_e64 s10, v31, v7
	v_cmp_lt_i32_e64 s12, v32, v16
	s_or_b32 s10, s10, s11
	s_and_b32 s10, s12, s10
	s_xor_b32 s11, s10, -1
	s_and_saveexec_b32 s12, s11
	s_xor_b32 s11, exec_lo, s12
; %bb.137:
	v_lshl_add_u32 v33, v31, 2, v3
	ds_read_b32 v33, v33 offset:4
; %bb.138:
	s_or_saveexec_b32 s11, s11
	v_mov_b32_e32 v34, v30
	s_xor_b32 exec_lo, exec_lo, s11
	s_cbranch_execz .LBB47_140
; %bb.139:
	s_waitcnt lgkmcnt(0)
	v_lshl_add_u32 v33, v32, 2, v3
	ds_read_b32 v34, v33 offset:4
	v_mov_b32_e32 v33, v29
.LBB47_140:
	s_or_b32 exec_lo, exec_lo, s11
	v_add_nc_u32_e32 v35, 1, v31
	v_add_nc_u32_e32 v36, 1, v32
	s_waitcnt lgkmcnt(0)
	v_cmp_lt_i32_e64 s12, v34, v33
                                        ; implicit-def: $vgpr37
	v_cndmask_b32_e64 v35, v35, v31, s10
	v_cndmask_b32_e64 v36, v32, v36, s10
	v_cmp_ge_i32_e64 s11, v35, v7
	v_cmp_lt_i32_e64 s13, v36, v16
	s_or_b32 s11, s11, s12
	s_and_b32 s11, s13, s11
	s_xor_b32 s12, s11, -1
	s_and_saveexec_b32 s13, s12
	s_xor_b32 s12, exec_lo, s13
; %bb.141:
	v_lshl_add_u32 v37, v35, 2, v3
	ds_read_b32 v37, v37 offset:4
; %bb.142:
	s_or_saveexec_b32 s12, s12
	v_mov_b32_e32 v38, v34
	s_xor_b32 exec_lo, exec_lo, s12
	s_cbranch_execz .LBB47_144
; %bb.143:
	s_waitcnt lgkmcnt(0)
	v_lshl_add_u32 v37, v36, 2, v3
	ds_read_b32 v38, v37 offset:4
	v_mov_b32_e32 v37, v33
.LBB47_144:
	s_or_b32 exec_lo, exec_lo, s12
	v_add_nc_u32_e32 v39, 1, v35
	v_add_nc_u32_e32 v41, 1, v36
	s_waitcnt lgkmcnt(0)
	v_cmp_lt_i32_e64 s13, v38, v37
                                        ; implicit-def: $vgpr43
	v_cndmask_b32_e64 v40, v39, v35, s11
	v_cndmask_b32_e64 v41, v36, v41, s11
	v_cmp_ge_i32_e64 s12, v40, v7
	v_cmp_lt_i32_e64 s14, v41, v16
	s_or_b32 s12, s12, s13
	s_and_b32 s12, s14, s12
	s_xor_b32 s13, s12, -1
	s_and_saveexec_b32 s14, s13
	s_xor_b32 s13, exec_lo, s14
; %bb.145:
	v_lshl_add_u32 v39, v40, 2, v3
	ds_read_b32 v43, v39 offset:4
; %bb.146:
	s_or_saveexec_b32 s13, s13
	v_mov_b32_e32 v44, v38
	s_xor_b32 exec_lo, exec_lo, s13
	s_cbranch_execz .LBB47_148
; %bb.147:
	v_lshl_add_u32 v39, v41, 2, v3
	s_waitcnt lgkmcnt(0)
	v_mov_b32_e32 v43, v37
	ds_read_b32 v44, v39 offset:4
.LBB47_148:
	s_or_b32 exec_lo, exec_lo, s13
	v_add_nc_u32_e32 v39, 1, v40
	v_add_nc_u32_e32 v42, 1, v41
	s_waitcnt lgkmcnt(0)
	v_cmp_lt_i32_e64 s14, v44, v43
	v_cndmask_b32_e64 v45, v39, v40, s12
	v_cndmask_b32_e64 v46, v41, v42, s12
                                        ; implicit-def: $vgpr39
	v_cmp_ge_i32_e64 s13, v45, v7
	v_cmp_lt_i32_e64 s15, v46, v16
	s_or_b32 s13, s13, s14
	s_and_b32 s13, s15, s13
	s_xor_b32 s14, s13, -1
	s_and_saveexec_b32 s15, s14
	s_xor_b32 s14, exec_lo, s15
; %bb.149:
	v_lshl_add_u32 v39, v45, 2, v3
	ds_read_b32 v39, v39 offset:4
; %bb.150:
	s_or_saveexec_b32 s14, s14
	v_mov_b32_e32 v42, v44
	s_xor_b32 exec_lo, exec_lo, s14
	s_cbranch_execz .LBB47_152
; %bb.151:
	s_waitcnt lgkmcnt(0)
	v_lshl_add_u32 v39, v46, 2, v3
	ds_read_b32 v42, v39 offset:4
	v_mov_b32_e32 v39, v43
.LBB47_152:
	s_or_b32 exec_lo, exec_lo, s14
	v_add_nc_u32_e32 v48, 1, v45
	v_cndmask_b32_e64 v43, v43, v44, s13
	v_cndmask_b32_e64 v44, v45, v46, s13
	v_add_nc_u32_e32 v47, 1, v46
	v_cndmask_b32_e64 v29, v29, v30, s10
	v_cndmask_b32_e64 v45, v48, v45, s13
	;; [unrolled: 1-line block ×6, first 2 shown]
	v_cmp_ge_i32_e64 s10, v45, v7
	v_min_i32_e32 v7, 0, v5
	v_cndmask_b32_e64 v34, v35, v36, s11
	s_waitcnt lgkmcnt(0)
	v_cmp_lt_i32_e64 s11, v42, v39
	v_cndmask_b32_e64 v37, v37, v38, s12
	v_cndmask_b32_e64 v38, v40, v41, s12
	v_add_nc_u32_e32 v17, 0x80, v7
	v_cmp_lt_i32_e64 s12, v46, v16
	v_cndmask_b32_e64 v16, v25, v26, s8
	s_or_b32 s10, s10, s11
	v_cndmask_b32_e64 v27, v27, v28, s9
	v_min_i32_e32 v17, v5, v17
	s_and_b32 s10, s12, s10
	v_cndmask_b32_e64 v26, v45, v46, s10
	; wave barrier
	ds_write2_b32 v4, v8, v9 offset1:1
	ds_write2_b32 v4, v10, v11 offset0:2 offset1:3
	ds_write2_b32 v4, v12, v13 offset0:4 offset1:5
	ds_write2_b32 v4, v14, v15 offset0:6 offset1:7
	v_lshl_add_u32 v8, v18, 2, v3
	v_add_nc_u32_e32 v9, 0x80, v17
	v_lshl_add_u32 v10, v16, 2, v3
	v_lshl_add_u32 v11, v27, 2, v3
	v_lshl_add_u32 v12, v30, 2, v3
	v_lshl_add_u32 v14, v34, 2, v3
	v_lshl_add_u32 v15, v38, 2, v3
	v_lshl_add_u32 v16, v44, 2, v3
	; wave barrier
	v_min_i32_e32 v18, v5, v9
	v_lshl_add_u32 v26, v26, 2, v3
	ds_read_b32 v9, v8
	ds_read_b32 v10, v10
	;; [unrolled: 1-line block ×8, first 2 shown]
	v_and_b32_e32 v6, 0xf8, v6
	v_cndmask_b32_e64 v8, v23, v24, s9
	v_sub_nc_u32_e32 v27, v18, v17
	v_cndmask_b32_e64 v22, v21, v22, s8
	v_cndmask_b32_e64 v20, v19, v20, s7
	v_min_i32_e32 v6, v5, v6
	v_sub_nc_u32_e32 v23, v17, v7
	v_cndmask_b32_e64 v25, v39, v42, s10
	; wave barrier
	v_sub_nc_u32_e32 v19, v6, v27
	v_cmp_ge_i32_e64 s7, v6, v27
	ds_write2_b32 v4, v20, v22 offset1:1
	ds_write2_b32 v4, v8, v29 offset0:2 offset1:3
	ds_write2_b32 v4, v33, v37 offset0:4 offset1:5
	v_lshl_add_u32 v8, v7, 2, v3
	s_mov_b32 s9, 0
	s_mov_b32 s8, exec_lo
	v_cndmask_b32_e64 v21, 0, v19, s7
	v_min_i32_e32 v19, v6, v23
	ds_write2_b32 v4, v43, v25 offset0:6 offset1:7
	; wave barrier
	v_cmpx_lt_i32_e64 v21, v19
	s_cbranch_execz .LBB47_156
; %bb.153:
	v_lshlrev_b32_e32 v20, 2, v17
	v_lshlrev_b32_e32 v22, 2, v6
	v_add3_u32 v20, v3, v20, v22
	.p2align	6
.LBB47_154:                             ; =>This Inner Loop Header: Depth=1
	v_sub_nc_u32_e32 v22, v19, v21
	v_lshrrev_b32_e32 v22, 1, v22
	v_add_nc_u32_e32 v22, v22, v21
	v_not_b32_e32 v23, v22
	v_lshl_add_u32 v24, v22, 2, v8
	v_add_nc_u32_e32 v25, 1, v22
	v_lshl_add_u32 v23, v23, 2, v20
	ds_read_b32 v24, v24
	ds_read_b32 v23, v23
	s_waitcnt lgkmcnt(0)
	v_cmp_lt_i32_e64 s7, v23, v24
	v_cndmask_b32_e64 v19, v19, v22, s7
	v_cndmask_b32_e64 v21, v25, v21, s7
	v_cmp_ge_i32_e64 s7, v21, v19
	s_or_b32 s9, s7, s9
	s_andn2_b32 exec_lo, exec_lo, s9
	s_cbranch_execnz .LBB47_154
; %bb.155:
	s_or_b32 exec_lo, exec_lo, s9
.LBB47_156:
	s_or_b32 exec_lo, exec_lo, s8
	v_add_nc_u32_e32 v19, v17, v6
	v_lshl_add_u32 v22, v21, 2, v8
	v_add_nc_u32_e32 v26, v21, v7
	v_sub_nc_u32_e32 v24, v19, v21
                                        ; implicit-def: $vgpr21
	v_cmp_le_i32_e64 s7, v17, v26
	v_lshl_add_u32 v23, v24, 2, v3
	v_cmp_gt_i32_e64 s9, v18, v24
	ds_read_b32 v19, v22
	ds_read_b32 v20, v23
	s_waitcnt lgkmcnt(0)
	v_cmp_lt_i32_e64 s8, v20, v19
	s_or_b32 s7, s7, s8
	s_and_b32 s7, s9, s7
	s_xor_b32 s8, s7, -1
	s_and_saveexec_b32 s9, s8
	s_xor_b32 s8, exec_lo, s9
; %bb.157:
	ds_read_b32 v21, v22 offset:4
                                        ; implicit-def: $vgpr23
; %bb.158:
	s_or_saveexec_b32 s8, s8
	v_mov_b32_e32 v22, v20
	s_xor_b32 exec_lo, exec_lo, s8
	s_cbranch_execz .LBB47_160
; %bb.159:
	ds_read_b32 v22, v23 offset:4
	s_waitcnt lgkmcnt(1)
	v_mov_b32_e32 v21, v19
.LBB47_160:
	s_or_b32 exec_lo, exec_lo, s8
	v_add_nc_u32_e32 v23, 1, v26
	v_add_nc_u32_e32 v25, 1, v24
	s_waitcnt lgkmcnt(0)
	v_cmp_lt_i32_e64 s9, v22, v21
	v_cndmask_b32_e64 v29, v23, v26, s7
	v_cndmask_b32_e64 v30, v24, v25, s7
                                        ; implicit-def: $vgpr23
	v_cmp_ge_i32_e64 s8, v29, v17
	v_cmp_lt_i32_e64 s10, v30, v18
	s_or_b32 s8, s8, s9
	s_and_b32 s8, s10, s8
	s_xor_b32 s9, s8, -1
	s_and_saveexec_b32 s10, s9
	s_xor_b32 s9, exec_lo, s10
; %bb.161:
	v_lshl_add_u32 v23, v29, 2, v3
	ds_read_b32 v23, v23 offset:4
; %bb.162:
	s_or_saveexec_b32 s9, s9
	v_mov_b32_e32 v25, v22
	s_xor_b32 exec_lo, exec_lo, s9
	s_cbranch_execz .LBB47_164
; %bb.163:
	s_waitcnt lgkmcnt(0)
	v_lshl_add_u32 v23, v30, 2, v3
	ds_read_b32 v25, v23 offset:4
	v_mov_b32_e32 v23, v21
.LBB47_164:
	s_or_b32 exec_lo, exec_lo, s9
	v_add_nc_u32_e32 v27, 1, v29
	v_add_nc_u32_e32 v28, 1, v30
	s_waitcnt lgkmcnt(0)
	v_cmp_lt_i32_e64 s10, v25, v23
	v_cndmask_b32_e64 v31, v27, v29, s8
	v_cndmask_b32_e64 v32, v30, v28, s8
                                        ; implicit-def: $vgpr27
	v_cmp_ge_i32_e64 s9, v31, v17
	v_cmp_lt_i32_e64 s11, v32, v18
	s_or_b32 s9, s9, s10
	s_and_b32 s9, s11, s9
	s_xor_b32 s10, s9, -1
	s_and_saveexec_b32 s11, s10
	s_xor_b32 s10, exec_lo, s11
; %bb.165:
	v_lshl_add_u32 v27, v31, 2, v3
	ds_read_b32 v27, v27 offset:4
; %bb.166:
	s_or_saveexec_b32 s10, s10
	v_mov_b32_e32 v28, v25
	s_xor_b32 exec_lo, exec_lo, s10
	s_cbranch_execz .LBB47_168
; %bb.167:
	s_waitcnt lgkmcnt(0)
	v_lshl_add_u32 v27, v32, 2, v3
	ds_read_b32 v28, v27 offset:4
	v_mov_b32_e32 v27, v23
.LBB47_168:
	s_or_b32 exec_lo, exec_lo, s10
	v_add_nc_u32_e32 v33, 1, v31
	v_add_nc_u32_e32 v34, 1, v32
	s_waitcnt lgkmcnt(0)
	v_cmp_lt_i32_e64 s11, v28, v27
                                        ; implicit-def: $vgpr35
	v_cndmask_b32_e64 v33, v33, v31, s9
	v_cndmask_b32_e64 v34, v32, v34, s9
	v_cmp_ge_i32_e64 s10, v33, v17
	v_cmp_lt_i32_e64 s12, v34, v18
	s_or_b32 s10, s10, s11
	s_and_b32 s10, s12, s10
	s_xor_b32 s11, s10, -1
	s_and_saveexec_b32 s12, s11
	s_xor_b32 s11, exec_lo, s12
; %bb.169:
	v_lshl_add_u32 v35, v33, 2, v3
	ds_read_b32 v35, v35 offset:4
; %bb.170:
	s_or_saveexec_b32 s11, s11
	v_mov_b32_e32 v36, v28
	s_xor_b32 exec_lo, exec_lo, s11
	s_cbranch_execz .LBB47_172
; %bb.171:
	s_waitcnt lgkmcnt(0)
	v_lshl_add_u32 v35, v34, 2, v3
	ds_read_b32 v36, v35 offset:4
	v_mov_b32_e32 v35, v27
.LBB47_172:
	s_or_b32 exec_lo, exec_lo, s11
	v_add_nc_u32_e32 v37, 1, v33
	v_add_nc_u32_e32 v38, 1, v34
	s_waitcnt lgkmcnt(0)
	v_cmp_lt_i32_e64 s12, v36, v35
                                        ; implicit-def: $vgpr39
	v_cndmask_b32_e64 v37, v37, v33, s10
	v_cndmask_b32_e64 v38, v34, v38, s10
	v_cmp_ge_i32_e64 s11, v37, v17
	v_cmp_lt_i32_e64 s13, v38, v18
	s_or_b32 s11, s11, s12
	s_and_b32 s11, s13, s11
	s_xor_b32 s12, s11, -1
	s_and_saveexec_b32 s13, s12
	s_xor_b32 s12, exec_lo, s13
; %bb.173:
	v_lshl_add_u32 v39, v37, 2, v3
	ds_read_b32 v39, v39 offset:4
; %bb.174:
	s_or_saveexec_b32 s12, s12
	v_mov_b32_e32 v40, v36
	s_xor_b32 exec_lo, exec_lo, s12
	s_cbranch_execz .LBB47_176
; %bb.175:
	s_waitcnt lgkmcnt(0)
	v_lshl_add_u32 v39, v38, 2, v3
	ds_read_b32 v40, v39 offset:4
	v_mov_b32_e32 v39, v35
.LBB47_176:
	s_or_b32 exec_lo, exec_lo, s12
	v_add_nc_u32_e32 v41, 1, v37
	v_add_nc_u32_e32 v42, 1, v38
	s_waitcnt lgkmcnt(0)
	v_cmp_lt_i32_e64 s13, v40, v39
                                        ; implicit-def: $vgpr43
	v_cndmask_b32_e64 v41, v41, v37, s11
	v_cndmask_b32_e64 v42, v38, v42, s11
	v_cmp_ge_i32_e64 s12, v41, v17
	v_cmp_lt_i32_e64 s14, v42, v18
	s_or_b32 s12, s12, s13
	s_and_b32 s12, s14, s12
	s_xor_b32 s13, s12, -1
	s_and_saveexec_b32 s14, s13
	s_xor_b32 s13, exec_lo, s14
; %bb.177:
	v_lshl_add_u32 v43, v41, 2, v3
	ds_read_b32 v43, v43 offset:4
; %bb.178:
	s_or_saveexec_b32 s13, s13
	v_mov_b32_e32 v44, v40
	s_xor_b32 exec_lo, exec_lo, s13
	s_cbranch_execz .LBB47_180
; %bb.179:
	s_waitcnt lgkmcnt(0)
	v_lshl_add_u32 v43, v42, 2, v3
	ds_read_b32 v44, v43 offset:4
	v_mov_b32_e32 v43, v39
.LBB47_180:
	s_or_b32 exec_lo, exec_lo, s13
	v_add_nc_u32_e32 v45, 1, v41
	v_add_nc_u32_e32 v46, 1, v42
	s_waitcnt lgkmcnt(0)
	v_cmp_lt_i32_e64 s14, v44, v43
	v_cndmask_b32_e64 v47, v45, v41, s12
	v_cndmask_b32_e64 v46, v42, v46, s12
                                        ; implicit-def: $vgpr45
	v_cmp_ge_i32_e64 s13, v47, v17
	v_cmp_lt_i32_e64 s15, v46, v18
	s_or_b32 s13, s13, s14
	s_and_b32 s13, s15, s13
	s_xor_b32 s14, s13, -1
	s_and_saveexec_b32 s15, s14
	s_xor_b32 s14, exec_lo, s15
; %bb.181:
	v_lshl_add_u32 v45, v47, 2, v3
	ds_read_b32 v45, v45 offset:4
; %bb.182:
	s_or_saveexec_b32 s14, s14
	v_mov_b32_e32 v48, v44
	s_xor_b32 exec_lo, exec_lo, s14
	s_cbranch_execz .LBB47_184
; %bb.183:
	s_waitcnt lgkmcnt(0)
	v_lshl_add_u32 v45, v46, 2, v3
	ds_read_b32 v48, v45 offset:4
	v_mov_b32_e32 v45, v43
.LBB47_184:
	s_or_b32 exec_lo, exec_lo, s14
	v_add_nc_u32_e32 v49, 1, v47
	v_cndmask_b32_e64 v43, v43, v44, s13
	v_add_nc_u32_e32 v44, 1, v46
	v_cndmask_b32_e64 v39, v39, v40, s12
	v_cndmask_b32_e64 v35, v35, v36, s11
	;; [unrolled: 1-line block ×6, first 2 shown]
	s_waitcnt lgkmcnt(0)
	v_cmp_lt_i32_e64 s12, v48, v45
	v_cmp_ge_i32_e64 s11, v40, v17
	v_add_nc_u32_e32 v17, 0x100, v7
	v_cndmask_b32_e64 v50, v47, v46, s13
	v_cmp_lt_i32_e64 s13, v36, v18
	v_cndmask_b32_e64 v24, v26, v24, s7
	v_cndmask_b32_e64 v29, v29, v30, s8
	v_min_i32_e32 v17, v5, v17
	s_or_b32 s11, s11, s12
	v_cndmask_b32_e64 v18, v31, v32, s9
	v_cndmask_b32_e64 v33, v33, v34, s10
	s_and_b32 s11, s13, s11
	v_cndmask_b32_e64 v30, v40, v36, s11
	; wave barrier
	ds_write2_b32 v4, v9, v10 offset1:1
	ds_write2_b32 v4, v11, v13 offset0:2 offset1:3
	v_add_nc_u32_e32 v9, 0x100, v17
	v_lshl_add_u32 v10, v24, 2, v3
	v_lshl_add_u32 v11, v29, 2, v3
	ds_write2_b32 v4, v12, v14 offset0:4 offset1:5
	ds_write2_b32 v4, v15, v16 offset0:6 offset1:7
	v_lshl_add_u32 v12, v18, 2, v3
	v_lshl_add_u32 v13, v33, 2, v3
	v_lshl_add_u32 v14, v37, 2, v3
	v_lshl_add_u32 v15, v41, 2, v3
	; wave barrier
	v_min_i32_e32 v16, v5, v9
	v_lshl_add_u32 v18, v50, 2, v3
	v_lshl_add_u32 v24, v30, 2, v3
	ds_read_b32 v5, v10
	ds_read_b32 v9, v11
	;; [unrolled: 1-line block ×8, first 2 shown]
	v_cndmask_b32_e64 v21, v21, v22, s8
	v_sub_nc_u32_e32 v29, v16, v17
	v_sub_nc_u32_e32 v22, v17, v7
	v_cndmask_b32_e64 v20, v19, v20, s7
	v_cndmask_b32_e64 v24, v27, v28, s10
	;; [unrolled: 1-line block ×3, first 2 shown]
	v_sub_nc_u32_e32 v18, v6, v29
	v_cmp_ge_i32_e64 s7, v6, v29
	v_cndmask_b32_e64 v26, v45, v48, s11
	s_mov_b32 s9, 0
	s_mov_b32 s8, exec_lo
	v_cndmask_b32_e64 v19, 0, v18, s7
	v_min_i32_e32 v18, v6, v22
	; wave barrier
	ds_write2_b32 v4, v20, v21 offset1:1
	ds_write2_b32 v4, v23, v24 offset0:2 offset1:3
	ds_write2_b32 v4, v35, v39 offset0:4 offset1:5
	;; [unrolled: 1-line block ×3, first 2 shown]
	; wave barrier
	v_cmpx_lt_i32_e64 v19, v18
	s_cbranch_execz .LBB47_188
; %bb.185:
	v_lshlrev_b32_e32 v20, 2, v17
	v_lshlrev_b32_e32 v21, 2, v6
	v_add3_u32 v20, v3, v20, v21
	.p2align	6
.LBB47_186:                             ; =>This Inner Loop Header: Depth=1
	v_sub_nc_u32_e32 v21, v18, v19
	v_lshrrev_b32_e32 v21, 1, v21
	v_add_nc_u32_e32 v21, v21, v19
	v_not_b32_e32 v22, v21
	v_lshl_add_u32 v23, v21, 2, v8
	v_add_nc_u32_e32 v24, 1, v21
	v_lshl_add_u32 v22, v22, 2, v20
	ds_read_b32 v23, v23
	ds_read_b32 v22, v22
	s_waitcnt lgkmcnt(0)
	v_cmp_lt_i32_e64 s7, v22, v23
	v_cndmask_b32_e64 v18, v18, v21, s7
	v_cndmask_b32_e64 v19, v24, v19, s7
	v_cmp_ge_i32_e64 s7, v19, v18
	s_or_b32 s9, s7, s9
	s_andn2_b32 exec_lo, exec_lo, s9
	s_cbranch_execnz .LBB47_186
; %bb.187:
	s_or_b32 exec_lo, exec_lo, s9
.LBB47_188:
	s_or_b32 exec_lo, exec_lo, s8
	v_add_nc_u32_e32 v6, v17, v6
	v_lshl_add_u32 v20, v19, 2, v8
	v_add_nc_u32_e32 v7, v19, v7
	v_sub_nc_u32_e32 v6, v6, v19
                                        ; implicit-def: $vgpr19
	v_cmp_le_i32_e64 s7, v17, v7
	v_lshl_add_u32 v21, v6, 2, v3
	v_cmp_gt_i32_e64 s9, v16, v6
	ds_read_b32 v8, v20
	ds_read_b32 v18, v21
	s_waitcnt lgkmcnt(0)
	v_cmp_lt_i32_e64 s8, v18, v8
	s_or_b32 s7, s7, s8
	s_and_b32 s7, s9, s7
	s_xor_b32 s8, s7, -1
	s_and_saveexec_b32 s9, s8
	s_xor_b32 s8, exec_lo, s9
; %bb.189:
	ds_read_b32 v19, v20 offset:4
                                        ; implicit-def: $vgpr21
; %bb.190:
	s_or_saveexec_b32 s8, s8
	v_mov_b32_e32 v20, v18
	s_xor_b32 exec_lo, exec_lo, s8
	s_cbranch_execz .LBB47_192
; %bb.191:
	ds_read_b32 v20, v21 offset:4
	s_waitcnt lgkmcnt(1)
	v_mov_b32_e32 v19, v8
.LBB47_192:
	s_or_b32 exec_lo, exec_lo, s8
	v_add_nc_u32_e32 v21, 1, v7
	v_add_nc_u32_e32 v22, 1, v6
	s_waitcnt lgkmcnt(0)
	v_cmp_lt_i32_e64 s9, v20, v19
	v_cndmask_b32_e64 v23, v21, v7, s7
	v_cndmask_b32_e64 v24, v6, v22, s7
                                        ; implicit-def: $vgpr21
	v_cmp_ge_i32_e64 s8, v23, v17
	v_cmp_lt_i32_e64 s10, v24, v16
	s_or_b32 s8, s8, s9
	s_and_b32 s8, s10, s8
	s_xor_b32 s9, s8, -1
	s_and_saveexec_b32 s10, s9
	s_xor_b32 s9, exec_lo, s10
; %bb.193:
	v_lshl_add_u32 v21, v23, 2, v3
	ds_read_b32 v21, v21 offset:4
; %bb.194:
	s_or_saveexec_b32 s9, s9
	v_mov_b32_e32 v22, v20
	s_xor_b32 exec_lo, exec_lo, s9
	s_cbranch_execz .LBB47_196
; %bb.195:
	s_waitcnt lgkmcnt(0)
	v_lshl_add_u32 v21, v24, 2, v3
	ds_read_b32 v22, v21 offset:4
	v_mov_b32_e32 v21, v19
.LBB47_196:
	s_or_b32 exec_lo, exec_lo, s9
	v_add_nc_u32_e32 v25, 1, v23
	v_add_nc_u32_e32 v26, 1, v24
	s_waitcnt lgkmcnt(0)
	v_cmp_lt_i32_e64 s10, v22, v21
	v_cndmask_b32_e64 v27, v25, v23, s8
	v_cndmask_b32_e64 v28, v24, v26, s8
                                        ; implicit-def: $vgpr25
	v_cmp_ge_i32_e64 s9, v27, v17
	v_cmp_lt_i32_e64 s11, v28, v16
	s_or_b32 s9, s9, s10
	s_and_b32 s9, s11, s9
	s_xor_b32 s10, s9, -1
	s_and_saveexec_b32 s11, s10
	s_xor_b32 s10, exec_lo, s11
; %bb.197:
	v_lshl_add_u32 v25, v27, 2, v3
	ds_read_b32 v25, v25 offset:4
; %bb.198:
	s_or_saveexec_b32 s10, s10
	v_mov_b32_e32 v26, v22
	s_xor_b32 exec_lo, exec_lo, s10
	s_cbranch_execz .LBB47_200
; %bb.199:
	s_waitcnt lgkmcnt(0)
	v_lshl_add_u32 v25, v28, 2, v3
	ds_read_b32 v26, v25 offset:4
	v_mov_b32_e32 v25, v21
.LBB47_200:
	s_or_b32 exec_lo, exec_lo, s10
	v_add_nc_u32_e32 v29, 1, v27
	v_add_nc_u32_e32 v30, 1, v28
	s_waitcnt lgkmcnt(0)
	v_cmp_lt_i32_e64 s11, v26, v25
	v_cndmask_b32_e64 v31, v29, v27, s9
	v_cndmask_b32_e64 v32, v28, v30, s9
                                        ; implicit-def: $vgpr29
	v_cmp_ge_i32_e64 s10, v31, v17
	v_cmp_lt_i32_e64 s12, v32, v16
	s_or_b32 s10, s10, s11
	s_and_b32 s10, s12, s10
	s_xor_b32 s11, s10, -1
	s_and_saveexec_b32 s12, s11
	s_xor_b32 s11, exec_lo, s12
; %bb.201:
	v_lshl_add_u32 v29, v31, 2, v3
	ds_read_b32 v29, v29 offset:4
; %bb.202:
	s_or_saveexec_b32 s11, s11
	v_mov_b32_e32 v30, v26
	s_xor_b32 exec_lo, exec_lo, s11
	s_cbranch_execz .LBB47_204
; %bb.203:
	s_waitcnt lgkmcnt(0)
	v_lshl_add_u32 v29, v32, 2, v3
	ds_read_b32 v30, v29 offset:4
	v_mov_b32_e32 v29, v25
.LBB47_204:
	s_or_b32 exec_lo, exec_lo, s11
	v_add_nc_u32_e32 v33, 1, v31
	v_add_nc_u32_e32 v34, 1, v32
	s_waitcnt lgkmcnt(0)
	v_cmp_lt_i32_e64 s12, v30, v29
	v_cndmask_b32_e64 v35, v33, v31, s10
	v_cndmask_b32_e64 v36, v32, v34, s10
                                        ; implicit-def: $vgpr33
	v_cmp_ge_i32_e64 s11, v35, v17
	v_cmp_lt_i32_e64 s13, v36, v16
	s_or_b32 s11, s11, s12
	s_and_b32 s11, s13, s11
	s_xor_b32 s12, s11, -1
	s_and_saveexec_b32 s13, s12
	s_xor_b32 s12, exec_lo, s13
; %bb.205:
	v_lshl_add_u32 v33, v35, 2, v3
	ds_read_b32 v33, v33 offset:4
; %bb.206:
	s_or_saveexec_b32 s12, s12
	v_mov_b32_e32 v34, v30
	s_xor_b32 exec_lo, exec_lo, s12
	s_cbranch_execz .LBB47_208
; %bb.207:
	s_waitcnt lgkmcnt(0)
	v_lshl_add_u32 v33, v36, 2, v3
	ds_read_b32 v34, v33 offset:4
	v_mov_b32_e32 v33, v29
.LBB47_208:
	s_or_b32 exec_lo, exec_lo, s12
	v_add_nc_u32_e32 v37, 1, v35
	v_add_nc_u32_e32 v38, 1, v36
	s_waitcnt lgkmcnt(0)
	v_cmp_lt_i32_e64 s13, v34, v33
	v_cndmask_b32_e64 v39, v37, v35, s11
	v_cndmask_b32_e64 v40, v36, v38, s11
                                        ; implicit-def: $vgpr37
	v_cmp_ge_i32_e64 s12, v39, v17
	v_cmp_lt_i32_e64 s14, v40, v16
	s_or_b32 s12, s12, s13
	s_and_b32 s12, s14, s12
	s_xor_b32 s13, s12, -1
	s_and_saveexec_b32 s14, s13
	s_xor_b32 s13, exec_lo, s14
; %bb.209:
	v_lshl_add_u32 v37, v39, 2, v3
	ds_read_b32 v37, v37 offset:4
; %bb.210:
	s_or_saveexec_b32 s13, s13
	v_mov_b32_e32 v38, v34
	s_xor_b32 exec_lo, exec_lo, s13
	s_cbranch_execz .LBB47_212
; %bb.211:
	s_waitcnt lgkmcnt(0)
	v_lshl_add_u32 v37, v40, 2, v3
	ds_read_b32 v38, v37 offset:4
	v_mov_b32_e32 v37, v33
.LBB47_212:
	s_or_b32 exec_lo, exec_lo, s13
	v_add_nc_u32_e32 v41, 1, v39
	v_add_nc_u32_e32 v42, 1, v40
	s_waitcnt lgkmcnt(0)
	v_cmp_lt_i32_e64 s14, v38, v37
                                        ; implicit-def: $vgpr44
                                        ; implicit-def: $vgpr43
	v_cndmask_b32_e64 v45, v41, v39, s12
	v_cndmask_b32_e64 v41, v40, v42, s12
	v_cmp_ge_i32_e64 s13, v45, v17
	v_cmp_lt_i32_e64 s15, v41, v16
	s_or_b32 s13, s13, s14
	s_and_b32 s13, s15, s13
	s_xor_b32 s14, s13, -1
	s_and_saveexec_b32 s15, s14
	s_xor_b32 s14, exec_lo, s15
; %bb.213:
	v_lshl_add_u32 v42, v45, 2, v3
	v_add_nc_u32_e32 v43, 1, v45
	ds_read_b32 v44, v42 offset:4
; %bb.214:
	s_or_saveexec_b32 s14, s14
	v_mov_b32_e32 v42, v45
	v_mov_b32_e32 v46, v38
	s_xor_b32 exec_lo, exec_lo, s14
	s_cbranch_execz .LBB47_216
; %bb.215:
	v_lshl_add_u32 v42, v41, 2, v3
	s_waitcnt lgkmcnt(0)
	v_add_nc_u32_e32 v44, 1, v41
	v_mov_b32_e32 v43, v45
	ds_read_b32 v46, v42 offset:4
	v_mov_b32_e32 v42, v41
	v_mov_b32_e32 v41, v44
	v_mov_b32_e32 v44, v37
.LBB47_216:
	s_or_b32 exec_lo, exec_lo, s14
	v_cmp_ge_i32_e64 s14, v43, v17
	s_waitcnt lgkmcnt(0)
	v_cmp_lt_i32_e64 s15, v46, v44
	v_cmp_lt_i32_e64 s16, v41, v16
	v_cndmask_b32_e64 v23, v23, v24, s8
	v_cndmask_b32_e64 v27, v27, v28, s9
	;; [unrolled: 1-line block ×3, first 2 shown]
	s_or_b32 s14, s14, s15
	v_cndmask_b32_e64 v17, v35, v36, s11
	s_and_b32 s14, s16, s14
	v_cndmask_b32_e64 v39, v39, v40, s12
	v_cndmask_b32_e64 v24, v43, v41, s14
	; wave barrier
	ds_write2_b32 v4, v5, v9 offset1:1
	ds_write2_b32 v4, v10, v11 offset0:2 offset1:3
	ds_write2_b32 v4, v12, v13 offset0:4 offset1:5
	;; [unrolled: 1-line block ×3, first 2 shown]
	v_lshl_add_u32 v4, v23, 2, v3
	v_lshl_add_u32 v5, v27, 2, v3
	;; [unrolled: 1-line block ×5, first 2 shown]
	; wave barrier
	v_lshl_add_u32 v12, v42, 2, v3
	v_lshl_add_u32 v13, v24, 2, v3
	ds_read_b32 v24, v4
	ds_read_b32 v23, v5
	;; [unrolled: 1-line block ×7, first 2 shown]
	v_cndmask_b32_e64 v16, v44, v46, s14
	v_cndmask_b32_e64 v8, v8, v18, s7
	;; [unrolled: 1-line block ×8, first 2 shown]
	s_and_saveexec_b32 s8, vcc_lo
	s_cbranch_execz .LBB47_218
; %bb.217:
	v_cndmask_b32_e64 v6, v7, v6, s7
	v_lshl_add_u32 v3, v6, 2, v3
	ds_read_b32 v3, v3
	s_waitcnt lgkmcnt(0)
	v_add_nc_u32_e32 v8, v3, v8
.LBB47_218:
	s_or_b32 exec_lo, exec_lo, s8
	s_waitcnt lgkmcnt(6)
	v_add_nc_u32_e32 v3, v18, v24
	s_waitcnt lgkmcnt(4)
	v_add_nc_u32_e32 v7, v12, v17
	v_add_co_u32 v0, s7, s18, v0
	v_add_nc_u32_e32 v6, v11, v23
	v_cndmask_b32_e64 v17, v18, v3, s0
	s_waitcnt lgkmcnt(1)
	v_add_nc_u32_e32 v3, v15, v4
	v_add_nc_u32_e32 v19, v13, v10
	;; [unrolled: 1-line block ×3, first 2 shown]
	v_add_co_ci_u32_e64 v1, null, s19, v1, s7
	v_cndmask_b32_e64 v4, v15, v3, s5
	s_waitcnt lgkmcnt(0)
	v_add_nc_u32_e32 v3, v16, v9
	v_add_co_u32 v0, s7, v0, v2
	v_cndmask_b32_e64 v10, v11, v6, s1
	v_cndmask_b32_e64 v7, v12, v7, s2
	;; [unrolled: 1-line block ×5, first 2 shown]
	v_add_co_ci_u32_e64 v1, null, 0, v1, s7
	s_and_saveexec_b32 s7, vcc_lo
	s_xor_b32 s7, exec_lo, s7
	s_cbranch_execnz .LBB47_227
; %bb.219:
	s_or_b32 exec_lo, exec_lo, s7
	s_and_saveexec_b32 s7, s0
	s_cbranch_execnz .LBB47_228
.LBB47_220:
	s_or_b32 exec_lo, exec_lo, s7
	s_and_saveexec_b32 s0, s1
	s_cbranch_execnz .LBB47_229
.LBB47_221:
	s_or_b32 exec_lo, exec_lo, s0
	s_and_saveexec_b32 s0, s2
	s_cbranch_execnz .LBB47_230
.LBB47_222:
	s_or_b32 exec_lo, exec_lo, s0
	s_and_saveexec_b32 s0, s3
	s_cbranch_execnz .LBB47_231
.LBB47_223:
	s_or_b32 exec_lo, exec_lo, s0
	s_and_saveexec_b32 s0, s4
	s_cbranch_execnz .LBB47_232
.LBB47_224:
	s_or_b32 exec_lo, exec_lo, s0
	s_and_saveexec_b32 s0, s5
	s_cbranch_execnz .LBB47_233
.LBB47_225:
	s_or_b32 exec_lo, exec_lo, s0
	s_and_saveexec_b32 s0, s6
	s_cbranch_execnz .LBB47_234
.LBB47_226:
	s_endpgm
.LBB47_227:
	global_store_dword v[0:1], v8, off
	s_or_b32 exec_lo, exec_lo, s7
	s_and_saveexec_b32 s7, s0
	s_cbranch_execz .LBB47_220
.LBB47_228:
	global_store_dword v[0:1], v17, off offset:4
	s_or_b32 exec_lo, exec_lo, s7
	s_and_saveexec_b32 s0, s1
	s_cbranch_execz .LBB47_221
.LBB47_229:
	global_store_dword v[0:1], v10, off offset:8
	s_or_b32 exec_lo, exec_lo, s0
	s_and_saveexec_b32 s0, s2
	s_cbranch_execz .LBB47_222
.LBB47_230:
	global_store_dword v[0:1], v7, off offset:12
	s_or_b32 exec_lo, exec_lo, s0
	s_and_saveexec_b32 s0, s3
	s_cbranch_execz .LBB47_223
.LBB47_231:
	global_store_dword v[0:1], v6, off offset:16
	s_or_b32 exec_lo, exec_lo, s0
	s_and_saveexec_b32 s0, s4
	s_cbranch_execz .LBB47_224
.LBB47_232:
	global_store_dword v[0:1], v5, off offset:20
	s_or_b32 exec_lo, exec_lo, s0
	s_and_saveexec_b32 s0, s5
	s_cbranch_execz .LBB47_225
.LBB47_233:
	global_store_dword v[0:1], v4, off offset:24
	s_or_b32 exec_lo, exec_lo, s0
	s_and_saveexec_b32 s0, s6
	s_cbranch_execz .LBB47_226
.LBB47_234:
	global_store_dword v[0:1], v3, off offset:28
	s_endpgm
	.section	.rodata,"a",@progbits
	.p2align	6, 0x0
	.amdhsa_kernel _Z20sort_pairs_segmentedILj256ELj64ELj8EiN10test_utils4lessEEvPKT2_PS2_PKjT3_
		.amdhsa_group_segment_fixed_size 8208
		.amdhsa_private_segment_fixed_size 0
		.amdhsa_kernarg_size 28
		.amdhsa_user_sgpr_count 6
		.amdhsa_user_sgpr_private_segment_buffer 1
		.amdhsa_user_sgpr_dispatch_ptr 0
		.amdhsa_user_sgpr_queue_ptr 0
		.amdhsa_user_sgpr_kernarg_segment_ptr 1
		.amdhsa_user_sgpr_dispatch_id 0
		.amdhsa_user_sgpr_flat_scratch_init 0
		.amdhsa_user_sgpr_private_segment_size 0
		.amdhsa_wavefront_size32 1
		.amdhsa_uses_dynamic_stack 0
		.amdhsa_system_sgpr_private_segment_wavefront_offset 0
		.amdhsa_system_sgpr_workgroup_id_x 1
		.amdhsa_system_sgpr_workgroup_id_y 0
		.amdhsa_system_sgpr_workgroup_id_z 0
		.amdhsa_system_sgpr_workgroup_info 0
		.amdhsa_system_vgpr_workitem_id 0
		.amdhsa_next_free_vgpr 51
		.amdhsa_next_free_sgpr 20
		.amdhsa_reserve_vcc 1
		.amdhsa_reserve_flat_scratch 0
		.amdhsa_float_round_mode_32 0
		.amdhsa_float_round_mode_16_64 0
		.amdhsa_float_denorm_mode_32 3
		.amdhsa_float_denorm_mode_16_64 3
		.amdhsa_dx10_clamp 1
		.amdhsa_ieee_mode 1
		.amdhsa_fp16_overflow 0
		.amdhsa_workgroup_processor_mode 1
		.amdhsa_memory_ordered 1
		.amdhsa_forward_progress 1
		.amdhsa_shared_vgpr_count 0
		.amdhsa_exception_fp_ieee_invalid_op 0
		.amdhsa_exception_fp_denorm_src 0
		.amdhsa_exception_fp_ieee_div_zero 0
		.amdhsa_exception_fp_ieee_overflow 0
		.amdhsa_exception_fp_ieee_underflow 0
		.amdhsa_exception_fp_ieee_inexact 0
		.amdhsa_exception_int_div_zero 0
	.end_amdhsa_kernel
	.section	.text._Z20sort_pairs_segmentedILj256ELj64ELj8EiN10test_utils4lessEEvPKT2_PS2_PKjT3_,"axG",@progbits,_Z20sort_pairs_segmentedILj256ELj64ELj8EiN10test_utils4lessEEvPKT2_PS2_PKjT3_,comdat
.Lfunc_end47:
	.size	_Z20sort_pairs_segmentedILj256ELj64ELj8EiN10test_utils4lessEEvPKT2_PS2_PKjT3_, .Lfunc_end47-_Z20sort_pairs_segmentedILj256ELj64ELj8EiN10test_utils4lessEEvPKT2_PS2_PKjT3_
                                        ; -- End function
	.set _Z20sort_pairs_segmentedILj256ELj64ELj8EiN10test_utils4lessEEvPKT2_PS2_PKjT3_.num_vgpr, 51
	.set _Z20sort_pairs_segmentedILj256ELj64ELj8EiN10test_utils4lessEEvPKT2_PS2_PKjT3_.num_agpr, 0
	.set _Z20sort_pairs_segmentedILj256ELj64ELj8EiN10test_utils4lessEEvPKT2_PS2_PKjT3_.numbered_sgpr, 20
	.set _Z20sort_pairs_segmentedILj256ELj64ELj8EiN10test_utils4lessEEvPKT2_PS2_PKjT3_.num_named_barrier, 0
	.set _Z20sort_pairs_segmentedILj256ELj64ELj8EiN10test_utils4lessEEvPKT2_PS2_PKjT3_.private_seg_size, 0
	.set _Z20sort_pairs_segmentedILj256ELj64ELj8EiN10test_utils4lessEEvPKT2_PS2_PKjT3_.uses_vcc, 1
	.set _Z20sort_pairs_segmentedILj256ELj64ELj8EiN10test_utils4lessEEvPKT2_PS2_PKjT3_.uses_flat_scratch, 0
	.set _Z20sort_pairs_segmentedILj256ELj64ELj8EiN10test_utils4lessEEvPKT2_PS2_PKjT3_.has_dyn_sized_stack, 0
	.set _Z20sort_pairs_segmentedILj256ELj64ELj8EiN10test_utils4lessEEvPKT2_PS2_PKjT3_.has_recursion, 0
	.set _Z20sort_pairs_segmentedILj256ELj64ELj8EiN10test_utils4lessEEvPKT2_PS2_PKjT3_.has_indirect_call, 0
	.section	.AMDGPU.csdata,"",@progbits
; Kernel info:
; codeLenInByte = 11508
; TotalNumSgprs: 22
; NumVgprs: 51
; ScratchSize: 0
; MemoryBound: 0
; FloatMode: 240
; IeeeMode: 1
; LDSByteSize: 8208 bytes/workgroup (compile time only)
; SGPRBlocks: 0
; VGPRBlocks: 6
; NumSGPRsForWavesPerEU: 22
; NumVGPRsForWavesPerEU: 51
; Occupancy: 16
; WaveLimiterHint : 0
; COMPUTE_PGM_RSRC2:SCRATCH_EN: 0
; COMPUTE_PGM_RSRC2:USER_SGPR: 6
; COMPUTE_PGM_RSRC2:TRAP_HANDLER: 0
; COMPUTE_PGM_RSRC2:TGID_X_EN: 1
; COMPUTE_PGM_RSRC2:TGID_Y_EN: 0
; COMPUTE_PGM_RSRC2:TGID_Z_EN: 0
; COMPUTE_PGM_RSRC2:TIDIG_COMP_CNT: 0
	.section	.text._Z9sort_keysILj256ELj4ELj1EaN10test_utils4lessEEvPKT2_PS2_T3_,"axG",@progbits,_Z9sort_keysILj256ELj4ELj1EaN10test_utils4lessEEvPKT2_PS2_T3_,comdat
	.protected	_Z9sort_keysILj256ELj4ELj1EaN10test_utils4lessEEvPKT2_PS2_T3_ ; -- Begin function _Z9sort_keysILj256ELj4ELj1EaN10test_utils4lessEEvPKT2_PS2_T3_
	.globl	_Z9sort_keysILj256ELj4ELj1EaN10test_utils4lessEEvPKT2_PS2_T3_
	.p2align	8
	.type	_Z9sort_keysILj256ELj4ELj1EaN10test_utils4lessEEvPKT2_PS2_T3_,@function
_Z9sort_keysILj256ELj4ELj1EaN10test_utils4lessEEvPKT2_PS2_T3_: ; @_Z9sort_keysILj256ELj4ELj1EaN10test_utils4lessEEvPKT2_PS2_T3_
; %bb.0:
	s_load_dwordx4 s[0:3], s[4:5], 0x0
	s_lshl_b32 s4, s6, 8
	v_mbcnt_lo_u32_b32 v1, -1, 0
	v_lshrrev_b32_e32 v9, 2, v0
	v_mov_b32_e32 v7, 0
	v_and_b32_e32 v6, 2, v1
	v_and_b32_e32 v5, 1, v1
	;; [unrolled: 1-line block ×3, first 2 shown]
	v_or_b32_e32 v4, 1, v6
	v_mad_u32_u24 v3, v9, 5, v1
	v_sub_nc_u32_e32 v2, v4, v6
	s_waitcnt lgkmcnt(0)
	s_add_u32 s0, s0, s4
	s_addc_u32 s1, s1, 0
	v_min_i32_e32 v10, v5, v2
	global_load_ubyte v8, v0, s[0:1]
	v_mul_u32_u24_e32 v2, 5, v9
	s_mov_b32 s0, 0
	s_mov_b32 s1, exec_lo
	; wave barrier
	s_waitcnt vmcnt(0)
	ds_write_b8 v3, v8
	; wave barrier
	v_cmpx_lt_i32_e32 0, v10
	s_cbranch_execz .LBB48_4
; %bb.1:
	v_add_nc_u32_e32 v8, v2, v6
	v_mov_b32_e32 v9, 1
	v_mov_b32_e32 v7, 0
	v_add_nc_u32_e32 v10, v8, v5
	.p2align	6
.LBB48_2:                               ; =>This Inner Loop Header: Depth=1
	v_sub_nc_u32_e32 v11, v9, v7
	v_lshrrev_b32_e32 v11, 1, v11
	v_add_nc_u32_e32 v11, v11, v7
	v_add_nc_u32_e32 v12, v8, v11
	v_sub_nc_u32_e32 v13, v10, v11
	v_add_nc_u32_e32 v14, 1, v11
	ds_read_i8 v12, v12
	ds_read_i8 v13, v13
	s_waitcnt lgkmcnt(0)
	v_cmp_lt_i16_e32 vcc_lo, v13, v12
	v_cndmask_b32_e32 v9, v9, v11, vcc_lo
	v_cndmask_b32_e32 v7, v14, v7, vcc_lo
	v_cmp_ge_i32_e32 vcc_lo, v7, v9
	s_or_b32 s0, vcc_lo, s0
	s_andn2_b32 exec_lo, exec_lo, s0
	s_cbranch_execnz .LBB48_2
; %bb.3:
	s_or_b32 exec_lo, exec_lo, s0
.LBB48_4:
	s_or_b32 exec_lo, exec_lo, s1
	v_add_nc_u32_e32 v8, v6, v5
	v_add3_u32 v6, v2, v7, v6
	v_add_nc_u32_e32 v5, v4, v5
	v_cmp_lt_i32_e32 vcc_lo, 0, v7
	v_sub_nc_u32_e32 v8, v8, v7
	v_sub_nc_u32_e32 v5, v5, v7
	v_add_nc_u32_e32 v7, v2, v1
	v_add_nc_u32_e32 v8, v2, v8
	ds_read_u8 v6, v6
	ds_read_u8 v8, v8 offset:1
	v_cmp_ge_i32_e64 s0, v4, v5
	v_sub_nc_u32_e64 v4, v1, 2 clamp
	v_min_u32_e32 v5, 2, v1
	; wave barrier
	s_waitcnt lgkmcnt(0)
	v_cmp_lt_i16_sdwa s1, sext(v8), sext(v6) src0_sel:BYTE_0 src1_sel:BYTE_0
	s_or_b32 s1, vcc_lo, s1
	s_and_b32 vcc_lo, s0, s1
	s_mov_b32 s0, 0
	v_cndmask_b32_e32 v6, v6, v8, vcc_lo
	s_mov_b32 s1, exec_lo
	ds_write_b8 v7, v6
	; wave barrier
	v_cmpx_lt_u32_e64 v4, v5
	s_cbranch_execz .LBB48_7
	.p2align	6
.LBB48_5:                               ; =>This Inner Loop Header: Depth=1
	v_sub_nc_u32_e32 v6, v5, v4
	v_lshrrev_b32_e32 v6, 1, v6
	v_add_nc_u32_e32 v6, v6, v4
	v_add_nc_u32_e32 v7, v2, v6
	v_xad_u32 v8, v6, -1, v3
	v_add_nc_u32_e32 v9, 1, v6
	ds_read_i8 v7, v7
	ds_read_i8 v8, v8 offset:2
	s_waitcnt lgkmcnt(0)
	v_cmp_lt_i16_e32 vcc_lo, v8, v7
	v_cndmask_b32_e32 v5, v5, v6, vcc_lo
	v_cndmask_b32_e32 v4, v9, v4, vcc_lo
	v_cmp_ge_i32_e32 vcc_lo, v4, v5
	s_or_b32 s0, vcc_lo, s0
	s_andn2_b32 exec_lo, exec_lo, s0
	s_cbranch_execnz .LBB48_5
; %bb.6:
	s_or_b32 exec_lo, exec_lo, s0
.LBB48_7:
	s_or_b32 exec_lo, exec_lo, s1
	v_sub_nc_u32_e32 v1, v1, v4
	v_add_nc_u32_e32 v3, v2, v4
	v_cmp_lt_i32_e32 vcc_lo, 1, v4
	v_add_nc_u32_e32 v2, v2, v1
	v_add_nc_u32_e32 v1, 2, v1
	ds_read_u8 v3, v3
	ds_read_u8 v2, v2 offset:2
	v_cmp_gt_i32_e64 s0, 4, v1
	s_waitcnt lgkmcnt(0)
	v_cmp_lt_i16_sdwa s1, sext(v2), sext(v3) src0_sel:BYTE_0 src1_sel:BYTE_0
	s_or_b32 s1, vcc_lo, s1
	s_and_b32 vcc_lo, s0, s1
	s_add_u32 s0, s2, s4
	s_addc_u32 s1, s3, 0
	v_add_co_u32 v0, s0, s0, v0
	v_cndmask_b32_e32 v2, v3, v2, vcc_lo
	v_add_co_ci_u32_e64 v1, null, s1, 0, s0
	global_store_byte v[0:1], v2, off
	s_endpgm
	.section	.rodata,"a",@progbits
	.p2align	6, 0x0
	.amdhsa_kernel _Z9sort_keysILj256ELj4ELj1EaN10test_utils4lessEEvPKT2_PS2_T3_
		.amdhsa_group_segment_fixed_size 320
		.amdhsa_private_segment_fixed_size 0
		.amdhsa_kernarg_size 20
		.amdhsa_user_sgpr_count 6
		.amdhsa_user_sgpr_private_segment_buffer 1
		.amdhsa_user_sgpr_dispatch_ptr 0
		.amdhsa_user_sgpr_queue_ptr 0
		.amdhsa_user_sgpr_kernarg_segment_ptr 1
		.amdhsa_user_sgpr_dispatch_id 0
		.amdhsa_user_sgpr_flat_scratch_init 0
		.amdhsa_user_sgpr_private_segment_size 0
		.amdhsa_wavefront_size32 1
		.amdhsa_uses_dynamic_stack 0
		.amdhsa_system_sgpr_private_segment_wavefront_offset 0
		.amdhsa_system_sgpr_workgroup_id_x 1
		.amdhsa_system_sgpr_workgroup_id_y 0
		.amdhsa_system_sgpr_workgroup_id_z 0
		.amdhsa_system_sgpr_workgroup_info 0
		.amdhsa_system_vgpr_workitem_id 0
		.amdhsa_next_free_vgpr 15
		.amdhsa_next_free_sgpr 7
		.amdhsa_reserve_vcc 1
		.amdhsa_reserve_flat_scratch 0
		.amdhsa_float_round_mode_32 0
		.amdhsa_float_round_mode_16_64 0
		.amdhsa_float_denorm_mode_32 3
		.amdhsa_float_denorm_mode_16_64 3
		.amdhsa_dx10_clamp 1
		.amdhsa_ieee_mode 1
		.amdhsa_fp16_overflow 0
		.amdhsa_workgroup_processor_mode 1
		.amdhsa_memory_ordered 1
		.amdhsa_forward_progress 1
		.amdhsa_shared_vgpr_count 0
		.amdhsa_exception_fp_ieee_invalid_op 0
		.amdhsa_exception_fp_denorm_src 0
		.amdhsa_exception_fp_ieee_div_zero 0
		.amdhsa_exception_fp_ieee_overflow 0
		.amdhsa_exception_fp_ieee_underflow 0
		.amdhsa_exception_fp_ieee_inexact 0
		.amdhsa_exception_int_div_zero 0
	.end_amdhsa_kernel
	.section	.text._Z9sort_keysILj256ELj4ELj1EaN10test_utils4lessEEvPKT2_PS2_T3_,"axG",@progbits,_Z9sort_keysILj256ELj4ELj1EaN10test_utils4lessEEvPKT2_PS2_T3_,comdat
.Lfunc_end48:
	.size	_Z9sort_keysILj256ELj4ELj1EaN10test_utils4lessEEvPKT2_PS2_T3_, .Lfunc_end48-_Z9sort_keysILj256ELj4ELj1EaN10test_utils4lessEEvPKT2_PS2_T3_
                                        ; -- End function
	.set _Z9sort_keysILj256ELj4ELj1EaN10test_utils4lessEEvPKT2_PS2_T3_.num_vgpr, 15
	.set _Z9sort_keysILj256ELj4ELj1EaN10test_utils4lessEEvPKT2_PS2_T3_.num_agpr, 0
	.set _Z9sort_keysILj256ELj4ELj1EaN10test_utils4lessEEvPKT2_PS2_T3_.numbered_sgpr, 7
	.set _Z9sort_keysILj256ELj4ELj1EaN10test_utils4lessEEvPKT2_PS2_T3_.num_named_barrier, 0
	.set _Z9sort_keysILj256ELj4ELj1EaN10test_utils4lessEEvPKT2_PS2_T3_.private_seg_size, 0
	.set _Z9sort_keysILj256ELj4ELj1EaN10test_utils4lessEEvPKT2_PS2_T3_.uses_vcc, 1
	.set _Z9sort_keysILj256ELj4ELj1EaN10test_utils4lessEEvPKT2_PS2_T3_.uses_flat_scratch, 0
	.set _Z9sort_keysILj256ELj4ELj1EaN10test_utils4lessEEvPKT2_PS2_T3_.has_dyn_sized_stack, 0
	.set _Z9sort_keysILj256ELj4ELj1EaN10test_utils4lessEEvPKT2_PS2_T3_.has_recursion, 0
	.set _Z9sort_keysILj256ELj4ELj1EaN10test_utils4lessEEvPKT2_PS2_T3_.has_indirect_call, 0
	.section	.AMDGPU.csdata,"",@progbits
; Kernel info:
; codeLenInByte = 572
; TotalNumSgprs: 9
; NumVgprs: 15
; ScratchSize: 0
; MemoryBound: 0
; FloatMode: 240
; IeeeMode: 1
; LDSByteSize: 320 bytes/workgroup (compile time only)
; SGPRBlocks: 0
; VGPRBlocks: 1
; NumSGPRsForWavesPerEU: 9
; NumVGPRsForWavesPerEU: 15
; Occupancy: 16
; WaveLimiterHint : 0
; COMPUTE_PGM_RSRC2:SCRATCH_EN: 0
; COMPUTE_PGM_RSRC2:USER_SGPR: 6
; COMPUTE_PGM_RSRC2:TRAP_HANDLER: 0
; COMPUTE_PGM_RSRC2:TGID_X_EN: 1
; COMPUTE_PGM_RSRC2:TGID_Y_EN: 0
; COMPUTE_PGM_RSRC2:TGID_Z_EN: 0
; COMPUTE_PGM_RSRC2:TIDIG_COMP_CNT: 0
	.section	.text._Z10sort_pairsILj256ELj4ELj1EaN10test_utils4lessEEvPKT2_PS2_T3_,"axG",@progbits,_Z10sort_pairsILj256ELj4ELj1EaN10test_utils4lessEEvPKT2_PS2_T3_,comdat
	.protected	_Z10sort_pairsILj256ELj4ELj1EaN10test_utils4lessEEvPKT2_PS2_T3_ ; -- Begin function _Z10sort_pairsILj256ELj4ELj1EaN10test_utils4lessEEvPKT2_PS2_T3_
	.globl	_Z10sort_pairsILj256ELj4ELj1EaN10test_utils4lessEEvPKT2_PS2_T3_
	.p2align	8
	.type	_Z10sort_pairsILj256ELj4ELj1EaN10test_utils4lessEEvPKT2_PS2_T3_,@function
_Z10sort_pairsILj256ELj4ELj1EaN10test_utils4lessEEvPKT2_PS2_T3_: ; @_Z10sort_pairsILj256ELj4ELj1EaN10test_utils4lessEEvPKT2_PS2_T3_
; %bb.0:
	s_load_dwordx4 s[0:3], s[4:5], 0x0
	s_lshl_b32 s4, s6, 8
	v_mbcnt_lo_u32_b32 v1, -1, 0
	v_lshrrev_b32_e32 v9, 2, v0
	v_mov_b32_e32 v8, 0
	v_and_b32_e32 v7, 2, v1
	v_and_b32_e32 v6, 1, v1
	;; [unrolled: 1-line block ×3, first 2 shown]
	v_mul_u32_u24_e32 v1, 5, v9
	v_or_b32_e32 v5, 1, v7
	v_sub_nc_u32_e32 v3, v5, v7
	s_waitcnt lgkmcnt(0)
	s_add_u32 s0, s0, s4
	s_addc_u32 s1, s1, 0
	v_min_i32_e32 v10, v6, v3
	global_load_ubyte v4, v0, s[0:1]
	v_mad_u32_u24 v3, v9, 5, v2
	s_mov_b32 s0, 0
	s_mov_b32 s1, exec_lo
	; wave barrier
	s_waitcnt vmcnt(0)
	ds_write_b8 v3, v4
	; wave barrier
	v_cmpx_lt_i32_e32 0, v10
	s_cbranch_execz .LBB49_4
; %bb.1:
	v_add_nc_u32_e32 v9, v1, v7
	v_mov_b32_e32 v10, 1
	v_mov_b32_e32 v8, 0
	v_add_nc_u32_e32 v11, v9, v6
	.p2align	6
.LBB49_2:                               ; =>This Inner Loop Header: Depth=1
	v_sub_nc_u32_e32 v12, v10, v8
	v_lshrrev_b32_e32 v12, 1, v12
	v_add_nc_u32_e32 v12, v12, v8
	v_add_nc_u32_e32 v13, v9, v12
	v_sub_nc_u32_e32 v14, v11, v12
	v_add_nc_u32_e32 v15, 1, v12
	ds_read_i8 v13, v13
	ds_read_i8 v14, v14
	s_waitcnt lgkmcnt(0)
	v_cmp_lt_i16_e32 vcc_lo, v14, v13
	v_cndmask_b32_e32 v10, v10, v12, vcc_lo
	v_cndmask_b32_e32 v8, v15, v8, vcc_lo
	v_cmp_ge_i32_e32 vcc_lo, v8, v10
	s_or_b32 s0, vcc_lo, s0
	s_andn2_b32 exec_lo, exec_lo, s0
	s_cbranch_execnz .LBB49_2
; %bb.3:
	s_or_b32 exec_lo, exec_lo, s0
.LBB49_4:
	s_or_b32 exec_lo, exec_lo, s1
	v_add_nc_u32_e32 v9, v7, v6
	v_add_nc_u32_e32 v7, v8, v7
	v_add_nc_u32_e32 v6, v5, v6
	v_cmp_lt_i32_e32 vcc_lo, 0, v8
	v_sub_nc_u32_e32 v9, v9, v8
	v_add_nc_u32_e32 v10, v1, v7
	v_sub_nc_u32_e32 v6, v6, v8
	v_add_nc_u32_e32 v9, v1, v9
	ds_read_u8 v10, v10
	ds_read_u8 v9, v9 offset:1
	v_cmp_ge_i32_e64 s0, v5, v6
	; wave barrier
	s_waitcnt lgkmcnt(0)
	v_cmp_lt_i16_sdwa s1, sext(v9), sext(v10) src0_sel:BYTE_0 src1_sel:BYTE_0
	s_or_b32 s1, vcc_lo, s1
	s_and_b32 vcc_lo, s0, s1
	s_mov_b32 s0, 0
	v_cndmask_b32_e32 v5, v7, v6, vcc_lo
	v_add_nc_u16 v6, v4, 1
	v_add_nc_u32_e32 v4, v1, v2
	v_cndmask_b32_e32 v8, v10, v9, vcc_lo
	v_min_u32_e32 v7, 2, v2
	v_add_nc_u32_e32 v5, v1, v5
	s_mov_b32 s1, exec_lo
	ds_write_b8 v4, v6
	; wave barrier
	ds_read_u8 v5, v5
	v_sub_nc_u32_e64 v6, v2, 2 clamp
	; wave barrier
	ds_write_b8 v4, v8
	; wave barrier
	v_cmpx_lt_u32_e64 v6, v7
	s_cbranch_execz .LBB49_7
	.p2align	6
.LBB49_5:                               ; =>This Inner Loop Header: Depth=1
	v_sub_nc_u32_e32 v8, v7, v6
	v_lshrrev_b32_e32 v8, 1, v8
	v_add_nc_u32_e32 v8, v8, v6
	v_add_nc_u32_e32 v9, v1, v8
	v_xad_u32 v10, v8, -1, v3
	v_add_nc_u32_e32 v11, 1, v8
	ds_read_i8 v9, v9
	ds_read_i8 v10, v10 offset:2
	s_waitcnt lgkmcnt(0)
	v_cmp_lt_i16_e32 vcc_lo, v10, v9
	v_cndmask_b32_e32 v7, v7, v8, vcc_lo
	v_cndmask_b32_e32 v6, v11, v6, vcc_lo
	v_cmp_ge_i32_e32 vcc_lo, v6, v7
	s_or_b32 s0, vcc_lo, s0
	s_andn2_b32 exec_lo, exec_lo, s0
	s_cbranch_execnz .LBB49_5
; %bb.6:
	s_or_b32 exec_lo, exec_lo, s0
.LBB49_7:
	s_or_b32 exec_lo, exec_lo, s1
	v_sub_nc_u32_e32 v2, v2, v6
	v_add_nc_u32_e32 v3, v1, v6
	v_cmp_lt_i32_e32 vcc_lo, 1, v6
	v_add_nc_u32_e32 v7, v1, v2
	v_add_nc_u32_e32 v2, 2, v2
	ds_read_u8 v3, v3
	ds_read_u8 v7, v7 offset:2
	v_cmp_gt_i32_e64 s0, 4, v2
	; wave barrier
	s_waitcnt lgkmcnt(3)
	ds_write_b8 v4, v5
	; wave barrier
	s_waitcnt lgkmcnt(1)
	v_cmp_lt_i16_sdwa s1, sext(v7), sext(v3) src0_sel:BYTE_0 src1_sel:BYTE_0
	s_or_b32 s1, vcc_lo, s1
	s_and_b32 vcc_lo, s0, s1
	s_add_u32 s0, s2, s4
	v_cndmask_b32_e32 v2, v6, v2, vcc_lo
	v_cndmask_b32_e32 v3, v3, v7, vcc_lo
	s_addc_u32 s1, s3, 0
	v_add_co_u32 v0, s0, s0, v0
	v_add_nc_u32_e32 v1, v1, v2
	ds_read_u8 v1, v1
	s_waitcnt lgkmcnt(0)
	v_add_nc_u16 v2, v1, v3
	v_add_co_ci_u32_e64 v1, null, s1, 0, s0
	global_store_byte v[0:1], v2, off
	s_endpgm
	.section	.rodata,"a",@progbits
	.p2align	6, 0x0
	.amdhsa_kernel _Z10sort_pairsILj256ELj4ELj1EaN10test_utils4lessEEvPKT2_PS2_T3_
		.amdhsa_group_segment_fixed_size 320
		.amdhsa_private_segment_fixed_size 0
		.amdhsa_kernarg_size 20
		.amdhsa_user_sgpr_count 6
		.amdhsa_user_sgpr_private_segment_buffer 1
		.amdhsa_user_sgpr_dispatch_ptr 0
		.amdhsa_user_sgpr_queue_ptr 0
		.amdhsa_user_sgpr_kernarg_segment_ptr 1
		.amdhsa_user_sgpr_dispatch_id 0
		.amdhsa_user_sgpr_flat_scratch_init 0
		.amdhsa_user_sgpr_private_segment_size 0
		.amdhsa_wavefront_size32 1
		.amdhsa_uses_dynamic_stack 0
		.amdhsa_system_sgpr_private_segment_wavefront_offset 0
		.amdhsa_system_sgpr_workgroup_id_x 1
		.amdhsa_system_sgpr_workgroup_id_y 0
		.amdhsa_system_sgpr_workgroup_id_z 0
		.amdhsa_system_sgpr_workgroup_info 0
		.amdhsa_system_vgpr_workitem_id 0
		.amdhsa_next_free_vgpr 16
		.amdhsa_next_free_sgpr 7
		.amdhsa_reserve_vcc 1
		.amdhsa_reserve_flat_scratch 0
		.amdhsa_float_round_mode_32 0
		.amdhsa_float_round_mode_16_64 0
		.amdhsa_float_denorm_mode_32 3
		.amdhsa_float_denorm_mode_16_64 3
		.amdhsa_dx10_clamp 1
		.amdhsa_ieee_mode 1
		.amdhsa_fp16_overflow 0
		.amdhsa_workgroup_processor_mode 1
		.amdhsa_memory_ordered 1
		.amdhsa_forward_progress 1
		.amdhsa_shared_vgpr_count 0
		.amdhsa_exception_fp_ieee_invalid_op 0
		.amdhsa_exception_fp_denorm_src 0
		.amdhsa_exception_fp_ieee_div_zero 0
		.amdhsa_exception_fp_ieee_overflow 0
		.amdhsa_exception_fp_ieee_underflow 0
		.amdhsa_exception_fp_ieee_inexact 0
		.amdhsa_exception_int_div_zero 0
	.end_amdhsa_kernel
	.section	.text._Z10sort_pairsILj256ELj4ELj1EaN10test_utils4lessEEvPKT2_PS2_T3_,"axG",@progbits,_Z10sort_pairsILj256ELj4ELj1EaN10test_utils4lessEEvPKT2_PS2_T3_,comdat
.Lfunc_end49:
	.size	_Z10sort_pairsILj256ELj4ELj1EaN10test_utils4lessEEvPKT2_PS2_T3_, .Lfunc_end49-_Z10sort_pairsILj256ELj4ELj1EaN10test_utils4lessEEvPKT2_PS2_T3_
                                        ; -- End function
	.set _Z10sort_pairsILj256ELj4ELj1EaN10test_utils4lessEEvPKT2_PS2_T3_.num_vgpr, 16
	.set _Z10sort_pairsILj256ELj4ELj1EaN10test_utils4lessEEvPKT2_PS2_T3_.num_agpr, 0
	.set _Z10sort_pairsILj256ELj4ELj1EaN10test_utils4lessEEvPKT2_PS2_T3_.numbered_sgpr, 7
	.set _Z10sort_pairsILj256ELj4ELj1EaN10test_utils4lessEEvPKT2_PS2_T3_.num_named_barrier, 0
	.set _Z10sort_pairsILj256ELj4ELj1EaN10test_utils4lessEEvPKT2_PS2_T3_.private_seg_size, 0
	.set _Z10sort_pairsILj256ELj4ELj1EaN10test_utils4lessEEvPKT2_PS2_T3_.uses_vcc, 1
	.set _Z10sort_pairsILj256ELj4ELj1EaN10test_utils4lessEEvPKT2_PS2_T3_.uses_flat_scratch, 0
	.set _Z10sort_pairsILj256ELj4ELj1EaN10test_utils4lessEEvPKT2_PS2_T3_.has_dyn_sized_stack, 0
	.set _Z10sort_pairsILj256ELj4ELj1EaN10test_utils4lessEEvPKT2_PS2_T3_.has_recursion, 0
	.set _Z10sort_pairsILj256ELj4ELj1EaN10test_utils4lessEEvPKT2_PS2_T3_.has_indirect_call, 0
	.section	.AMDGPU.csdata,"",@progbits
; Kernel info:
; codeLenInByte = 612
; TotalNumSgprs: 9
; NumVgprs: 16
; ScratchSize: 0
; MemoryBound: 0
; FloatMode: 240
; IeeeMode: 1
; LDSByteSize: 320 bytes/workgroup (compile time only)
; SGPRBlocks: 0
; VGPRBlocks: 1
; NumSGPRsForWavesPerEU: 9
; NumVGPRsForWavesPerEU: 16
; Occupancy: 16
; WaveLimiterHint : 0
; COMPUTE_PGM_RSRC2:SCRATCH_EN: 0
; COMPUTE_PGM_RSRC2:USER_SGPR: 6
; COMPUTE_PGM_RSRC2:TRAP_HANDLER: 0
; COMPUTE_PGM_RSRC2:TGID_X_EN: 1
; COMPUTE_PGM_RSRC2:TGID_Y_EN: 0
; COMPUTE_PGM_RSRC2:TGID_Z_EN: 0
; COMPUTE_PGM_RSRC2:TIDIG_COMP_CNT: 0
	.section	.text._Z19sort_keys_segmentedILj256ELj4ELj1EaN10test_utils4lessEEvPKT2_PS2_PKjT3_,"axG",@progbits,_Z19sort_keys_segmentedILj256ELj4ELj1EaN10test_utils4lessEEvPKT2_PS2_PKjT3_,comdat
	.protected	_Z19sort_keys_segmentedILj256ELj4ELj1EaN10test_utils4lessEEvPKT2_PS2_PKjT3_ ; -- Begin function _Z19sort_keys_segmentedILj256ELj4ELj1EaN10test_utils4lessEEvPKT2_PS2_PKjT3_
	.globl	_Z19sort_keys_segmentedILj256ELj4ELj1EaN10test_utils4lessEEvPKT2_PS2_PKjT3_
	.p2align	8
	.type	_Z19sort_keys_segmentedILj256ELj4ELj1EaN10test_utils4lessEEvPKT2_PS2_PKjT3_,@function
_Z19sort_keys_segmentedILj256ELj4ELj1EaN10test_utils4lessEEvPKT2_PS2_PKjT3_: ; @_Z19sort_keys_segmentedILj256ELj4ELj1EaN10test_utils4lessEEvPKT2_PS2_PKjT3_
; %bb.0:
	s_load_dwordx2 s[0:1], s[4:5], 0x10
	v_lshrrev_b32_e32 v3, 2, v0
	v_mov_b32_e32 v7, 0
	v_mbcnt_lo_u32_b32 v5, -1, 0
	v_lshl_or_b32 v6, s6, 6, v3
	s_load_dwordx4 s[4:7], s[4:5], 0x0
	v_lshlrev_b64 v[0:1], 2, v[6:7]
	v_lshlrev_b32_e32 v2, 2, v6
	s_waitcnt lgkmcnt(0)
	v_add_co_u32 v0, vcc_lo, s0, v0
	v_add_co_ci_u32_e64 v1, null, s1, v1, vcc_lo
	global_load_dword v4, v[0:1], off
	v_and_b32_e32 v0, 3, v5
	v_mov_b32_e32 v1, v7
	s_waitcnt vmcnt(0)
	v_cmp_ge_u32_e64 s0, v0, v4
	v_cmp_lt_u32_e32 vcc_lo, v0, v4
	s_and_saveexec_b32 s1, s0
	s_xor_b32 s0, exec_lo, s1
	s_or_saveexec_b32 s1, s0
                                        ; implicit-def: $vgpr11
	s_xor_b32 exec_lo, exec_lo, s1
	s_cbranch_execz .LBB50_2
; %bb.1:
	v_add_co_u32 v6, s0, s4, v2
	v_add_co_ci_u32_e64 v7, null, s5, 0, s0
	v_add_co_u32 v6, s0, v6, v0
	v_add_co_ci_u32_e64 v7, null, 0, v7, s0
	global_load_ubyte v11, v[6:7], off
.LBB50_2:
	s_or_b32 exec_lo, exec_lo, s1
	v_and_b32_e32 v6, 2, v5
	v_and_b32_e32 v9, 1, v5
	s_mov_b32 s2, 0
	s_mov_b32 s1, exec_lo
	v_min_i32_e32 v7, v4, v6
	; wave barrier
	v_add_nc_u32_e32 v6, 1, v7
	v_min_i32_e32 v6, v4, v6
	v_add_nc_u32_e32 v8, 1, v6
	v_sub_nc_u32_e32 v12, v6, v7
	v_min_i32_e32 v5, v4, v8
	v_min_i32_e32 v8, v4, v9
	v_sub_nc_u32_e32 v9, v5, v6
	v_sub_nc_u32_e32 v10, v8, v9
	v_cmp_ge_i32_e64 s0, v8, v9
	v_cndmask_b32_e64 v9, 0, v10, s0
	v_min_i32_e32 v10, v8, v12
	v_mad_u32_u24 v12, v3, 5, v0
	v_mul_u32_u24_e32 v3, 5, v3
	s_waitcnt vmcnt(0)
	ds_write_b8 v12, v11
	; wave barrier
	v_cmpx_lt_i32_e64 v9, v10
	s_cbranch_execz .LBB50_6
; %bb.3:
	v_add_nc_u32_e32 v11, v3, v7
	v_add3_u32 v12, v3, v6, v8
	.p2align	6
.LBB50_4:                               ; =>This Inner Loop Header: Depth=1
	v_sub_nc_u32_e32 v13, v10, v9
	v_lshrrev_b32_e32 v13, 1, v13
	v_add_nc_u32_e32 v13, v13, v9
	v_add_nc_u32_e32 v14, v11, v13
	v_xad_u32 v15, v13, -1, v12
	v_add_nc_u32_e32 v16, 1, v13
	ds_read_i8 v14, v14
	ds_read_i8 v15, v15
	s_waitcnt lgkmcnt(0)
	v_cmp_lt_i16_e64 s0, v15, v14
	v_cndmask_b32_e64 v10, v10, v13, s0
	v_cndmask_b32_e64 v9, v16, v9, s0
	v_cmp_ge_i32_e64 s0, v9, v10
	s_or_b32 s2, s0, s2
	s_andn2_b32 exec_lo, exec_lo, s2
	s_cbranch_execnz .LBB50_4
; %bb.5:
	s_or_b32 exec_lo, exec_lo, s2
.LBB50_6:
	s_or_b32 exec_lo, exec_lo, s1
	v_add_nc_u32_e32 v8, v6, v8
	v_add_nc_u32_e32 v10, v9, v7
	v_sub_nc_u32_e32 v11, v8, v9
	v_min_i32_e32 v9, 0, v4
	v_add_nc_u32_e32 v7, v3, v10
	v_cmp_le_i32_e64 s0, v6, v10
	v_add_nc_u32_e32 v10, v3, v0
	v_add_nc_u32_e32 v8, v3, v11
	;; [unrolled: 1-line block ×3, first 2 shown]
	v_cmp_gt_i32_e64 s1, v5, v11
	ds_read_u8 v13, v7
	ds_read_u8 v14, v8
	v_min_i32_e32 v8, v4, v12
	; wave barrier
	v_add_nc_u32_e32 v7, 2, v8
	v_sub_nc_u32_e32 v6, v8, v9
	v_min_i32_e32 v7, v4, v7
	v_min_i32_e32 v4, v4, v0
	v_sub_nc_u32_e32 v12, v7, v8
	v_min_i32_e32 v6, v4, v6
	s_waitcnt lgkmcnt(0)
	v_cmp_lt_i16_sdwa s2, sext(v14), sext(v13) src0_sel:BYTE_0 src1_sel:BYTE_0
	v_sub_nc_u32_e32 v15, v4, v12
	s_or_b32 s2, s0, s2
	v_cmp_ge_i32_e64 s0, v4, v12
	v_cndmask_b32_e64 v5, 0, v15, s0
	s_and_b32 s0, s1, s2
	s_mov_b32 s1, 0
	v_cndmask_b32_e64 v11, v13, v14, s0
	s_mov_b32 s2, exec_lo
	ds_write_b8 v10, v11
	; wave barrier
	v_cmpx_lt_i32_e64 v5, v6
	s_cbranch_execnz .LBB50_9
; %bb.7:
	s_or_b32 exec_lo, exec_lo, s2
	s_and_saveexec_b32 s0, vcc_lo
	s_cbranch_execnz .LBB50_12
.LBB50_8:
	s_endpgm
.LBB50_9:
	v_add_nc_u32_e32 v10, v3, v9
	v_add3_u32 v11, v3, v8, v4
	.p2align	6
.LBB50_10:                              ; =>This Inner Loop Header: Depth=1
	v_sub_nc_u32_e32 v12, v6, v5
	v_lshrrev_b32_e32 v12, 1, v12
	v_add_nc_u32_e32 v12, v12, v5
	v_add_nc_u32_e32 v13, v10, v12
	v_xad_u32 v14, v12, -1, v11
	v_add_nc_u32_e32 v15, 1, v12
	ds_read_i8 v13, v13
	ds_read_i8 v14, v14
	s_waitcnt lgkmcnt(0)
	v_cmp_lt_i16_e64 s0, v14, v13
	v_cndmask_b32_e64 v6, v6, v12, s0
	v_cndmask_b32_e64 v5, v15, v5, s0
	v_cmp_ge_i32_e64 s0, v5, v6
	s_or_b32 s1, s0, s1
	s_andn2_b32 exec_lo, exec_lo, s1
	s_cbranch_execnz .LBB50_10
; %bb.11:
	s_or_b32 exec_lo, exec_lo, s1
	s_or_b32 exec_lo, exec_lo, s2
	s_and_saveexec_b32 s0, vcc_lo
	s_cbranch_execz .LBB50_8
.LBB50_12:
	v_add_nc_u32_e32 v4, v8, v4
	v_add_co_u32 v2, s0, s6, v2
	v_sub_nc_u32_e32 v4, v4, v5
	v_add_nc_u32_e32 v5, v5, v9
	v_add_nc_u32_e32 v6, v3, v4
	;; [unrolled: 1-line block ×3, first 2 shown]
	v_cmp_le_i32_e32 vcc_lo, v8, v5
	v_add_co_ci_u32_e64 v5, null, s7, 0, s0
	ds_read_u8 v6, v6
	ds_read_u8 v3, v3
	v_cmp_gt_i32_e64 s0, v7, v4
	s_waitcnt lgkmcnt(0)
	v_cmp_lt_i16_sdwa s1, sext(v6), sext(v3) src0_sel:BYTE_0 src1_sel:BYTE_0
	s_or_b32 s1, vcc_lo, s1
	v_add_co_u32 v0, vcc_lo, v2, v0
	v_add_co_ci_u32_e64 v1, null, v5, v1, vcc_lo
	s_and_b32 vcc_lo, s0, s1
	v_cndmask_b32_e32 v2, v3, v6, vcc_lo
	global_store_byte v[0:1], v2, off
	s_endpgm
	.section	.rodata,"a",@progbits
	.p2align	6, 0x0
	.amdhsa_kernel _Z19sort_keys_segmentedILj256ELj4ELj1EaN10test_utils4lessEEvPKT2_PS2_PKjT3_
		.amdhsa_group_segment_fixed_size 320
		.amdhsa_private_segment_fixed_size 0
		.amdhsa_kernarg_size 28
		.amdhsa_user_sgpr_count 6
		.amdhsa_user_sgpr_private_segment_buffer 1
		.amdhsa_user_sgpr_dispatch_ptr 0
		.amdhsa_user_sgpr_queue_ptr 0
		.amdhsa_user_sgpr_kernarg_segment_ptr 1
		.amdhsa_user_sgpr_dispatch_id 0
		.amdhsa_user_sgpr_flat_scratch_init 0
		.amdhsa_user_sgpr_private_segment_size 0
		.amdhsa_wavefront_size32 1
		.amdhsa_uses_dynamic_stack 0
		.amdhsa_system_sgpr_private_segment_wavefront_offset 0
		.amdhsa_system_sgpr_workgroup_id_x 1
		.amdhsa_system_sgpr_workgroup_id_y 0
		.amdhsa_system_sgpr_workgroup_id_z 0
		.amdhsa_system_sgpr_workgroup_info 0
		.amdhsa_system_vgpr_workitem_id 0
		.amdhsa_next_free_vgpr 17
		.amdhsa_next_free_sgpr 8
		.amdhsa_reserve_vcc 1
		.amdhsa_reserve_flat_scratch 0
		.amdhsa_float_round_mode_32 0
		.amdhsa_float_round_mode_16_64 0
		.amdhsa_float_denorm_mode_32 3
		.amdhsa_float_denorm_mode_16_64 3
		.amdhsa_dx10_clamp 1
		.amdhsa_ieee_mode 1
		.amdhsa_fp16_overflow 0
		.amdhsa_workgroup_processor_mode 1
		.amdhsa_memory_ordered 1
		.amdhsa_forward_progress 1
		.amdhsa_shared_vgpr_count 0
		.amdhsa_exception_fp_ieee_invalid_op 0
		.amdhsa_exception_fp_denorm_src 0
		.amdhsa_exception_fp_ieee_div_zero 0
		.amdhsa_exception_fp_ieee_overflow 0
		.amdhsa_exception_fp_ieee_underflow 0
		.amdhsa_exception_fp_ieee_inexact 0
		.amdhsa_exception_int_div_zero 0
	.end_amdhsa_kernel
	.section	.text._Z19sort_keys_segmentedILj256ELj4ELj1EaN10test_utils4lessEEvPKT2_PS2_PKjT3_,"axG",@progbits,_Z19sort_keys_segmentedILj256ELj4ELj1EaN10test_utils4lessEEvPKT2_PS2_PKjT3_,comdat
.Lfunc_end50:
	.size	_Z19sort_keys_segmentedILj256ELj4ELj1EaN10test_utils4lessEEvPKT2_PS2_PKjT3_, .Lfunc_end50-_Z19sort_keys_segmentedILj256ELj4ELj1EaN10test_utils4lessEEvPKT2_PS2_PKjT3_
                                        ; -- End function
	.set _Z19sort_keys_segmentedILj256ELj4ELj1EaN10test_utils4lessEEvPKT2_PS2_PKjT3_.num_vgpr, 17
	.set _Z19sort_keys_segmentedILj256ELj4ELj1EaN10test_utils4lessEEvPKT2_PS2_PKjT3_.num_agpr, 0
	.set _Z19sort_keys_segmentedILj256ELj4ELj1EaN10test_utils4lessEEvPKT2_PS2_PKjT3_.numbered_sgpr, 8
	.set _Z19sort_keys_segmentedILj256ELj4ELj1EaN10test_utils4lessEEvPKT2_PS2_PKjT3_.num_named_barrier, 0
	.set _Z19sort_keys_segmentedILj256ELj4ELj1EaN10test_utils4lessEEvPKT2_PS2_PKjT3_.private_seg_size, 0
	.set _Z19sort_keys_segmentedILj256ELj4ELj1EaN10test_utils4lessEEvPKT2_PS2_PKjT3_.uses_vcc, 1
	.set _Z19sort_keys_segmentedILj256ELj4ELj1EaN10test_utils4lessEEvPKT2_PS2_PKjT3_.uses_flat_scratch, 0
	.set _Z19sort_keys_segmentedILj256ELj4ELj1EaN10test_utils4lessEEvPKT2_PS2_PKjT3_.has_dyn_sized_stack, 0
	.set _Z19sort_keys_segmentedILj256ELj4ELj1EaN10test_utils4lessEEvPKT2_PS2_PKjT3_.has_recursion, 0
	.set _Z19sort_keys_segmentedILj256ELj4ELj1EaN10test_utils4lessEEvPKT2_PS2_PKjT3_.has_indirect_call, 0
	.section	.AMDGPU.csdata,"",@progbits
; Kernel info:
; codeLenInByte = 864
; TotalNumSgprs: 10
; NumVgprs: 17
; ScratchSize: 0
; MemoryBound: 0
; FloatMode: 240
; IeeeMode: 1
; LDSByteSize: 320 bytes/workgroup (compile time only)
; SGPRBlocks: 0
; VGPRBlocks: 2
; NumSGPRsForWavesPerEU: 10
; NumVGPRsForWavesPerEU: 17
; Occupancy: 16
; WaveLimiterHint : 0
; COMPUTE_PGM_RSRC2:SCRATCH_EN: 0
; COMPUTE_PGM_RSRC2:USER_SGPR: 6
; COMPUTE_PGM_RSRC2:TRAP_HANDLER: 0
; COMPUTE_PGM_RSRC2:TGID_X_EN: 1
; COMPUTE_PGM_RSRC2:TGID_Y_EN: 0
; COMPUTE_PGM_RSRC2:TGID_Z_EN: 0
; COMPUTE_PGM_RSRC2:TIDIG_COMP_CNT: 0
	.section	.text._Z20sort_pairs_segmentedILj256ELj4ELj1EaN10test_utils4lessEEvPKT2_PS2_PKjT3_,"axG",@progbits,_Z20sort_pairs_segmentedILj256ELj4ELj1EaN10test_utils4lessEEvPKT2_PS2_PKjT3_,comdat
	.protected	_Z20sort_pairs_segmentedILj256ELj4ELj1EaN10test_utils4lessEEvPKT2_PS2_PKjT3_ ; -- Begin function _Z20sort_pairs_segmentedILj256ELj4ELj1EaN10test_utils4lessEEvPKT2_PS2_PKjT3_
	.globl	_Z20sort_pairs_segmentedILj256ELj4ELj1EaN10test_utils4lessEEvPKT2_PS2_PKjT3_
	.p2align	8
	.type	_Z20sort_pairs_segmentedILj256ELj4ELj1EaN10test_utils4lessEEvPKT2_PS2_PKjT3_,@function
_Z20sort_pairs_segmentedILj256ELj4ELj1EaN10test_utils4lessEEvPKT2_PS2_PKjT3_: ; @_Z20sort_pairs_segmentedILj256ELj4ELj1EaN10test_utils4lessEEvPKT2_PS2_PKjT3_
; %bb.0:
	s_load_dwordx2 s[0:1], s[4:5], 0x10
	v_lshrrev_b32_e32 v3, 2, v0
	v_mov_b32_e32 v2, 0
	v_mbcnt_lo_u32_b32 v7, -1, 0
	v_lshl_or_b32 v1, s6, 6, v3
	s_load_dwordx4 s[4:7], s[4:5], 0x0
	v_and_b32_e32 v0, 3, v7
	v_lshlrev_b64 v[4:5], 2, v[1:2]
	v_lshlrev_b32_e32 v1, 2, v1
	s_waitcnt lgkmcnt(0)
	v_add_co_u32 v4, vcc_lo, s0, v4
	v_add_co_ci_u32_e64 v5, null, s1, v5, vcc_lo
	global_load_dword v4, v[4:5], off
	s_waitcnt vmcnt(0)
	v_cmp_ge_u32_e64 s0, v0, v4
	v_cmp_lt_u32_e32 vcc_lo, v0, v4
	s_and_saveexec_b32 s1, s0
	s_xor_b32 s0, exec_lo, s1
	s_or_saveexec_b32 s1, s0
                                        ; implicit-def: $vgpr5
	s_xor_b32 exec_lo, exec_lo, s1
	s_cbranch_execz .LBB51_2
; %bb.1:
	v_add_co_u32 v5, s0, s4, v1
	v_add_co_ci_u32_e64 v6, null, s5, 0, s0
	v_add_co_u32 v5, s0, v5, v0
	v_add_co_ci_u32_e64 v6, null, 0, v6, s0
	global_load_ubyte v5, v[5:6], off
.LBB51_2:
	s_or_b32 exec_lo, exec_lo, s1
	v_and_b32_e32 v6, 2, v7
	v_and_b32_e32 v10, 1, v7
	s_mov_b32 s2, 0
	s_mov_b32 s1, exec_lo
	v_min_i32_e32 v8, v4, v6
	; wave barrier
	v_add_nc_u32_e32 v6, 1, v8
	v_min_i32_e32 v6, v4, v6
	v_add_nc_u32_e32 v9, 1, v6
	v_sub_nc_u32_e32 v12, v6, v8
	v_min_i32_e32 v7, v4, v9
	v_min_i32_e32 v9, v4, v10
	v_sub_nc_u32_e32 v10, v7, v6
	v_sub_nc_u32_e32 v11, v9, v10
	v_cmp_ge_i32_e64 s0, v9, v10
	v_cndmask_b32_e64 v10, 0, v11, s0
	v_min_i32_e32 v11, v9, v12
	v_mad_u32_u24 v12, v3, 5, v0
	v_mul_u32_u24_e32 v3, 5, v3
	s_waitcnt vmcnt(0)
	ds_write_b8 v12, v5
	; wave barrier
	v_cmpx_lt_i32_e64 v10, v11
	s_cbranch_execz .LBB51_6
; %bb.3:
	v_add_nc_u32_e32 v12, v3, v8
	v_add3_u32 v13, v3, v6, v9
	.p2align	6
.LBB51_4:                               ; =>This Inner Loop Header: Depth=1
	v_sub_nc_u32_e32 v14, v11, v10
	v_lshrrev_b32_e32 v14, 1, v14
	v_add_nc_u32_e32 v14, v14, v10
	v_add_nc_u32_e32 v15, v12, v14
	v_xad_u32 v16, v14, -1, v13
	v_add_nc_u32_e32 v17, 1, v14
	ds_read_i8 v15, v15
	ds_read_i8 v16, v16
	s_waitcnt lgkmcnt(0)
	v_cmp_lt_i16_e64 s0, v16, v15
	v_cndmask_b32_e64 v11, v11, v14, s0
	v_cndmask_b32_e64 v10, v17, v10, s0
	v_cmp_ge_i32_e64 s0, v10, v11
	s_or_b32 s2, s0, s2
	s_andn2_b32 exec_lo, exec_lo, s2
	s_cbranch_execnz .LBB51_4
; %bb.5:
	s_or_b32 exec_lo, exec_lo, s2
.LBB51_6:
	s_or_b32 exec_lo, exec_lo, s1
	v_add_nc_u32_e32 v9, v6, v9
	v_add_nc_u32_e32 v11, v10, v8
	v_add_nc_u16 v5, v5, 1
	v_sub_nc_u32_e32 v9, v9, v10
	v_add_nc_u32_e32 v8, v3, v11
	v_cmp_le_i32_e64 s0, v6, v11
	v_add_nc_u32_e32 v10, v3, v9
	v_cmp_gt_i32_e64 s1, v7, v9
	v_add_nc_u32_e32 v7, v3, v0
	ds_read_u8 v12, v8
	ds_read_u8 v10, v10
	v_min_i32_e32 v8, 0, v4
	; wave barrier
	ds_write_b8 v7, v5
	v_add_nc_u32_e32 v6, 2, v8
	; wave barrier
	v_min_i32_e32 v6, v4, v6
	v_sub_nc_u32_e32 v13, v6, v8
	s_waitcnt lgkmcnt(1)
	v_cmp_lt_i16_sdwa s2, sext(v10), sext(v12) src0_sel:BYTE_0 src1_sel:BYTE_0
	s_or_b32 s0, s0, s2
	s_mov_b32 s2, 0
	s_and_b32 s0, s1, s0
	s_mov_b32 s1, exec_lo
	v_cndmask_b32_e64 v12, v12, v10, s0
	v_add_nc_u32_e32 v10, 2, v6
	v_cndmask_b32_e64 v9, v11, v9, s0
	v_min_i32_e32 v5, v4, v10
	v_add_nc_u32_e32 v10, v3, v9
	v_min_i32_e32 v9, v4, v0
	v_sub_nc_u32_e32 v11, v5, v6
	ds_read_u8 v4, v10
	; wave barrier
	ds_write_b8 v7, v12
	v_sub_nc_u32_e32 v10, v9, v11
	v_cmp_ge_i32_e64 s0, v9, v11
	v_min_i32_e32 v11, v9, v13
	; wave barrier
	v_cndmask_b32_e64 v10, 0, v10, s0
	v_cmpx_lt_i32_e64 v10, v11
	s_cbranch_execz .LBB51_10
; %bb.7:
	v_add_nc_u32_e32 v12, v3, v8
	v_add3_u32 v13, v3, v6, v9
	.p2align	6
.LBB51_8:                               ; =>This Inner Loop Header: Depth=1
	v_sub_nc_u32_e32 v14, v11, v10
	v_lshrrev_b32_e32 v14, 1, v14
	v_add_nc_u32_e32 v14, v14, v10
	v_add_nc_u32_e32 v15, v12, v14
	v_xad_u32 v16, v14, -1, v13
	v_add_nc_u32_e32 v17, 1, v14
	ds_read_i8 v15, v15
	ds_read_i8 v16, v16
	s_waitcnt lgkmcnt(0)
	v_cmp_lt_i16_e64 s0, v16, v15
	v_cndmask_b32_e64 v11, v11, v14, s0
	v_cndmask_b32_e64 v10, v17, v10, s0
	v_cmp_ge_i32_e64 s0, v10, v11
	s_or_b32 s2, s0, s2
	s_andn2_b32 exec_lo, exec_lo, s2
	s_cbranch_execnz .LBB51_8
; %bb.9:
	s_or_b32 exec_lo, exec_lo, s2
.LBB51_10:
	s_or_b32 exec_lo, exec_lo, s1
	v_add_nc_u32_e32 v9, v6, v9
	v_add_nc_u32_e32 v8, v10, v8
	v_sub_nc_u32_e32 v9, v9, v10
	v_add_nc_u32_e32 v10, v3, v8
	v_add_nc_u32_e32 v11, v3, v9
	ds_read_i8 v10, v10
	ds_read_i8 v11, v11
	; wave barrier
	s_waitcnt lgkmcnt(3)
	ds_write_b8 v7, v4
	; wave barrier
	s_and_saveexec_b32 s0, vcc_lo
	s_cbranch_execz .LBB51_12
; %bb.11:
	v_cmp_le_i32_e32 vcc_lo, v6, v8
	s_waitcnt lgkmcnt(1)
	v_cmp_lt_i16_sdwa s1, sext(v11), sext(v10) src0_sel:BYTE_0 src1_sel:BYTE_0
	v_cmp_gt_i32_e64 s0, v5, v9
	s_or_b32 s1, vcc_lo, s1
	s_and_b32 vcc_lo, s0, s1
	v_add_co_u32 v1, s0, s6, v1
	v_cndmask_b32_e32 v5, v8, v9, vcc_lo
	v_cndmask_b32_e32 v4, v10, v11, vcc_lo
	v_add_co_u32 v0, vcc_lo, v1, v0
	v_add_nc_u32_e32 v3, v3, v5
	v_add_co_ci_u32_e64 v5, null, s7, 0, s0
	ds_read_u8 v3, v3
	v_add_co_ci_u32_e64 v1, null, v5, v2, vcc_lo
	s_waitcnt lgkmcnt(0)
	v_add_nc_u16 v3, v3, v4
	global_store_byte v[0:1], v3, off
.LBB51_12:
	s_endpgm
	.section	.rodata,"a",@progbits
	.p2align	6, 0x0
	.amdhsa_kernel _Z20sort_pairs_segmentedILj256ELj4ELj1EaN10test_utils4lessEEvPKT2_PS2_PKjT3_
		.amdhsa_group_segment_fixed_size 320
		.amdhsa_private_segment_fixed_size 0
		.amdhsa_kernarg_size 28
		.amdhsa_user_sgpr_count 6
		.amdhsa_user_sgpr_private_segment_buffer 1
		.amdhsa_user_sgpr_dispatch_ptr 0
		.amdhsa_user_sgpr_queue_ptr 0
		.amdhsa_user_sgpr_kernarg_segment_ptr 1
		.amdhsa_user_sgpr_dispatch_id 0
		.amdhsa_user_sgpr_flat_scratch_init 0
		.amdhsa_user_sgpr_private_segment_size 0
		.amdhsa_wavefront_size32 1
		.amdhsa_uses_dynamic_stack 0
		.amdhsa_system_sgpr_private_segment_wavefront_offset 0
		.amdhsa_system_sgpr_workgroup_id_x 1
		.amdhsa_system_sgpr_workgroup_id_y 0
		.amdhsa_system_sgpr_workgroup_id_z 0
		.amdhsa_system_sgpr_workgroup_info 0
		.amdhsa_system_vgpr_workitem_id 0
		.amdhsa_next_free_vgpr 18
		.amdhsa_next_free_sgpr 8
		.amdhsa_reserve_vcc 1
		.amdhsa_reserve_flat_scratch 0
		.amdhsa_float_round_mode_32 0
		.amdhsa_float_round_mode_16_64 0
		.amdhsa_float_denorm_mode_32 3
		.amdhsa_float_denorm_mode_16_64 3
		.amdhsa_dx10_clamp 1
		.amdhsa_ieee_mode 1
		.amdhsa_fp16_overflow 0
		.amdhsa_workgroup_processor_mode 1
		.amdhsa_memory_ordered 1
		.amdhsa_forward_progress 1
		.amdhsa_shared_vgpr_count 0
		.amdhsa_exception_fp_ieee_invalid_op 0
		.amdhsa_exception_fp_denorm_src 0
		.amdhsa_exception_fp_ieee_div_zero 0
		.amdhsa_exception_fp_ieee_overflow 0
		.amdhsa_exception_fp_ieee_underflow 0
		.amdhsa_exception_fp_ieee_inexact 0
		.amdhsa_exception_int_div_zero 0
	.end_amdhsa_kernel
	.section	.text._Z20sort_pairs_segmentedILj256ELj4ELj1EaN10test_utils4lessEEvPKT2_PS2_PKjT3_,"axG",@progbits,_Z20sort_pairs_segmentedILj256ELj4ELj1EaN10test_utils4lessEEvPKT2_PS2_PKjT3_,comdat
.Lfunc_end51:
	.size	_Z20sort_pairs_segmentedILj256ELj4ELj1EaN10test_utils4lessEEvPKT2_PS2_PKjT3_, .Lfunc_end51-_Z20sort_pairs_segmentedILj256ELj4ELj1EaN10test_utils4lessEEvPKT2_PS2_PKjT3_
                                        ; -- End function
	.set _Z20sort_pairs_segmentedILj256ELj4ELj1EaN10test_utils4lessEEvPKT2_PS2_PKjT3_.num_vgpr, 18
	.set _Z20sort_pairs_segmentedILj256ELj4ELj1EaN10test_utils4lessEEvPKT2_PS2_PKjT3_.num_agpr, 0
	.set _Z20sort_pairs_segmentedILj256ELj4ELj1EaN10test_utils4lessEEvPKT2_PS2_PKjT3_.numbered_sgpr, 8
	.set _Z20sort_pairs_segmentedILj256ELj4ELj1EaN10test_utils4lessEEvPKT2_PS2_PKjT3_.num_named_barrier, 0
	.set _Z20sort_pairs_segmentedILj256ELj4ELj1EaN10test_utils4lessEEvPKT2_PS2_PKjT3_.private_seg_size, 0
	.set _Z20sort_pairs_segmentedILj256ELj4ELj1EaN10test_utils4lessEEvPKT2_PS2_PKjT3_.uses_vcc, 1
	.set _Z20sort_pairs_segmentedILj256ELj4ELj1EaN10test_utils4lessEEvPKT2_PS2_PKjT3_.uses_flat_scratch, 0
	.set _Z20sort_pairs_segmentedILj256ELj4ELj1EaN10test_utils4lessEEvPKT2_PS2_PKjT3_.has_dyn_sized_stack, 0
	.set _Z20sort_pairs_segmentedILj256ELj4ELj1EaN10test_utils4lessEEvPKT2_PS2_PKjT3_.has_recursion, 0
	.set _Z20sort_pairs_segmentedILj256ELj4ELj1EaN10test_utils4lessEEvPKT2_PS2_PKjT3_.has_indirect_call, 0
	.section	.AMDGPU.csdata,"",@progbits
; Kernel info:
; codeLenInByte = 904
; TotalNumSgprs: 10
; NumVgprs: 18
; ScratchSize: 0
; MemoryBound: 0
; FloatMode: 240
; IeeeMode: 1
; LDSByteSize: 320 bytes/workgroup (compile time only)
; SGPRBlocks: 0
; VGPRBlocks: 2
; NumSGPRsForWavesPerEU: 10
; NumVGPRsForWavesPerEU: 18
; Occupancy: 16
; WaveLimiterHint : 0
; COMPUTE_PGM_RSRC2:SCRATCH_EN: 0
; COMPUTE_PGM_RSRC2:USER_SGPR: 6
; COMPUTE_PGM_RSRC2:TRAP_HANDLER: 0
; COMPUTE_PGM_RSRC2:TGID_X_EN: 1
; COMPUTE_PGM_RSRC2:TGID_Y_EN: 0
; COMPUTE_PGM_RSRC2:TGID_Z_EN: 0
; COMPUTE_PGM_RSRC2:TIDIG_COMP_CNT: 0
	.section	.text._Z9sort_keysILj256ELj4ELj4EaN10test_utils4lessEEvPKT2_PS2_T3_,"axG",@progbits,_Z9sort_keysILj256ELj4ELj4EaN10test_utils4lessEEvPKT2_PS2_T3_,comdat
	.protected	_Z9sort_keysILj256ELj4ELj4EaN10test_utils4lessEEvPKT2_PS2_T3_ ; -- Begin function _Z9sort_keysILj256ELj4ELj4EaN10test_utils4lessEEvPKT2_PS2_T3_
	.globl	_Z9sort_keysILj256ELj4ELj4EaN10test_utils4lessEEvPKT2_PS2_T3_
	.p2align	8
	.type	_Z9sort_keysILj256ELj4ELj4EaN10test_utils4lessEEvPKT2_PS2_T3_,@function
_Z9sort_keysILj256ELj4ELj4EaN10test_utils4lessEEvPKT2_PS2_T3_: ; @_Z9sort_keysILj256ELj4ELj4EaN10test_utils4lessEEvPKT2_PS2_T3_
; %bb.0:
	s_load_dwordx4 s[8:11], s[4:5], 0x0
	s_lshl_b32 s3, s6, 10
	v_lshlrev_b32_e32 v1, 2, v0
	v_lshrrev_b32_e32 v0, 2, v0
	s_waitcnt lgkmcnt(0)
	s_add_u32 s0, s8, s3
	s_addc_u32 s1, s9, 0
	global_load_dword v2, v1, s[0:1]
	s_mov_b32 s1, exec_lo
	; wave barrier
	s_waitcnt vmcnt(0)
	v_lshrrev_b32_e32 v3, 8, v2
	v_bfe_i32 v4, v2, 0, 8
	v_perm_b32 v5, v2, v2, 0x7060405
	v_bfe_i32 v3, v3, 0, 8
	v_cmp_lt_i16_e32 vcc_lo, v3, v4
	v_cndmask_b32_e32 v2, v2, v5, vcc_lo
	v_lshrrev_b32_e32 v5, 16, v2
	v_lshrrev_b32_e32 v6, 24, v2
	v_perm_b32 v7, 0, v5, 0xc0c0001
	v_bfe_i32 v6, v6, 0, 8
	v_bfe_i32 v5, v5, 0, 8
	v_lshlrev_b32_e32 v7, 16, v7
	v_min_i16 v8, v6, v5
	v_cmp_lt_i16_e32 vcc_lo, v6, v5
	v_and_or_b32 v7, 0xffff, v2, v7
	v_lshlrev_b16 v9, 8, v8
	v_cndmask_b32_e32 v2, v2, v7, vcc_lo
	v_min_i16 v7, v3, v4
	v_max_i16 v3, v3, v4
	v_or_b32_sdwa v4, v2, v9 dst_sel:DWORD dst_unused:UNUSED_PAD src0_sel:BYTE_0 src1_sel:DWORD
	v_lshlrev_b16 v9, 8, v7
	v_min_i16 v10, v8, v3
	v_perm_b32 v11, v3, v2, 0xc0c0304
	v_cmp_lt_i16_e32 vcc_lo, v8, v3
	v_and_b32_e32 v4, 0xffff, v4
	v_or_b32_sdwa v9, v10, v9 dst_sel:DWORD dst_unused:UNUSED_PAD src0_sel:BYTE_0 src1_sel:DWORD
	v_lshl_or_b32 v4, v11, 16, v4
	v_max_i16 v11, v8, v3
	v_and_b32_e32 v9, 0xffff, v9
	v_cndmask_b32_e32 v2, v2, v4, vcc_lo
	v_max_i16 v4, v6, v5
	v_lshlrev_b16 v5, 8, v11
	v_cmp_lt_i16_e32 vcc_lo, v8, v7
	v_and_or_b32 v6, 0xffff0000, v2, v9
	v_cmp_gt_i16_e64 s0, v3, v4
	v_or_b32_sdwa v5, v4, v5 dst_sel:WORD_1 dst_unused:UNUSED_PAD src0_sel:BYTE_0 src1_sel:DWORD
	v_mbcnt_lo_u32_b32 v3, -1, 0
	v_cndmask_b32_e32 v10, v10, v7, vcc_lo
	v_cndmask_b32_e32 v2, v2, v6, vcc_lo
	v_cndmask_b32_e64 v11, v11, v4, s0
	v_lshlrev_b32_e32 v3, 2, v3
	v_and_or_b32 v5, 0xffff, v2, v5
	v_cmp_lt_i16_e32 vcc_lo, v11, v10
	v_and_b32_e32 v6, 4, v3
	v_cndmask_b32_e64 v9, v2, v5, s0
	v_lshlrev_b16 v2, 8, v11
	v_and_b32_e32 v5, 8, v3
	s_mov_b32 s0, 0
	v_perm_b32 v7, v10, v9, 0xc0c0304
	v_or_b32_sdwa v2, v9, v2 dst_sel:DWORD dst_unused:UNUSED_PAD src0_sel:BYTE_0 src1_sel:DWORD
	v_or_b32_e32 v4, 4, v5
	v_and_b32_e32 v8, 0xffff, v2
	v_and_b32_e32 v2, 12, v3
	v_sub_nc_u32_e32 v12, v4, v5
	v_lshl_or_b32 v13, v7, 16, v8
	v_mov_b32_e32 v8, 0
	v_mad_u32_u24 v3, v0, 17, v2
	v_min_i32_e32 v7, v6, v12
	v_mul_u32_u24_e32 v0, 17, v0
	v_cndmask_b32_e32 v9, v9, v13, vcc_lo
	ds_write_b32 v3, v9
	; wave barrier
	v_cmpx_lt_i32_e32 0, v7
	s_cbranch_execz .LBB52_4
; %bb.1:
	v_add_nc_u32_e32 v9, v0, v5
	v_mov_b32_e32 v8, 0
	v_add_nc_u32_e32 v10, v9, v6
	.p2align	6
.LBB52_2:                               ; =>This Inner Loop Header: Depth=1
	v_sub_nc_u32_e32 v11, v7, v8
	v_lshrrev_b32_e32 v11, 1, v11
	v_add_nc_u32_e32 v11, v11, v8
	v_add_nc_u32_e32 v12, v9, v11
	v_xad_u32 v13, v11, -1, v10
	v_add_nc_u32_e32 v14, 1, v11
	ds_read_i8 v12, v12
	ds_read_i8 v13, v13 offset:4
	s_waitcnt lgkmcnt(0)
	v_cmp_lt_i16_e32 vcc_lo, v13, v12
	v_cndmask_b32_e32 v7, v7, v11, vcc_lo
	v_cndmask_b32_e32 v8, v14, v8, vcc_lo
	v_cmp_ge_i32_e32 vcc_lo, v8, v7
	s_or_b32 s0, vcc_lo, s0
	s_andn2_b32 exec_lo, exec_lo, s0
	s_cbranch_execnz .LBB52_2
; %bb.3:
	s_or_b32 exec_lo, exec_lo, s0
.LBB52_4:
	s_or_b32 exec_lo, exec_lo, s1
	v_add_nc_u32_e32 v7, v5, v6
	v_add_nc_u32_e32 v10, v8, v5
	;; [unrolled: 1-line block ×4, first 2 shown]
	v_cmp_lt_i32_e32 vcc_lo, 3, v8
	v_sub_nc_u32_e32 v7, v7, v8
	v_add_nc_u32_e32 v9, v0, v10
	v_add_nc_u32_e32 v12, v0, v7
	ds_read_u8 v7, v9
	ds_read_u8 v11, v12 offset:4
	s_waitcnt lgkmcnt(1)
	v_bfe_i32 v6, v7, 0, 8
	s_waitcnt lgkmcnt(0)
	v_bfe_i32 v7, v11, 0, 8
	v_sub_nc_u32_e32 v11, v13, v8
                                        ; implicit-def: $vgpr8
	v_cmp_lt_i16_e64 s0, v7, v6
	v_cmp_gt_i32_e64 s1, v5, v11
	s_or_b32 s0, vcc_lo, s0
	s_and_b32 vcc_lo, s1, s0
	s_xor_b32 s0, vcc_lo, -1
	s_and_saveexec_b32 s1, s0
	s_xor_b32 s0, exec_lo, s1
; %bb.5:
	ds_read_u8 v8, v9 offset:1
                                        ; implicit-def: $vgpr12
; %bb.6:
	s_or_saveexec_b32 s0, s0
	v_mov_b32_e32 v9, v7
	s_xor_b32 exec_lo, exec_lo, s0
	s_cbranch_execz .LBB52_8
; %bb.7:
	ds_read_u8 v9, v12 offset:5
	s_waitcnt lgkmcnt(1)
	v_mov_b32_e32 v8, v6
.LBB52_8:
	s_or_b32 exec_lo, exec_lo, s0
	v_add_nc_u32_e32 v12, 1, v10
	v_add_nc_u32_e32 v14, 1, v11
	s_waitcnt lgkmcnt(0)
	v_cmp_lt_i16_sdwa s2, sext(v9), sext(v8) src0_sel:BYTE_0 src1_sel:BYTE_0
	v_cndmask_b32_e32 v13, v12, v10, vcc_lo
	v_cndmask_b32_e32 v12, v11, v14, vcc_lo
                                        ; implicit-def: $vgpr10
	v_cmp_ge_i32_e64 s0, v13, v4
	v_cmp_lt_i32_e64 s1, v12, v5
	s_or_b32 s0, s0, s2
	s_and_b32 s0, s1, s0
	s_xor_b32 s1, s0, -1
	s_and_saveexec_b32 s2, s1
	s_xor_b32 s1, exec_lo, s2
; %bb.9:
	v_add_nc_u32_e32 v10, v0, v13
	ds_read_u8 v10, v10 offset:1
; %bb.10:
	s_or_saveexec_b32 s1, s1
	v_mov_b32_e32 v11, v9
	s_xor_b32 exec_lo, exec_lo, s1
	s_cbranch_execz .LBB52_12
; %bb.11:
	s_waitcnt lgkmcnt(0)
	v_add_nc_u32_e32 v10, v0, v12
	ds_read_u8 v11, v10 offset:1
	v_mov_b32_e32 v10, v8
.LBB52_12:
	s_or_b32 exec_lo, exec_lo, s1
	v_add_nc_u32_e32 v14, 1, v13
	v_add_nc_u32_e32 v15, 1, v12
	s_waitcnt lgkmcnt(0)
	v_cmp_lt_i16_sdwa s4, sext(v11), sext(v10) src0_sel:BYTE_0 src1_sel:BYTE_0
	v_cndmask_b32_e64 v14, v14, v13, s0
	v_cndmask_b32_e64 v13, v12, v15, s0
                                        ; implicit-def: $vgpr12
	v_cmp_ge_i32_e64 s1, v14, v4
	v_cmp_lt_i32_e64 s2, v13, v5
	s_or_b32 s1, s1, s4
	s_and_b32 s1, s2, s1
	s_xor_b32 s2, s1, -1
	s_and_saveexec_b32 s4, s2
	s_xor_b32 s2, exec_lo, s4
; %bb.13:
	v_add_nc_u32_e32 v12, v0, v14
	ds_read_u8 v12, v12 offset:1
; %bb.14:
	s_or_saveexec_b32 s2, s2
	v_mov_b32_e32 v15, v11
	s_xor_b32 exec_lo, exec_lo, s2
	s_cbranch_execz .LBB52_16
; %bb.15:
	s_waitcnt lgkmcnt(0)
	v_add_nc_u32_e32 v12, v0, v13
	ds_read_u8 v15, v12 offset:1
	v_mov_b32_e32 v12, v10
.LBB52_16:
	s_or_b32 exec_lo, exec_lo, s2
	v_add_nc_u32_e32 v16, 1, v14
	v_add_nc_u32_e32 v17, 1, v13
	v_cndmask_b32_e64 v10, v10, v11, s1
	v_cndmask_b32_e64 v8, v8, v9, s0
	v_cndmask_b32_e32 v7, v6, v7, vcc_lo
	v_cndmask_b32_e64 v11, v16, v14, s1
	v_cndmask_b32_e64 v9, v13, v17, s1
	s_waitcnt lgkmcnt(0)
	v_cmp_lt_i16_sdwa s1, sext(v15), sext(v12) src0_sel:BYTE_0 src1_sel:BYTE_0
	v_sub_nc_u32_e64 v6, v2, 8 clamp
	v_cmp_ge_i32_e32 vcc_lo, v11, v4
	v_cmp_lt_i32_e64 s0, v9, v5
	v_min_u32_e32 v4, 8, v2
	; wave barrier
	s_or_b32 s1, vcc_lo, s1
	s_and_b32 vcc_lo, s0, s1
	s_mov_b32 s0, exec_lo
	v_cndmask_b32_e32 v5, v12, v15, vcc_lo
	ds_write_b8 v3, v7
	ds_write_b8 v3, v8 offset:1
	ds_write_b8 v3, v10 offset:2
	;; [unrolled: 1-line block ×3, first 2 shown]
	; wave barrier
	v_cmpx_lt_u32_e64 v6, v4
	s_cbranch_execz .LBB52_20
; %bb.17:
	s_mov_b32 s1, 0
	.p2align	6
.LBB52_18:                              ; =>This Inner Loop Header: Depth=1
	v_sub_nc_u32_e32 v5, v4, v6
	v_lshrrev_b32_e32 v5, 1, v5
	v_add_nc_u32_e32 v5, v5, v6
	v_add_nc_u32_e32 v7, v0, v5
	v_xad_u32 v8, v5, -1, v3
	v_add_nc_u32_e32 v9, 1, v5
	ds_read_i8 v7, v7
	ds_read_i8 v8, v8 offset:8
	s_waitcnt lgkmcnt(0)
	v_cmp_lt_i16_e32 vcc_lo, v8, v7
	v_cndmask_b32_e32 v4, v4, v5, vcc_lo
	v_cndmask_b32_e32 v6, v9, v6, vcc_lo
	v_cmp_ge_i32_e32 vcc_lo, v6, v4
	s_or_b32 s1, vcc_lo, s1
	s_andn2_b32 exec_lo, exec_lo, s1
	s_cbranch_execnz .LBB52_18
; %bb.19:
	s_or_b32 exec_lo, exec_lo, s1
.LBB52_20:
	s_or_b32 exec_lo, exec_lo, s0
	v_sub_nc_u32_e32 v4, v2, v6
	v_add_nc_u32_e32 v5, v0, v6
	v_cmp_lt_i32_e32 vcc_lo, 7, v6
	v_add_nc_u32_e32 v8, v0, v4
	v_add_nc_u32_e32 v7, 8, v4
                                        ; implicit-def: $vgpr4
	ds_read_u8 v2, v5
	ds_read_u8 v3, v8 offset:8
	v_cmp_gt_i32_e64 s1, 16, v7
	s_waitcnt lgkmcnt(1)
	v_bfe_i32 v2, v2, 0, 8
	s_waitcnt lgkmcnt(0)
	v_bfe_i32 v3, v3, 0, 8
	v_cmp_lt_i16_e64 s0, v3, v2
	s_or_b32 s0, vcc_lo, s0
	s_and_b32 s0, s1, s0
	s_xor_b32 s1, s0, -1
	s_and_saveexec_b32 s2, s1
	s_xor_b32 s1, exec_lo, s2
; %bb.21:
	ds_read_u8 v4, v5 offset:1
                                        ; implicit-def: $vgpr8
; %bb.22:
	s_or_saveexec_b32 s1, s1
	v_mov_b32_e32 v5, v3
	s_xor_b32 exec_lo, exec_lo, s1
	s_cbranch_execz .LBB52_24
; %bb.23:
	ds_read_u8 v5, v8 offset:9
	s_waitcnt lgkmcnt(1)
	v_mov_b32_e32 v4, v2
.LBB52_24:
	s_or_b32 exec_lo, exec_lo, s1
	v_add_nc_u32_e32 v8, 1, v6
	v_add_nc_u32_e32 v10, 1, v7
	s_waitcnt lgkmcnt(0)
	v_cmp_lt_i16_sdwa s2, sext(v5), sext(v4) src0_sel:BYTE_0 src1_sel:BYTE_0
	v_cndmask_b32_e64 v9, v8, v6, s0
	v_cndmask_b32_e64 v8, v7, v10, s0
                                        ; implicit-def: $vgpr7
	v_cmp_lt_i32_e32 vcc_lo, 7, v9
	v_cmp_gt_i32_e64 s1, 16, v8
	s_or_b32 s2, vcc_lo, s2
	s_and_b32 vcc_lo, s1, s2
	s_xor_b32 s1, vcc_lo, -1
	s_and_saveexec_b32 s2, s1
	s_xor_b32 s1, exec_lo, s2
; %bb.25:
	v_add_nc_u32_e32 v6, v0, v9
	ds_read_u8 v7, v6 offset:1
; %bb.26:
	s_or_saveexec_b32 s1, s1
	v_mov_b32_e32 v6, v5
	s_xor_b32 exec_lo, exec_lo, s1
	s_cbranch_execz .LBB52_28
; %bb.27:
	v_add_nc_u32_e32 v6, v0, v8
	s_waitcnt lgkmcnt(0)
	v_mov_b32_e32 v7, v4
	ds_read_u8 v6, v6 offset:1
.LBB52_28:
	s_or_b32 exec_lo, exec_lo, s1
	v_add_nc_u32_e32 v10, 1, v9
	v_add_nc_u32_e32 v11, 1, v8
	s_waitcnt lgkmcnt(0)
	v_cmp_ge_i16_sdwa s4, sext(v6), sext(v7) src0_sel:BYTE_0 src1_sel:BYTE_0
                                        ; implicit-def: $vgpr12
	v_cndmask_b32_e32 v10, v10, v9, vcc_lo
	v_cndmask_b32_e32 v8, v8, v11, vcc_lo
                                        ; implicit-def: $vgpr9
	v_cmp_gt_i32_e64 s1, 8, v10
	v_cmp_lt_i32_e64 s2, 15, v8
	s_and_b32 s1, s1, s4
	s_or_b32 s1, s2, s1
	s_and_saveexec_b32 s2, s1
	s_xor_b32 s1, exec_lo, s2
; %bb.29:
	v_add_nc_u32_e32 v0, v0, v10
	v_add_nc_u32_e32 v12, 1, v10
                                        ; implicit-def: $vgpr10
	ds_read_u8 v9, v0 offset:1
                                        ; implicit-def: $vgpr0
; %bb.30:
	s_or_saveexec_b32 s1, s1
	v_mov_b32_e32 v11, v7
	s_xor_b32 exec_lo, exec_lo, s1
	s_cbranch_execz .LBB52_32
; %bb.31:
	v_add_nc_u32_e32 v0, v0, v8
	v_add_nc_u32_e32 v8, 1, v8
	v_mov_b32_e32 v11, v6
	v_mov_b32_e32 v12, v10
	s_waitcnt lgkmcnt(0)
	v_mov_b32_e32 v9, v7
	ds_read_u8 v0, v0 offset:1
	s_waitcnt lgkmcnt(0)
	v_mov_b32_e32 v6, v0
.LBB52_32:
	s_or_b32 exec_lo, exec_lo, s1
	v_cmp_lt_i32_e64 s1, 7, v12
	s_waitcnt lgkmcnt(0)
	v_cmp_lt_i16_sdwa s4, sext(v6), sext(v9) src0_sel:BYTE_0 src1_sel:BYTE_0
	v_cmp_gt_i32_e64 s2, 16, v8
	v_cndmask_b32_sdwa v4, v4, v5, vcc_lo dst_sel:BYTE_1 dst_unused:UNUSED_PAD src0_sel:DWORD src1_sel:DWORD
	v_cndmask_b32_e64 v2, v2, v3, s0
	s_or_b32 s1, s1, s4
	s_and_b32 s1, s2, s1
	v_or_b32_sdwa v2, v2, v4 dst_sel:DWORD dst_unused:UNUSED_PAD src0_sel:BYTE_0 src1_sel:DWORD
	v_cndmask_b32_e64 v0, v9, v6, s1
	s_add_u32 s0, s10, s3
	s_addc_u32 s1, s11, 0
	v_lshlrev_b16 v0, 8, v0
	v_or_b32_sdwa v3, v11, v0 dst_sel:WORD_1 dst_unused:UNUSED_PAD src0_sel:BYTE_0 src1_sel:DWORD
	v_add_co_u32 v0, s0, s0, v1
	v_add_co_ci_u32_e64 v1, null, s1, 0, s0
	v_or_b32_sdwa v2, v2, v3 dst_sel:DWORD dst_unused:UNUSED_PAD src0_sel:WORD_0 src1_sel:DWORD
	global_store_dword v[0:1], v2, off
	s_endpgm
	.section	.rodata,"a",@progbits
	.p2align	6, 0x0
	.amdhsa_kernel _Z9sort_keysILj256ELj4ELj4EaN10test_utils4lessEEvPKT2_PS2_T3_
		.amdhsa_group_segment_fixed_size 1088
		.amdhsa_private_segment_fixed_size 0
		.amdhsa_kernarg_size 20
		.amdhsa_user_sgpr_count 6
		.amdhsa_user_sgpr_private_segment_buffer 1
		.amdhsa_user_sgpr_dispatch_ptr 0
		.amdhsa_user_sgpr_queue_ptr 0
		.amdhsa_user_sgpr_kernarg_segment_ptr 1
		.amdhsa_user_sgpr_dispatch_id 0
		.amdhsa_user_sgpr_flat_scratch_init 0
		.amdhsa_user_sgpr_private_segment_size 0
		.amdhsa_wavefront_size32 1
		.amdhsa_uses_dynamic_stack 0
		.amdhsa_system_sgpr_private_segment_wavefront_offset 0
		.amdhsa_system_sgpr_workgroup_id_x 1
		.amdhsa_system_sgpr_workgroup_id_y 0
		.amdhsa_system_sgpr_workgroup_id_z 0
		.amdhsa_system_sgpr_workgroup_info 0
		.amdhsa_system_vgpr_workitem_id 0
		.amdhsa_next_free_vgpr 18
		.amdhsa_next_free_sgpr 12
		.amdhsa_reserve_vcc 1
		.amdhsa_reserve_flat_scratch 0
		.amdhsa_float_round_mode_32 0
		.amdhsa_float_round_mode_16_64 0
		.amdhsa_float_denorm_mode_32 3
		.amdhsa_float_denorm_mode_16_64 3
		.amdhsa_dx10_clamp 1
		.amdhsa_ieee_mode 1
		.amdhsa_fp16_overflow 0
		.amdhsa_workgroup_processor_mode 1
		.amdhsa_memory_ordered 1
		.amdhsa_forward_progress 1
		.amdhsa_shared_vgpr_count 0
		.amdhsa_exception_fp_ieee_invalid_op 0
		.amdhsa_exception_fp_denorm_src 0
		.amdhsa_exception_fp_ieee_div_zero 0
		.amdhsa_exception_fp_ieee_overflow 0
		.amdhsa_exception_fp_ieee_underflow 0
		.amdhsa_exception_fp_ieee_inexact 0
		.amdhsa_exception_int_div_zero 0
	.end_amdhsa_kernel
	.section	.text._Z9sort_keysILj256ELj4ELj4EaN10test_utils4lessEEvPKT2_PS2_T3_,"axG",@progbits,_Z9sort_keysILj256ELj4ELj4EaN10test_utils4lessEEvPKT2_PS2_T3_,comdat
.Lfunc_end52:
	.size	_Z9sort_keysILj256ELj4ELj4EaN10test_utils4lessEEvPKT2_PS2_T3_, .Lfunc_end52-_Z9sort_keysILj256ELj4ELj4EaN10test_utils4lessEEvPKT2_PS2_T3_
                                        ; -- End function
	.set _Z9sort_keysILj256ELj4ELj4EaN10test_utils4lessEEvPKT2_PS2_T3_.num_vgpr, 18
	.set _Z9sort_keysILj256ELj4ELj4EaN10test_utils4lessEEvPKT2_PS2_T3_.num_agpr, 0
	.set _Z9sort_keysILj256ELj4ELj4EaN10test_utils4lessEEvPKT2_PS2_T3_.numbered_sgpr, 12
	.set _Z9sort_keysILj256ELj4ELj4EaN10test_utils4lessEEvPKT2_PS2_T3_.num_named_barrier, 0
	.set _Z9sort_keysILj256ELj4ELj4EaN10test_utils4lessEEvPKT2_PS2_T3_.private_seg_size, 0
	.set _Z9sort_keysILj256ELj4ELj4EaN10test_utils4lessEEvPKT2_PS2_T3_.uses_vcc, 1
	.set _Z9sort_keysILj256ELj4ELj4EaN10test_utils4lessEEvPKT2_PS2_T3_.uses_flat_scratch, 0
	.set _Z9sort_keysILj256ELj4ELj4EaN10test_utils4lessEEvPKT2_PS2_T3_.has_dyn_sized_stack, 0
	.set _Z9sort_keysILj256ELj4ELj4EaN10test_utils4lessEEvPKT2_PS2_T3_.has_recursion, 0
	.set _Z9sort_keysILj256ELj4ELj4EaN10test_utils4lessEEvPKT2_PS2_T3_.has_indirect_call, 0
	.section	.AMDGPU.csdata,"",@progbits
; Kernel info:
; codeLenInByte = 1760
; TotalNumSgprs: 14
; NumVgprs: 18
; ScratchSize: 0
; MemoryBound: 0
; FloatMode: 240
; IeeeMode: 1
; LDSByteSize: 1088 bytes/workgroup (compile time only)
; SGPRBlocks: 0
; VGPRBlocks: 2
; NumSGPRsForWavesPerEU: 14
; NumVGPRsForWavesPerEU: 18
; Occupancy: 16
; WaveLimiterHint : 0
; COMPUTE_PGM_RSRC2:SCRATCH_EN: 0
; COMPUTE_PGM_RSRC2:USER_SGPR: 6
; COMPUTE_PGM_RSRC2:TRAP_HANDLER: 0
; COMPUTE_PGM_RSRC2:TGID_X_EN: 1
; COMPUTE_PGM_RSRC2:TGID_Y_EN: 0
; COMPUTE_PGM_RSRC2:TGID_Z_EN: 0
; COMPUTE_PGM_RSRC2:TIDIG_COMP_CNT: 0
	.section	.text._Z10sort_pairsILj256ELj4ELj4EaN10test_utils4lessEEvPKT2_PS2_T3_,"axG",@progbits,_Z10sort_pairsILj256ELj4ELj4EaN10test_utils4lessEEvPKT2_PS2_T3_,comdat
	.protected	_Z10sort_pairsILj256ELj4ELj4EaN10test_utils4lessEEvPKT2_PS2_T3_ ; -- Begin function _Z10sort_pairsILj256ELj4ELj4EaN10test_utils4lessEEvPKT2_PS2_T3_
	.globl	_Z10sort_pairsILj256ELj4ELj4EaN10test_utils4lessEEvPKT2_PS2_T3_
	.p2align	8
	.type	_Z10sort_pairsILj256ELj4ELj4EaN10test_utils4lessEEvPKT2_PS2_T3_,@function
_Z10sort_pairsILj256ELj4ELj4EaN10test_utils4lessEEvPKT2_PS2_T3_: ; @_Z10sort_pairsILj256ELj4ELj4EaN10test_utils4lessEEvPKT2_PS2_T3_
; %bb.0:
	s_load_dwordx4 s[8:11], s[4:5], 0x0
	s_lshl_b32 s12, s6, 10
	v_lshlrev_b32_e32 v1, 2, v0
	v_mov_b32_e32 v8, 0xffffff00
	v_lshrrev_b32_e32 v0, 2, v0
	s_mov_b32 s6, 0
	s_mov_b32 s7, exec_lo
	s_waitcnt lgkmcnt(0)
	s_add_u32 s0, s8, s12
	s_addc_u32 s1, s9, 0
	global_load_dword v4, v1, s[0:1]
	; wave barrier
	s_waitcnt vmcnt(0)
	v_lshrrev_b32_e32 v5, 8, v4
	v_perm_b32 v2, v4, v4, 0x7060405
	v_cmp_lt_i16_sdwa vcc_lo, sext(v5), sext(v4) src0_sel:BYTE_0 src1_sel:BYTE_0
	v_cndmask_b32_e32 v2, v4, v2, vcc_lo
	v_lshrrev_b32_e32 v3, 16, v2
	v_lshrrev_b32_e32 v7, 24, v2
	v_perm_b32 v6, 0, v3, 0xc0c0001
	v_bfe_i32 v7, v7, 0, 8
	v_bfe_i32 v3, v3, 0, 8
	v_lshlrev_b32_e32 v6, 16, v6
	v_cmp_lt_i16_e64 s0, v7, v3
	v_min_i16 v9, v7, v3
	v_and_or_b32 v6, 0xffff, v2, v6
	v_lshlrev_b16 v3, 8, v9
	v_cndmask_b32_e64 v2, v2, v6, s0
	v_and_b32_sdwa v6, v2, v8 dst_sel:DWORD dst_unused:UNUSED_PAD src0_sel:WORD_1 src1_sel:DWORD
	v_lshrrev_b32_e32 v7, 8, v2
	v_or_b32_sdwa v3, v2, v3 dst_sel:DWORD dst_unused:UNUSED_PAD src0_sel:BYTE_0 src1_sel:DWORD
	v_or_b32_sdwa v6, v2, v6 dst_sel:WORD_1 dst_unused:UNUSED_PAD src0_sel:BYTE_1 src1_sel:DWORD
	v_bfe_i32 v7, v7, 0, 8
	v_or_b32_sdwa v3, v3, v6 dst_sel:DWORD dst_unused:UNUSED_PAD src0_sel:WORD_0 src1_sel:DWORD
	v_cmp_lt_i16_e64 s1, v9, v7
	v_cndmask_b32_e64 v2, v2, v3, s1
	v_min_i16 v3, v9, v7
	v_mbcnt_lo_u32_b32 v9, -1, 0
	v_lshlrev_b16 v6, 8, v2
	v_cmp_lt_i16_sdwa s2, v3, sext(v2) src0_sel:DWORD src1_sel:BYTE_0
	v_lshlrev_b32_e32 v9, 2, v9
	v_or_b32_sdwa v6, v3, v6 dst_sel:DWORD dst_unused:UNUSED_PAD src0_sel:BYTE_0 src1_sel:DWORD
	v_and_b32_e32 v6, 0xffff, v6
	v_and_or_b32 v6, 0xffff0000, v2, v6
	v_cndmask_b32_e64 v2, v2, v6, s2
	v_lshrrev_b32_e32 v3, 16, v2
	v_lshrrev_b32_e32 v7, 24, v2
	v_perm_b32 v6, 0, v3, 0xc0c0001
	v_bfe_i32 v7, v7, 0, 8
	v_bfe_i32 v3, v3, 0, 8
	v_lshlrev_b32_e32 v6, 16, v6
	v_cmp_lt_i16_e64 s3, v7, v3
	v_min_i16 v11, v7, v3
	v_and_b32_e32 v7, 8, v9
	v_and_or_b32 v6, 0xffff, v2, v6
	v_cndmask_b32_e64 v12, v2, v6, s3
	v_lshlrev_b16 v2, 8, v11
	v_or_b32_e32 v6, 4, v7
	v_and_b32_sdwa v3, v12, v8 dst_sel:DWORD dst_unused:UNUSED_PAD src0_sel:WORD_1 src1_sel:DWORD
	v_or_b32_sdwa v2, v12, v2 dst_sel:DWORD dst_unused:UNUSED_PAD src0_sel:BYTE_0 src1_sel:DWORD
	v_lshrrev_b32_e32 v13, 8, v12
	v_and_b32_e32 v8, 4, v9
	v_or_b32_sdwa v10, v12, v3 dst_sel:WORD_1 dst_unused:UNUSED_PAD src0_sel:BYTE_1 src1_sel:DWORD
	v_and_b32_e32 v3, 12, v9
	v_sub_nc_u32_e32 v9, v6, v7
	v_cmp_lt_i16_sdwa s4, v11, sext(v13) src0_sel:DWORD src1_sel:BYTE_0
	v_or_b32_sdwa v14, v2, v10 dst_sel:DWORD dst_unused:UNUSED_PAD src0_sel:WORD_0 src1_sel:DWORD
	v_mov_b32_e32 v10, 0
	v_mad_u32_u24 v2, v0, 17, v3
	v_min_i32_e32 v9, v8, v9
	v_mul_u32_u24_e32 v0, 17, v0
	v_cndmask_b32_e64 v11, v12, v14, s4
	ds_write_b32 v2, v11
	; wave barrier
	v_cmpx_lt_i32_e32 0, v9
	s_cbranch_execz .LBB53_4
; %bb.1:
	v_add_nc_u32_e32 v11, v0, v7
	v_mov_b32_e32 v10, 0
	v_add_nc_u32_e32 v12, v11, v8
	.p2align	6
.LBB53_2:                               ; =>This Inner Loop Header: Depth=1
	v_sub_nc_u32_e32 v13, v9, v10
	v_lshrrev_b32_e32 v13, 1, v13
	v_add_nc_u32_e32 v13, v13, v10
	v_add_nc_u32_e32 v14, v11, v13
	v_xad_u32 v15, v13, -1, v12
	v_add_nc_u32_e32 v16, 1, v13
	ds_read_i8 v14, v14
	ds_read_i8 v15, v15 offset:4
	s_waitcnt lgkmcnt(0)
	v_cmp_lt_i16_e64 s5, v15, v14
	v_cndmask_b32_e64 v9, v9, v13, s5
	v_cndmask_b32_e64 v10, v16, v10, s5
	v_cmp_ge_i32_e64 s5, v10, v9
	s_or_b32 s6, s5, s6
	s_andn2_b32 exec_lo, exec_lo, s6
	s_cbranch_execnz .LBB53_2
; %bb.3:
	s_or_b32 exec_lo, exec_lo, s6
.LBB53_4:
	s_or_b32 exec_lo, exec_lo, s7
	v_mov_b32_e32 v9, 24
	v_add_nc_u32_e32 v12, v10, v7
	v_add_nc_u32_e32 v17, v6, v8
	v_cmp_lt_i32_e64 s5, 3, v10
	v_lshrrev_b32_e32 v15, 16, v4
	v_lshrrev_b32_sdwa v14, v9, v4 dst_sel:BYTE_1 dst_unused:UNUSED_PAD src0_sel:DWORD src1_sel:DWORD
	v_add_nc_u32_e32 v9, v7, v8
	v_add_nc_u32_e32 v11, v0, v12
	;; [unrolled: 1-line block ×3, first 2 shown]
	v_sub_nc_u32_e32 v9, v9, v10
	v_add_nc_u32_e32 v16, v0, v9
	ds_read_u8 v9, v11
	ds_read_u8 v13, v16 offset:4
	s_waitcnt lgkmcnt(1)
	v_bfe_i32 v8, v9, 0, 8
	s_waitcnt lgkmcnt(0)
	v_bfe_i32 v9, v13, 0, 8
	v_sub_nc_u32_e32 v13, v17, v10
                                        ; implicit-def: $vgpr10
	v_cmp_lt_i16_e64 s6, v9, v8
	v_cmp_gt_i32_e64 s7, v7, v13
	s_or_b32 s5, s5, s6
	s_and_b32 s5, s7, s5
	s_xor_b32 s6, s5, -1
	s_and_saveexec_b32 s7, s6
	s_xor_b32 s6, exec_lo, s7
; %bb.5:
	ds_read_u8 v10, v11 offset:1
                                        ; implicit-def: $vgpr16
; %bb.6:
	s_or_saveexec_b32 s6, s6
	v_mov_b32_e32 v11, v9
	s_xor_b32 exec_lo, exec_lo, s6
	s_cbranch_execz .LBB53_8
; %bb.7:
	ds_read_u8 v11, v16 offset:5
	s_waitcnt lgkmcnt(1)
	v_mov_b32_e32 v10, v8
.LBB53_8:
	s_or_b32 exec_lo, exec_lo, s6
	v_add_nc_u32_e32 v16, 1, v12
	v_add_nc_u32_e32 v17, 1, v13
	s_waitcnt lgkmcnt(0)
	v_cmp_lt_i16_sdwa s8, sext(v11), sext(v10) src0_sel:BYTE_0 src1_sel:BYTE_0
	v_cndmask_b32_e64 v18, v16, v12, s5
	v_cndmask_b32_e64 v19, v13, v17, s5
                                        ; implicit-def: $vgpr16
	v_cmp_ge_i32_e64 s6, v18, v6
	v_cmp_lt_i32_e64 s7, v19, v7
	s_or_b32 s6, s6, s8
	s_and_b32 s6, s7, s6
	s_xor_b32 s7, s6, -1
	s_and_saveexec_b32 s8, s7
	s_xor_b32 s7, exec_lo, s8
; %bb.9:
	v_add_nc_u32_e32 v16, v0, v18
	ds_read_u8 v16, v16 offset:1
; %bb.10:
	s_or_saveexec_b32 s7, s7
	v_mov_b32_e32 v17, v11
	s_xor_b32 exec_lo, exec_lo, s7
	s_cbranch_execz .LBB53_12
; %bb.11:
	s_waitcnt lgkmcnt(0)
	v_add_nc_u32_e32 v16, v0, v19
	ds_read_u8 v17, v16 offset:1
	v_mov_b32_e32 v16, v10
.LBB53_12:
	s_or_b32 exec_lo, exec_lo, s7
	v_add_nc_u32_e32 v20, 1, v18
	v_add_nc_u32_e32 v21, 1, v19
	s_waitcnt lgkmcnt(0)
	v_cmp_lt_i16_sdwa s9, sext(v17), sext(v16) src0_sel:BYTE_0 src1_sel:BYTE_0
	v_cndmask_b32_e64 v22, v20, v18, s6
	v_cndmask_b32_e64 v21, v19, v21, s6
                                        ; implicit-def: $vgpr20
	v_cmp_ge_i32_e64 s7, v22, v6
	v_cmp_lt_i32_e64 s8, v21, v7
	s_or_b32 s7, s7, s9
	s_and_b32 s7, s8, s7
	s_xor_b32 s8, s7, -1
	s_and_saveexec_b32 s9, s8
	s_xor_b32 s8, exec_lo, s9
; %bb.13:
	v_add_nc_u32_e32 v20, v0, v22
	ds_read_u8 v20, v20 offset:1
; %bb.14:
	s_or_saveexec_b32 s8, s8
	v_mov_b32_e32 v23, v17
	s_xor_b32 exec_lo, exec_lo, s8
	s_cbranch_execz .LBB53_16
; %bb.15:
	s_waitcnt lgkmcnt(0)
	v_add_nc_u32_e32 v20, v0, v21
	ds_read_u8 v23, v20 offset:1
	v_mov_b32_e32 v20, v16
.LBB53_16:
	s_or_b32 exec_lo, exec_lo, s8
	v_add_nc_u16 v5, v5, 1
	v_add_nc_u16 v4, v4, 1
	;; [unrolled: 1-line block ×3, first 2 shown]
	v_cndmask_b32_e64 v12, v12, v13, s5
	v_cndmask_b32_e64 v18, v18, v19, s6
	v_lshlrev_b16 v24, 8, v5
	v_lshlrev_b16 v25, 8, v4
	v_or_b32_sdwa v14, v14, v15 dst_sel:DWORD dst_unused:UNUSED_PAD src0_sel:DWORD src1_sel:BYTE_0
	; wave barrier
	v_or_b32_sdwa v4, v4, v24 dst_sel:DWORD dst_unused:UNUSED_PAD src0_sel:BYTE_0 src1_sel:DWORD
	v_or_b32_sdwa v5, v5, v25 dst_sel:DWORD dst_unused:UNUSED_PAD src0_sel:BYTE_0 src1_sel:DWORD
	v_add_nc_u16 v14, 0x100, v14
	v_cndmask_b32_e64 v24, v22, v21, s7
	v_cndmask_b32_e64 v10, v10, v11, s6
	v_and_b32_e32 v4, 0xffff, v4
	v_and_b32_e32 v5, 0xffff, v5
	v_lshlrev_b32_e32 v15, 16, v14
	v_perm_b32 v14, 0, v14, 0xc0c0001
	v_cndmask_b32_e64 v11, v8, v9, s5
	v_sub_nc_u32_e64 v8, v3, 8 clamp
	v_cndmask_b32_e32 v4, v4, v5, vcc_lo
	v_min_u32_e32 v9, 8, v3
	v_lshlrev_b32_e32 v5, 16, v14
	v_add_nc_u32_e32 v14, 1, v22
	v_or_b32_e32 v4, v4, v15
	v_add_nc_u32_e32 v15, 1, v21
	v_cndmask_b32_e64 v14, v14, v22, s7
	v_and_or_b32 v5, 0xffff, v4, v5
	v_cndmask_b32_e64 v13, v21, v15, s7
	v_add_nc_u32_e32 v15, v0, v3
	v_cmp_ge_i32_e32 vcc_lo, v14, v6
	v_cndmask_b32_e64 v4, v4, v5, s0
	v_cmp_lt_i32_e64 s0, v13, v7
	v_add_nc_u32_e32 v7, v0, v18
	v_perm_b32 v5, v4, v4, 0x7050604
	v_cndmask_b32_e64 v4, v4, v5, s1
	s_waitcnt lgkmcnt(0)
	v_cmp_lt_i16_sdwa s1, sext(v23), sext(v20) src0_sel:BYTE_0 src1_sel:BYTE_0
	v_perm_b32 v5, 0, v4, 0xc0c0001
	s_or_b32 s1, vcc_lo, s1
	s_and_b32 vcc_lo, s0, s1
	s_mov_b32 s0, exec_lo
	v_and_or_b32 v5, 0xffff0000, v4, v5
	v_cndmask_b32_e32 v6, v14, v13, vcc_lo
	v_cndmask_b32_e32 v19, v20, v23, vcc_lo
	v_cndmask_b32_e64 v4, v4, v5, s2
	v_add_nc_u32_e32 v13, v0, v6
	v_lshrrev_b32_e32 v5, 16, v4
	v_perm_b32 v5, 0, v5, 0xc0c0001
	v_lshlrev_b32_e32 v5, 16, v5
	v_and_or_b32 v5, 0xffff, v4, v5
	v_cndmask_b32_e64 v4, v4, v5, s3
	v_perm_b32 v5, v4, v4, 0x7050604
	v_cndmask_b32_e64 v4, v4, v5, s4
	v_add_nc_u32_e32 v5, v0, v12
	v_add_nc_u32_e32 v12, v0, v24
	ds_write_b32 v15, v4
	; wave barrier
	ds_read_u8 v4, v5
	ds_read_u8 v5, v7
	;; [unrolled: 1-line block ×4, first 2 shown]
	v_cndmask_b32_e64 v12, v16, v17, s7
	; wave barrier
	ds_write_b8 v15, v11
	ds_write_b8 v15, v10 offset:1
	ds_write_b8 v15, v12 offset:2
	;; [unrolled: 1-line block ×3, first 2 shown]
	; wave barrier
	v_cmpx_lt_u32_e64 v8, v9
	s_cbranch_execz .LBB53_20
; %bb.17:
	s_mov_b32 s1, 0
	.p2align	6
.LBB53_18:                              ; =>This Inner Loop Header: Depth=1
	v_sub_nc_u32_e32 v10, v9, v8
	v_lshrrev_b32_e32 v10, 1, v10
	v_add_nc_u32_e32 v10, v10, v8
	v_add_nc_u32_e32 v11, v0, v10
	v_xad_u32 v12, v10, -1, v2
	v_add_nc_u32_e32 v13, 1, v10
	ds_read_i8 v11, v11
	ds_read_i8 v12, v12 offset:8
	s_waitcnt lgkmcnt(0)
	v_cmp_lt_i16_e32 vcc_lo, v12, v11
	v_cndmask_b32_e32 v9, v9, v10, vcc_lo
	v_cndmask_b32_e32 v8, v13, v8, vcc_lo
	v_cmp_ge_i32_e32 vcc_lo, v8, v9
	s_or_b32 s1, vcc_lo, s1
	s_andn2_b32 exec_lo, exec_lo, s1
	s_cbranch_execnz .LBB53_18
; %bb.19:
	s_or_b32 exec_lo, exec_lo, s1
.LBB53_20:
	s_or_b32 exec_lo, exec_lo, s0
	v_sub_nc_u32_e32 v10, v3, v8
	v_add_nc_u32_e32 v11, v0, v8
	v_cmp_lt_i32_e32 vcc_lo, 7, v8
	v_add_nc_u32_e32 v13, v0, v10
	v_add_nc_u32_e32 v12, 8, v10
                                        ; implicit-def: $vgpr10
	ds_read_u8 v3, v11
	ds_read_u8 v9, v13 offset:8
	v_cmp_gt_i32_e64 s1, 16, v12
	s_waitcnt lgkmcnt(1)
	v_bfe_i32 v3, v3, 0, 8
	s_waitcnt lgkmcnt(0)
	v_bfe_i32 v9, v9, 0, 8
	v_cmp_lt_i16_e64 s0, v9, v3
	s_or_b32 s0, vcc_lo, s0
	s_and_b32 vcc_lo, s1, s0
	s_xor_b32 s0, vcc_lo, -1
	s_and_saveexec_b32 s1, s0
	s_xor_b32 s0, exec_lo, s1
; %bb.21:
	ds_read_u8 v10, v11 offset:1
                                        ; implicit-def: $vgpr13
; %bb.22:
	s_or_saveexec_b32 s0, s0
	v_mov_b32_e32 v11, v9
	s_xor_b32 exec_lo, exec_lo, s0
	s_cbranch_execz .LBB53_24
; %bb.23:
	ds_read_u8 v11, v13 offset:9
	s_waitcnt lgkmcnt(1)
	v_mov_b32_e32 v10, v3
.LBB53_24:
	s_or_b32 exec_lo, exec_lo, s0
	v_add_nc_u32_e32 v13, 1, v8
	v_add_nc_u32_e32 v14, 1, v12
	s_waitcnt lgkmcnt(0)
	v_cmp_lt_i16_sdwa s2, sext(v11), sext(v10) src0_sel:BYTE_0 src1_sel:BYTE_0
                                        ; implicit-def: $vgpr16
	v_cndmask_b32_e32 v13, v13, v8, vcc_lo
	v_cndmask_b32_e32 v14, v12, v14, vcc_lo
	v_cmp_lt_i32_e64 s0, 7, v13
	v_cmp_gt_i32_e64 s1, 16, v14
	s_or_b32 s0, s0, s2
	s_and_b32 s0, s1, s0
	s_xor_b32 s1, s0, -1
	s_and_saveexec_b32 s2, s1
	s_xor_b32 s1, exec_lo, s2
; %bb.25:
	v_add_nc_u32_e32 v15, v0, v13
	ds_read_u8 v16, v15 offset:1
; %bb.26:
	s_or_saveexec_b32 s1, s1
	v_mov_b32_e32 v15, v11
	s_xor_b32 exec_lo, exec_lo, s1
	s_cbranch_execz .LBB53_28
; %bb.27:
	v_add_nc_u32_e32 v15, v0, v14
	s_waitcnt lgkmcnt(0)
	v_mov_b32_e32 v16, v10
	ds_read_u8 v15, v15 offset:1
.LBB53_28:
	s_or_b32 exec_lo, exec_lo, s1
	v_add_nc_u32_e32 v17, 1, v13
	v_add_nc_u32_e32 v18, 1, v14
	s_waitcnt lgkmcnt(0)
	v_cmp_ge_i16_sdwa s3, sext(v15), sext(v16) src0_sel:BYTE_0 src1_sel:BYTE_0
                                        ; implicit-def: $vgpr21
                                        ; implicit-def: $vgpr20
	v_cndmask_b32_e64 v22, v17, v13, s0
	v_cndmask_b32_e64 v18, v14, v18, s0
	v_cmp_gt_i32_e64 s1, 8, v22
	v_cmp_lt_i32_e64 s2, 15, v18
	s_and_b32 s1, s1, s3
	s_or_b32 s1, s2, s1
	s_and_saveexec_b32 s2, s1
	s_xor_b32 s1, exec_lo, s2
; %bb.29:
	v_add_nc_u32_e32 v17, v0, v22
	v_add_nc_u32_e32 v20, 1, v22
	ds_read_u8 v21, v17 offset:1
; %bb.30:
	s_or_saveexec_b32 s1, s1
	v_mov_b32_e32 v17, v16
	v_mov_b32_e32 v19, v22
	s_xor_b32 exec_lo, exec_lo, s1
	s_cbranch_execz .LBB53_32
; %bb.31:
	v_add_nc_u32_e32 v17, v0, v18
	s_waitcnt lgkmcnt(0)
	v_add_nc_u32_e32 v21, 1, v18
	v_mov_b32_e32 v19, v18
	v_mov_b32_e32 v20, v22
	ds_read_u8 v23, v17 offset:1
	v_mov_b32_e32 v17, v15
	v_mov_b32_e32 v18, v21
	;; [unrolled: 1-line block ×3, first 2 shown]
	s_waitcnt lgkmcnt(0)
	v_mov_b32_e32 v15, v23
.LBB53_32:
	s_or_b32 exec_lo, exec_lo, s1
	v_cmp_lt_i32_e64 s1, 7, v20
	s_waitcnt lgkmcnt(0)
	v_cmp_lt_i16_sdwa s3, sext(v15), sext(v21) src0_sel:BYTE_0 src1_sel:BYTE_0
	v_cmp_gt_i32_e64 s2, 16, v18
	v_cndmask_b32_e64 v13, v13, v14, s0
	v_cndmask_b32_e32 v8, v8, v12, vcc_lo
	s_or_b32 s1, s1, s3
	; wave barrier
	s_and_b32 s1, s2, s1
	ds_write_b8 v2, v4
	ds_write_b8 v2, v5 offset:1
	ds_write_b8 v2, v6 offset:2
	;; [unrolled: 1-line block ×3, first 2 shown]
	v_cndmask_b32_e64 v14, v20, v18, s1
	v_add_nc_u32_e32 v2, v0, v13
	v_add_nc_u32_e32 v5, v0, v8
	; wave barrier
	v_add_nc_u32_e32 v4, v0, v14
	v_add_nc_u32_e32 v0, v0, v19
	v_cndmask_b32_e64 v12, v21, v15, s1
	ds_read_u8 v2, v2
	ds_read_u8 v4, v4
	;; [unrolled: 1-line block ×4, first 2 shown]
	v_cndmask_b32_e64 v6, v10, v11, s0
	v_cndmask_b32_e32 v3, v3, v9, vcc_lo
	s_add_u32 s0, s10, s12
	s_addc_u32 s1, s11, 0
	s_waitcnt lgkmcnt(3)
	v_add_nc_u16 v2, v2, v6
	s_waitcnt lgkmcnt(2)
	v_add_nc_u16 v4, v4, v12
	;; [unrolled: 2-line block ×4, first 2 shown]
	v_lshlrev_b16 v2, 8, v2
	v_lshlrev_b16 v4, 8, v4
	v_or_b32_sdwa v2, v3, v2 dst_sel:DWORD dst_unused:UNUSED_PAD src0_sel:BYTE_0 src1_sel:DWORD
	v_or_b32_sdwa v3, v0, v4 dst_sel:WORD_1 dst_unused:UNUSED_PAD src0_sel:BYTE_0 src1_sel:DWORD
	v_add_co_u32 v0, s0, s0, v1
	v_add_co_ci_u32_e64 v1, null, s1, 0, s0
	v_or_b32_sdwa v2, v2, v3 dst_sel:DWORD dst_unused:UNUSED_PAD src0_sel:WORD_0 src1_sel:DWORD
	global_store_dword v[0:1], v2, off
	s_endpgm
	.section	.rodata,"a",@progbits
	.p2align	6, 0x0
	.amdhsa_kernel _Z10sort_pairsILj256ELj4ELj4EaN10test_utils4lessEEvPKT2_PS2_T3_
		.amdhsa_group_segment_fixed_size 1088
		.amdhsa_private_segment_fixed_size 0
		.amdhsa_kernarg_size 20
		.amdhsa_user_sgpr_count 6
		.amdhsa_user_sgpr_private_segment_buffer 1
		.amdhsa_user_sgpr_dispatch_ptr 0
		.amdhsa_user_sgpr_queue_ptr 0
		.amdhsa_user_sgpr_kernarg_segment_ptr 1
		.amdhsa_user_sgpr_dispatch_id 0
		.amdhsa_user_sgpr_flat_scratch_init 0
		.amdhsa_user_sgpr_private_segment_size 0
		.amdhsa_wavefront_size32 1
		.amdhsa_uses_dynamic_stack 0
		.amdhsa_system_sgpr_private_segment_wavefront_offset 0
		.amdhsa_system_sgpr_workgroup_id_x 1
		.amdhsa_system_sgpr_workgroup_id_y 0
		.amdhsa_system_sgpr_workgroup_id_z 0
		.amdhsa_system_sgpr_workgroup_info 0
		.amdhsa_system_vgpr_workitem_id 0
		.amdhsa_next_free_vgpr 26
		.amdhsa_next_free_sgpr 13
		.amdhsa_reserve_vcc 1
		.amdhsa_reserve_flat_scratch 0
		.amdhsa_float_round_mode_32 0
		.amdhsa_float_round_mode_16_64 0
		.amdhsa_float_denorm_mode_32 3
		.amdhsa_float_denorm_mode_16_64 3
		.amdhsa_dx10_clamp 1
		.amdhsa_ieee_mode 1
		.amdhsa_fp16_overflow 0
		.amdhsa_workgroup_processor_mode 1
		.amdhsa_memory_ordered 1
		.amdhsa_forward_progress 1
		.amdhsa_shared_vgpr_count 0
		.amdhsa_exception_fp_ieee_invalid_op 0
		.amdhsa_exception_fp_denorm_src 0
		.amdhsa_exception_fp_ieee_div_zero 0
		.amdhsa_exception_fp_ieee_overflow 0
		.amdhsa_exception_fp_ieee_underflow 0
		.amdhsa_exception_fp_ieee_inexact 0
		.amdhsa_exception_int_div_zero 0
	.end_amdhsa_kernel
	.section	.text._Z10sort_pairsILj256ELj4ELj4EaN10test_utils4lessEEvPKT2_PS2_T3_,"axG",@progbits,_Z10sort_pairsILj256ELj4ELj4EaN10test_utils4lessEEvPKT2_PS2_T3_,comdat
.Lfunc_end53:
	.size	_Z10sort_pairsILj256ELj4ELj4EaN10test_utils4lessEEvPKT2_PS2_T3_, .Lfunc_end53-_Z10sort_pairsILj256ELj4ELj4EaN10test_utils4lessEEvPKT2_PS2_T3_
                                        ; -- End function
	.set _Z10sort_pairsILj256ELj4ELj4EaN10test_utils4lessEEvPKT2_PS2_T3_.num_vgpr, 26
	.set _Z10sort_pairsILj256ELj4ELj4EaN10test_utils4lessEEvPKT2_PS2_T3_.num_agpr, 0
	.set _Z10sort_pairsILj256ELj4ELj4EaN10test_utils4lessEEvPKT2_PS2_T3_.numbered_sgpr, 13
	.set _Z10sort_pairsILj256ELj4ELj4EaN10test_utils4lessEEvPKT2_PS2_T3_.num_named_barrier, 0
	.set _Z10sort_pairsILj256ELj4ELj4EaN10test_utils4lessEEvPKT2_PS2_T3_.private_seg_size, 0
	.set _Z10sort_pairsILj256ELj4ELj4EaN10test_utils4lessEEvPKT2_PS2_T3_.uses_vcc, 1
	.set _Z10sort_pairsILj256ELj4ELj4EaN10test_utils4lessEEvPKT2_PS2_T3_.uses_flat_scratch, 0
	.set _Z10sort_pairsILj256ELj4ELj4EaN10test_utils4lessEEvPKT2_PS2_T3_.has_dyn_sized_stack, 0
	.set _Z10sort_pairsILj256ELj4ELj4EaN10test_utils4lessEEvPKT2_PS2_T3_.has_recursion, 0
	.set _Z10sort_pairsILj256ELj4ELj4EaN10test_utils4lessEEvPKT2_PS2_T3_.has_indirect_call, 0
	.section	.AMDGPU.csdata,"",@progbits
; Kernel info:
; codeLenInByte = 2312
; TotalNumSgprs: 15
; NumVgprs: 26
; ScratchSize: 0
; MemoryBound: 0
; FloatMode: 240
; IeeeMode: 1
; LDSByteSize: 1088 bytes/workgroup (compile time only)
; SGPRBlocks: 0
; VGPRBlocks: 3
; NumSGPRsForWavesPerEU: 15
; NumVGPRsForWavesPerEU: 26
; Occupancy: 16
; WaveLimiterHint : 0
; COMPUTE_PGM_RSRC2:SCRATCH_EN: 0
; COMPUTE_PGM_RSRC2:USER_SGPR: 6
; COMPUTE_PGM_RSRC2:TRAP_HANDLER: 0
; COMPUTE_PGM_RSRC2:TGID_X_EN: 1
; COMPUTE_PGM_RSRC2:TGID_Y_EN: 0
; COMPUTE_PGM_RSRC2:TGID_Z_EN: 0
; COMPUTE_PGM_RSRC2:TIDIG_COMP_CNT: 0
	.section	.text._Z19sort_keys_segmentedILj256ELj4ELj4EaN10test_utils4lessEEvPKT2_PS2_PKjT3_,"axG",@progbits,_Z19sort_keys_segmentedILj256ELj4ELj4EaN10test_utils4lessEEvPKT2_PS2_PKjT3_,comdat
	.protected	_Z19sort_keys_segmentedILj256ELj4ELj4EaN10test_utils4lessEEvPKT2_PS2_PKjT3_ ; -- Begin function _Z19sort_keys_segmentedILj256ELj4ELj4EaN10test_utils4lessEEvPKT2_PS2_PKjT3_
	.globl	_Z19sort_keys_segmentedILj256ELj4ELj4EaN10test_utils4lessEEvPKT2_PS2_PKjT3_
	.p2align	8
	.type	_Z19sort_keys_segmentedILj256ELj4ELj4EaN10test_utils4lessEEvPKT2_PS2_PKjT3_,@function
_Z19sort_keys_segmentedILj256ELj4ELj4EaN10test_utils4lessEEvPKT2_PS2_PKjT3_: ; @_Z19sort_keys_segmentedILj256ELj4ELj4EaN10test_utils4lessEEvPKT2_PS2_PKjT3_
; %bb.0:
	s_clause 0x1
	s_load_dwordx2 s[0:1], s[4:5], 0x10
	s_load_dwordx4 s[8:11], s[4:5], 0x0
	v_lshrrev_b32_e32 v6, 2, v0
	v_mov_b32_e32 v1, 0
	v_mov_b32_e32 v8, 0
	;; [unrolled: 1-line block ×3, first 2 shown]
	v_lshl_or_b32 v0, s6, 6, v6
	v_lshlrev_b64 v[2:3], 2, v[0:1]
	v_lshlrev_b32_e32 v4, 4, v0
	s_waitcnt lgkmcnt(0)
	v_add_co_u32 v2, vcc_lo, s0, v2
	v_add_co_ci_u32_e64 v3, null, s1, v3, vcc_lo
	global_load_dword v5, v[2:3], off
	v_mbcnt_lo_u32_b32 v2, -1, 0
	v_lshlrev_b32_e32 v7, 2, v2
	v_add_co_u32 v2, s0, s8, v4
	v_add_co_ci_u32_e64 v3, null, s9, 0, s0
	v_and_b32_e32 v0, 12, v7
	v_add_co_u32 v2, vcc_lo, v2, v0
	v_add_co_ci_u32_e64 v3, null, 0, v3, vcc_lo
	s_waitcnt vmcnt(0)
	v_cmp_lt_u32_e32 vcc_lo, v0, v5
	s_and_saveexec_b32 s0, vcc_lo
	s_cbranch_execz .LBB54_2
; %bb.1:
	global_load_ubyte v8, v[2:3], off
	v_mov_b32_e32 v9, 0
.LBB54_2:
	s_or_b32 exec_lo, exec_lo, s0
	v_or_b32_e32 v10, 1, v0
	v_mov_b32_e32 v11, v1
	v_cmp_lt_u32_e64 s0, v10, v5
	s_and_saveexec_b32 s1, s0
	s_cbranch_execz .LBB54_4
; %bb.3:
	global_load_ubyte v11, v[2:3], off offset:1
.LBB54_4:
	s_or_b32 exec_lo, exec_lo, s1
	v_or_b32_e32 v12, 2, v0
	v_cmp_lt_u32_e64 s1, v12, v5
	s_and_saveexec_b32 s2, s1
	s_cbranch_execz .LBB54_6
; %bb.5:
	global_load_ubyte v1, v[2:3], off offset:2
.LBB54_6:
	s_or_b32 exec_lo, exec_lo, s2
	v_or_b32_e32 v13, 3, v0
	v_cmp_lt_u32_e64 s2, v13, v5
	s_and_saveexec_b32 s3, s2
	s_cbranch_execz .LBB54_8
; %bb.7:
	global_load_ubyte v9, v[2:3], off offset:3
.LBB54_8:
	s_or_b32 exec_lo, exec_lo, s3
	s_waitcnt vmcnt(0)
	v_perm_b32 v2, v1, v9, 0xc0c0004
	v_mov_b32_e32 v1, 0x7f00
	v_perm_b32 v3, v8, v11, 0xc0c0004
	v_cmp_lt_i32_e64 s3, v10, v5
	v_mov_b32_e32 v9, 0x7f
	v_lshlrev_b32_e32 v2, 16, v2
	v_or_b32_sdwa v8, v8, v1 dst_sel:DWORD dst_unused:UNUSED_PAD src0_sel:BYTE_0 src1_sel:DWORD
	v_cmp_lt_i32_e64 s4, v13, v5
	s_mov_b32 s5, exec_lo
	v_or_b32_e32 v3, v3, v2
	v_or_b32_sdwa v2, v8, v2 dst_sel:DWORD dst_unused:UNUSED_PAD src0_sel:WORD_0 src1_sel:DWORD
	v_mov_b32_e32 v8, 0xffffff00
	v_cndmask_b32_e64 v2, v2, v3, s3
	v_cmp_lt_i32_e64 s3, v12, v5
	v_and_b32_sdwa v8, v2, v8 dst_sel:DWORD dst_unused:UNUSED_PAD src0_sel:WORD_1 src1_sel:DWORD
	v_or_b32_sdwa v8, v8, v9 dst_sel:WORD_1 dst_unused:UNUSED_PAD src0_sel:DWORD src1_sel:DWORD
	v_and_or_b32 v2, 0xffff, v2, v8
	v_cndmask_b32_e64 v2, v2, v3, s3
	v_cmpx_ge_i32_e64 v13, v5
; %bb.9:
	v_mov_b32_e32 v3, 0xff
	v_cmp_lt_i32_e64 s3, v0, v5
	s_andn2_b32 s4, s4, exec_lo
	v_and_b32_sdwa v3, v2, v3 dst_sel:DWORD dst_unused:UNUSED_PAD src0_sel:WORD_1 src1_sel:DWORD
	s_and_b32 s3, s3, exec_lo
	s_or_b32 s4, s4, s3
	v_or_b32_sdwa v1, v3, v1 dst_sel:WORD_1 dst_unused:UNUSED_PAD src0_sel:DWORD src1_sel:DWORD
	v_and_or_b32 v2, 0xffff, v2, v1
; %bb.10:
	s_or_b32 exec_lo, exec_lo, s5
	s_and_saveexec_b32 s5, s4
	s_cbranch_execz .LBB54_14
; %bb.11:
	v_lshrrev_b32_e32 v1, 8, v2
	v_bfe_i32 v3, v2, 0, 8
	v_perm_b32 v8, v2, v2, 0x7060405
	v_bfe_i32 v1, v1, 0, 8
	v_cmp_lt_i16_e64 s3, v1, v3
	v_cndmask_b32_e64 v2, v2, v8, s3
	v_lshrrev_b32_e32 v8, 16, v2
	v_lshrrev_b32_e32 v9, 24, v2
	v_perm_b32 v10, 0, v8, 0xc0c0001
	v_bfe_i32 v9, v9, 0, 8
	v_bfe_i32 v8, v8, 0, 8
	v_lshlrev_b32_e32 v10, 16, v10
	v_min_i16 v11, v9, v8
	v_cmp_lt_i16_e64 s3, v9, v8
	v_and_or_b32 v10, 0xffff, v2, v10
	v_lshlrev_b16 v12, 8, v11
	v_cndmask_b32_e64 v2, v2, v10, s3
	v_min_i16 v10, v1, v3
	v_max_i16 v1, v1, v3
	v_or_b32_sdwa v3, v2, v12 dst_sel:DWORD dst_unused:UNUSED_PAD src0_sel:BYTE_0 src1_sel:DWORD
	v_lshlrev_b16 v12, 8, v10
	v_min_i16 v13, v11, v1
	v_perm_b32 v14, v1, v2, 0xc0c0304
	v_cmp_lt_i16_e64 s3, v11, v1
	v_and_b32_e32 v3, 0xffff, v3
	v_or_b32_sdwa v12, v13, v12 dst_sel:DWORD dst_unused:UNUSED_PAD src0_sel:BYTE_0 src1_sel:DWORD
	v_lshl_or_b32 v3, v14, 16, v3
	v_max_i16 v14, v11, v1
	v_and_b32_e32 v12, 0xffff, v12
	v_cndmask_b32_e64 v2, v2, v3, s3
	v_max_i16 v3, v9, v8
	v_lshlrev_b16 v8, 8, v14
	v_cmp_lt_i16_e64 s3, v11, v10
	v_and_or_b32 v9, 0xffff0000, v2, v12
	v_cmp_gt_i16_e64 s4, v1, v3
	v_or_b32_sdwa v8, v3, v8 dst_sel:WORD_1 dst_unused:UNUSED_PAD src0_sel:BYTE_0 src1_sel:DWORD
	v_cndmask_b32_e64 v1, v13, v10, s3
	v_cndmask_b32_e64 v2, v2, v9, s3
	;; [unrolled: 1-line block ×3, first 2 shown]
	v_and_or_b32 v8, 0xffff, v2, v8
	v_cndmask_b32_e64 v2, v2, v8, s4
	s_mov_b32 s4, exec_lo
	v_cmpx_lt_i16_e64 v3, v1
; %bb.12:
	v_perm_b32 v3, v2, v3, 0xc0c0004
	v_perm_b32 v1, v1, v2, 0xc0c0304
	v_lshl_or_b32 v2, v1, 16, v3
; %bb.13:
	s_or_b32 exec_lo, exec_lo, s4
.LBB54_14:
	s_or_b32 exec_lo, exec_lo, s5
	v_and_b32_e32 v1, 8, v7
	v_and_b32_e32 v9, 4, v7
	v_mad_u32_u24 v12, v6, 17, v0
	s_mov_b32 s5, 0
	s_mov_b32 s4, exec_lo
	v_min_i32_e32 v3, v5, v1
	v_min_i32_e32 v9, v5, v9
	; wave barrier
	ds_write_b32 v12, v2
	v_add_nc_u32_e32 v1, 4, v3
	; wave barrier
	v_min_i32_e32 v8, v5, v1
	v_add_nc_u32_e32 v1, 4, v8
	v_sub_nc_u32_e32 v11, v8, v3
	v_min_i32_e32 v7, v5, v1
	v_min_i32_e32 v11, v9, v11
	v_sub_nc_u32_e32 v1, v7, v8
	v_sub_nc_u32_e32 v10, v9, v1
	v_cmp_ge_i32_e64 s3, v9, v1
	v_mul_u32_u24_e32 v1, 17, v6
	v_cndmask_b32_e64 v10, 0, v10, s3
	v_cmpx_lt_i32_e64 v10, v11
	s_cbranch_execz .LBB54_18
; %bb.15:
	v_add_nc_u32_e32 v2, v1, v3
	v_add3_u32 v6, v1, v8, v9
	.p2align	6
.LBB54_16:                              ; =>This Inner Loop Header: Depth=1
	v_sub_nc_u32_e32 v12, v11, v10
	v_lshrrev_b32_e32 v12, 1, v12
	v_add_nc_u32_e32 v12, v12, v10
	v_add_nc_u32_e32 v13, v2, v12
	v_xad_u32 v14, v12, -1, v6
	v_add_nc_u32_e32 v15, 1, v12
	ds_read_i8 v13, v13
	ds_read_i8 v14, v14
	s_waitcnt lgkmcnt(0)
	v_cmp_lt_i16_e64 s3, v14, v13
	v_cndmask_b32_e64 v11, v11, v12, s3
	v_cndmask_b32_e64 v10, v15, v10, s3
	v_cmp_ge_i32_e64 s3, v10, v11
	s_or_b32 s5, s3, s5
	s_andn2_b32 exec_lo, exec_lo, s5
	s_cbranch_execnz .LBB54_16
; %bb.17:
	s_or_b32 exec_lo, exec_lo, s5
.LBB54_18:
	s_or_b32 exec_lo, exec_lo, s4
	v_add_nc_u32_e32 v6, v8, v9
	v_add_nc_u32_e32 v2, v10, v3
                                        ; implicit-def: $vgpr9
	v_sub_nc_u32_e32 v11, v6, v10
	v_add_nc_u32_e32 v10, v1, v2
	v_cmp_le_i32_e64 s3, v8, v2
	v_add_nc_u32_e32 v12, v1, v11
	v_cmp_gt_i32_e64 s5, v7, v11
	ds_read_u8 v3, v10
	ds_read_u8 v6, v12
	s_waitcnt lgkmcnt(1)
	v_bfe_i32 v3, v3, 0, 8
	s_waitcnt lgkmcnt(0)
	v_bfe_i32 v6, v6, 0, 8
	v_cmp_lt_i16_e64 s4, v6, v3
	s_or_b32 s3, s3, s4
	s_and_b32 s3, s5, s3
	s_xor_b32 s4, s3, -1
	s_and_saveexec_b32 s5, s4
	s_xor_b32 s4, exec_lo, s5
; %bb.19:
	ds_read_u8 v9, v10 offset:1
                                        ; implicit-def: $vgpr12
; %bb.20:
	s_or_saveexec_b32 s4, s4
	v_mov_b32_e32 v10, v6
	s_xor_b32 exec_lo, exec_lo, s4
	s_cbranch_execz .LBB54_22
; %bb.21:
	ds_read_u8 v10, v12 offset:1
	s_waitcnt lgkmcnt(1)
	v_mov_b32_e32 v9, v3
.LBB54_22:
	s_or_b32 exec_lo, exec_lo, s4
	v_add_nc_u32_e32 v12, 1, v2
	v_add_nc_u32_e32 v13, 1, v11
	s_waitcnt lgkmcnt(0)
	v_cmp_lt_i16_sdwa s6, sext(v10), sext(v9) src0_sel:BYTE_0 src1_sel:BYTE_0
	v_cndmask_b32_e64 v12, v12, v2, s3
	v_cndmask_b32_e64 v2, v11, v13, s3
                                        ; implicit-def: $vgpr11
	v_cmp_ge_i32_e64 s4, v12, v8
	v_cmp_lt_i32_e64 s5, v2, v7
	s_or_b32 s4, s4, s6
	s_and_b32 s4, s5, s4
	s_xor_b32 s5, s4, -1
	s_and_saveexec_b32 s6, s5
	s_xor_b32 s5, exec_lo, s6
; %bb.23:
	v_add_nc_u32_e32 v11, v1, v12
	ds_read_u8 v11, v11 offset:1
; %bb.24:
	s_or_saveexec_b32 s5, s5
	v_mov_b32_e32 v13, v10
	s_xor_b32 exec_lo, exec_lo, s5
	s_cbranch_execz .LBB54_26
; %bb.25:
	s_waitcnt lgkmcnt(0)
	v_add_nc_u32_e32 v11, v1, v2
	ds_read_u8 v13, v11 offset:1
	v_mov_b32_e32 v11, v9
.LBB54_26:
	s_or_b32 exec_lo, exec_lo, s5
	v_add_nc_u32_e32 v14, 1, v12
	v_add_nc_u32_e32 v15, 1, v2
	s_waitcnt lgkmcnt(0)
	v_cmp_lt_i16_sdwa s7, sext(v13), sext(v11) src0_sel:BYTE_0 src1_sel:BYTE_0
	v_cndmask_b32_e64 v16, v14, v12, s4
	v_cndmask_b32_e64 v14, v2, v15, s4
                                        ; implicit-def: $vgpr15
	v_cmp_ge_i32_e64 s5, v16, v8
	v_cmp_lt_i32_e64 s6, v14, v7
	s_or_b32 s5, s5, s7
	s_and_b32 s5, s6, s5
	s_xor_b32 s6, s5, -1
	s_and_saveexec_b32 s7, s6
	s_xor_b32 s6, exec_lo, s7
; %bb.27:
	v_add_nc_u32_e32 v2, v1, v16
	ds_read_u8 v15, v2 offset:1
; %bb.28:
	s_or_saveexec_b32 s6, s6
	v_mov_b32_e32 v17, v13
	s_xor_b32 exec_lo, exec_lo, s6
	s_cbranch_execz .LBB54_30
; %bb.29:
	v_add_nc_u32_e32 v2, v1, v14
	s_waitcnt lgkmcnt(0)
	v_mov_b32_e32 v15, v11
	ds_read_u8 v17, v2 offset:1
.LBB54_30:
	s_or_b32 exec_lo, exec_lo, s6
	v_min_i32_e32 v12, 0, v5
	v_cndmask_b32_e64 v11, v11, v13, s5
	v_add_nc_u32_e32 v13, 1, v16
	v_add_nc_u32_e32 v19, 1, v14
	v_cndmask_b32_e64 v9, v9, v10, s4
	v_add_nc_u32_e32 v2, 8, v12
	v_cndmask_b32_e64 v10, v3, v6, s3
	v_cndmask_b32_e64 v6, v13, v16, s5
	;; [unrolled: 1-line block ×3, first 2 shown]
	s_waitcnt lgkmcnt(0)
	v_cmp_lt_i16_sdwa s6, sext(v17), sext(v15) src0_sel:BYTE_0 src1_sel:BYTE_0
	v_min_i32_e32 v2, v5, v2
	s_mov_b32 s5, 0
	v_cmp_ge_i32_e64 s3, v6, v8
	v_cmp_lt_i32_e64 s4, v13, v7
	v_add_nc_u32_e32 v8, v1, v0
	v_add_nc_u32_e32 v18, 8, v2
	v_sub_nc_u32_e32 v13, v2, v12
	s_or_b32 s3, s3, s6
	s_and_b32 s3, s4, s3
	v_min_i32_e32 v3, v5, v18
	v_min_i32_e32 v5, v5, v0
	v_cndmask_b32_e64 v14, v15, v17, s3
	s_mov_b32 s4, exec_lo
	; wave barrier
	v_sub_nc_u32_e32 v6, v3, v2
	ds_write_b8 v8, v10
	ds_write_b8 v8, v9 offset:1
	ds_write_b8 v8, v11 offset:2
	;; [unrolled: 1-line block ×3, first 2 shown]
	; wave barrier
	v_sub_nc_u32_e32 v7, v5, v6
	v_cmp_ge_i32_e64 s3, v5, v6
	v_cndmask_b32_e64 v6, 0, v7, s3
	v_min_i32_e32 v7, v5, v13
	v_cmpx_lt_i32_e64 v6, v7
	s_cbranch_execz .LBB54_34
; %bb.31:
	v_add_nc_u32_e32 v8, v1, v12
	v_add3_u32 v9, v1, v2, v5
	.p2align	6
.LBB54_32:                              ; =>This Inner Loop Header: Depth=1
	v_sub_nc_u32_e32 v10, v7, v6
	v_lshrrev_b32_e32 v10, 1, v10
	v_add_nc_u32_e32 v10, v10, v6
	v_add_nc_u32_e32 v11, v8, v10
	v_xad_u32 v13, v10, -1, v9
	v_add_nc_u32_e32 v14, 1, v10
	ds_read_i8 v11, v11
	ds_read_i8 v13, v13
	s_waitcnt lgkmcnt(0)
	v_cmp_lt_i16_e64 s3, v13, v11
	v_cndmask_b32_e64 v7, v7, v10, s3
	v_cndmask_b32_e64 v6, v14, v6, s3
	v_cmp_ge_i32_e64 s3, v6, v7
	s_or_b32 s5, s3, s5
	s_andn2_b32 exec_lo, exec_lo, s5
	s_cbranch_execnz .LBB54_32
; %bb.33:
	s_or_b32 exec_lo, exec_lo, s5
.LBB54_34:
	s_or_b32 exec_lo, exec_lo, s4
	v_add_nc_u32_e32 v5, v2, v5
	v_add_nc_u32_e32 v9, v6, v12
                                        ; implicit-def: $vgpr7
	v_sub_nc_u32_e32 v10, v5, v6
	v_add_nc_u32_e32 v8, v1, v9
	v_cmp_le_i32_e64 s3, v2, v9
	v_add_nc_u32_e32 v11, v1, v10
	v_cmp_gt_i32_e64 s5, v3, v10
	ds_read_u8 v5, v8
	ds_read_u8 v6, v11
	s_waitcnt lgkmcnt(1)
	v_bfe_i32 v5, v5, 0, 8
	s_waitcnt lgkmcnt(0)
	v_bfe_i32 v6, v6, 0, 8
	v_cmp_lt_i16_e64 s4, v6, v5
	s_or_b32 s3, s3, s4
	s_and_b32 s3, s5, s3
	s_xor_b32 s4, s3, -1
	s_and_saveexec_b32 s5, s4
	s_xor_b32 s4, exec_lo, s5
; %bb.35:
	ds_read_u8 v7, v8 offset:1
                                        ; implicit-def: $vgpr11
; %bb.36:
	s_or_saveexec_b32 s4, s4
	v_mov_b32_e32 v8, v6
	s_xor_b32 exec_lo, exec_lo, s4
	s_cbranch_execz .LBB54_38
; %bb.37:
	ds_read_u8 v8, v11 offset:1
	s_waitcnt lgkmcnt(1)
	v_mov_b32_e32 v7, v5
.LBB54_38:
	s_or_b32 exec_lo, exec_lo, s4
	v_add_nc_u32_e32 v11, 1, v9
	v_add_nc_u32_e32 v13, 1, v10
	s_waitcnt lgkmcnt(0)
	v_cmp_lt_i16_sdwa s6, sext(v8), sext(v7) src0_sel:BYTE_0 src1_sel:BYTE_0
	v_cndmask_b32_e64 v12, v11, v9, s3
	v_cndmask_b32_e64 v11, v10, v13, s3
                                        ; implicit-def: $vgpr9
	v_cmp_ge_i32_e64 s4, v12, v2
	v_cmp_lt_i32_e64 s5, v11, v3
	s_or_b32 s4, s4, s6
	s_and_b32 s4, s5, s4
	s_xor_b32 s5, s4, -1
	s_and_saveexec_b32 s6, s5
	s_xor_b32 s5, exec_lo, s6
; %bb.39:
	v_add_nc_u32_e32 v9, v1, v12
	ds_read_u8 v9, v9 offset:1
; %bb.40:
	s_or_saveexec_b32 s5, s5
	v_mov_b32_e32 v10, v8
	s_xor_b32 exec_lo, exec_lo, s5
	s_cbranch_execz .LBB54_42
; %bb.41:
	s_waitcnt lgkmcnt(0)
	v_add_nc_u32_e32 v9, v1, v11
	ds_read_u8 v10, v9 offset:1
	v_mov_b32_e32 v9, v7
.LBB54_42:
	s_or_b32 exec_lo, exec_lo, s5
	v_add_nc_u32_e32 v13, 1, v12
	v_add_nc_u32_e32 v14, 1, v11
	s_waitcnt lgkmcnt(0)
	v_cmp_lt_i16_sdwa s7, sext(v10), sext(v9) src0_sel:BYTE_0 src1_sel:BYTE_0
	v_cndmask_b32_e64 v15, v13, v12, s4
	v_cndmask_b32_e64 v11, v11, v14, s4
                                        ; implicit-def: $vgpr12
                                        ; implicit-def: $vgpr13
	v_cmp_ge_i32_e64 s5, v15, v2
	v_cmp_lt_i32_e64 s6, v11, v3
	s_or_b32 s5, s5, s7
	s_and_b32 s5, s6, s5
	s_xor_b32 s6, s5, -1
	s_and_saveexec_b32 s7, s6
	s_xor_b32 s6, exec_lo, s7
; %bb.43:
	v_add_nc_u32_e32 v1, v1, v15
	v_add_nc_u32_e32 v13, 1, v15
                                        ; implicit-def: $vgpr15
	ds_read_u8 v12, v1 offset:1
                                        ; implicit-def: $vgpr1
; %bb.44:
	s_or_saveexec_b32 s6, s6
	v_mov_b32_e32 v14, v10
	s_xor_b32 exec_lo, exec_lo, s6
	s_cbranch_execz .LBB54_46
; %bb.45:
	v_add_nc_u32_e32 v1, v1, v11
	v_add_nc_u32_e32 v11, 1, v11
	v_mov_b32_e32 v13, v15
	s_waitcnt lgkmcnt(0)
	v_mov_b32_e32 v12, v9
	ds_read_u8 v14, v1 offset:1
.LBB54_46:
	s_or_b32 exec_lo, exec_lo, s6
	v_add_co_u32 v1, s6, s10, v4
	v_add_co_ci_u32_e64 v4, null, s11, 0, s6
	v_add_co_u32 v0, s6, v1, v0
	v_add_co_ci_u32_e64 v1, null, 0, v4, s6
	s_and_saveexec_b32 s6, vcc_lo
	s_cbranch_execnz .LBB54_51
; %bb.47:
	s_or_b32 exec_lo, exec_lo, s6
	s_and_saveexec_b32 s3, s0
	s_cbranch_execnz .LBB54_52
.LBB54_48:
	s_or_b32 exec_lo, exec_lo, s3
	s_and_saveexec_b32 s0, s1
	s_cbranch_execnz .LBB54_53
.LBB54_49:
	s_or_b32 exec_lo, exec_lo, s0
	s_and_saveexec_b32 s0, s2
	s_cbranch_execnz .LBB54_54
.LBB54_50:
	s_endpgm
.LBB54_51:
	v_cndmask_b32_e64 v4, v5, v6, s3
	global_store_byte v[0:1], v4, off
	s_or_b32 exec_lo, exec_lo, s6
	s_and_saveexec_b32 s3, s0
	s_cbranch_execz .LBB54_48
.LBB54_52:
	v_cndmask_b32_e64 v4, v7, v8, s4
	global_store_byte v[0:1], v4, off offset:1
	s_or_b32 exec_lo, exec_lo, s3
	s_and_saveexec_b32 s0, s1
	s_cbranch_execz .LBB54_49
.LBB54_53:
	v_cndmask_b32_e64 v4, v9, v10, s5
	global_store_byte v[0:1], v4, off offset:2
	s_or_b32 exec_lo, exec_lo, s0
	s_and_saveexec_b32 s0, s2
	s_cbranch_execz .LBB54_50
.LBB54_54:
	v_cmp_ge_i32_e32 vcc_lo, v13, v2
	s_waitcnt lgkmcnt(0)
	v_cmp_lt_i16_sdwa s1, sext(v14), sext(v12) src0_sel:BYTE_0 src1_sel:BYTE_0
	v_cmp_lt_i32_e64 s0, v11, v3
	s_or_b32 s1, vcc_lo, s1
	s_and_b32 vcc_lo, s0, s1
	v_cndmask_b32_e32 v2, v12, v14, vcc_lo
	global_store_byte v[0:1], v2, off offset:3
	s_endpgm
	.section	.rodata,"a",@progbits
	.p2align	6, 0x0
	.amdhsa_kernel _Z19sort_keys_segmentedILj256ELj4ELj4EaN10test_utils4lessEEvPKT2_PS2_PKjT3_
		.amdhsa_group_segment_fixed_size 1088
		.amdhsa_private_segment_fixed_size 0
		.amdhsa_kernarg_size 28
		.amdhsa_user_sgpr_count 6
		.amdhsa_user_sgpr_private_segment_buffer 1
		.amdhsa_user_sgpr_dispatch_ptr 0
		.amdhsa_user_sgpr_queue_ptr 0
		.amdhsa_user_sgpr_kernarg_segment_ptr 1
		.amdhsa_user_sgpr_dispatch_id 0
		.amdhsa_user_sgpr_flat_scratch_init 0
		.amdhsa_user_sgpr_private_segment_size 0
		.amdhsa_wavefront_size32 1
		.amdhsa_uses_dynamic_stack 0
		.amdhsa_system_sgpr_private_segment_wavefront_offset 0
		.amdhsa_system_sgpr_workgroup_id_x 1
		.amdhsa_system_sgpr_workgroup_id_y 0
		.amdhsa_system_sgpr_workgroup_id_z 0
		.amdhsa_system_sgpr_workgroup_info 0
		.amdhsa_system_vgpr_workitem_id 0
		.amdhsa_next_free_vgpr 20
		.amdhsa_next_free_sgpr 12
		.amdhsa_reserve_vcc 1
		.amdhsa_reserve_flat_scratch 0
		.amdhsa_float_round_mode_32 0
		.amdhsa_float_round_mode_16_64 0
		.amdhsa_float_denorm_mode_32 3
		.amdhsa_float_denorm_mode_16_64 3
		.amdhsa_dx10_clamp 1
		.amdhsa_ieee_mode 1
		.amdhsa_fp16_overflow 0
		.amdhsa_workgroup_processor_mode 1
		.amdhsa_memory_ordered 1
		.amdhsa_forward_progress 1
		.amdhsa_shared_vgpr_count 0
		.amdhsa_exception_fp_ieee_invalid_op 0
		.amdhsa_exception_fp_denorm_src 0
		.amdhsa_exception_fp_ieee_div_zero 0
		.amdhsa_exception_fp_ieee_overflow 0
		.amdhsa_exception_fp_ieee_underflow 0
		.amdhsa_exception_fp_ieee_inexact 0
		.amdhsa_exception_int_div_zero 0
	.end_amdhsa_kernel
	.section	.text._Z19sort_keys_segmentedILj256ELj4ELj4EaN10test_utils4lessEEvPKT2_PS2_PKjT3_,"axG",@progbits,_Z19sort_keys_segmentedILj256ELj4ELj4EaN10test_utils4lessEEvPKT2_PS2_PKjT3_,comdat
.Lfunc_end54:
	.size	_Z19sort_keys_segmentedILj256ELj4ELj4EaN10test_utils4lessEEvPKT2_PS2_PKjT3_, .Lfunc_end54-_Z19sort_keys_segmentedILj256ELj4ELj4EaN10test_utils4lessEEvPKT2_PS2_PKjT3_
                                        ; -- End function
	.set _Z19sort_keys_segmentedILj256ELj4ELj4EaN10test_utils4lessEEvPKT2_PS2_PKjT3_.num_vgpr, 20
	.set _Z19sort_keys_segmentedILj256ELj4ELj4EaN10test_utils4lessEEvPKT2_PS2_PKjT3_.num_agpr, 0
	.set _Z19sort_keys_segmentedILj256ELj4ELj4EaN10test_utils4lessEEvPKT2_PS2_PKjT3_.numbered_sgpr, 12
	.set _Z19sort_keys_segmentedILj256ELj4ELj4EaN10test_utils4lessEEvPKT2_PS2_PKjT3_.num_named_barrier, 0
	.set _Z19sort_keys_segmentedILj256ELj4ELj4EaN10test_utils4lessEEvPKT2_PS2_PKjT3_.private_seg_size, 0
	.set _Z19sort_keys_segmentedILj256ELj4ELj4EaN10test_utils4lessEEvPKT2_PS2_PKjT3_.uses_vcc, 1
	.set _Z19sort_keys_segmentedILj256ELj4ELj4EaN10test_utils4lessEEvPKT2_PS2_PKjT3_.uses_flat_scratch, 0
	.set _Z19sort_keys_segmentedILj256ELj4ELj4EaN10test_utils4lessEEvPKT2_PS2_PKjT3_.has_dyn_sized_stack, 0
	.set _Z19sort_keys_segmentedILj256ELj4ELj4EaN10test_utils4lessEEvPKT2_PS2_PKjT3_.has_recursion, 0
	.set _Z19sort_keys_segmentedILj256ELj4ELj4EaN10test_utils4lessEEvPKT2_PS2_PKjT3_.has_indirect_call, 0
	.section	.AMDGPU.csdata,"",@progbits
; Kernel info:
; codeLenInByte = 2512
; TotalNumSgprs: 14
; NumVgprs: 20
; ScratchSize: 0
; MemoryBound: 0
; FloatMode: 240
; IeeeMode: 1
; LDSByteSize: 1088 bytes/workgroup (compile time only)
; SGPRBlocks: 0
; VGPRBlocks: 2
; NumSGPRsForWavesPerEU: 14
; NumVGPRsForWavesPerEU: 20
; Occupancy: 16
; WaveLimiterHint : 0
; COMPUTE_PGM_RSRC2:SCRATCH_EN: 0
; COMPUTE_PGM_RSRC2:USER_SGPR: 6
; COMPUTE_PGM_RSRC2:TRAP_HANDLER: 0
; COMPUTE_PGM_RSRC2:TGID_X_EN: 1
; COMPUTE_PGM_RSRC2:TGID_Y_EN: 0
; COMPUTE_PGM_RSRC2:TGID_Z_EN: 0
; COMPUTE_PGM_RSRC2:TIDIG_COMP_CNT: 0
	.section	.text._Z20sort_pairs_segmentedILj256ELj4ELj4EaN10test_utils4lessEEvPKT2_PS2_PKjT3_,"axG",@progbits,_Z20sort_pairs_segmentedILj256ELj4ELj4EaN10test_utils4lessEEvPKT2_PS2_PKjT3_,comdat
	.protected	_Z20sort_pairs_segmentedILj256ELj4ELj4EaN10test_utils4lessEEvPKT2_PS2_PKjT3_ ; -- Begin function _Z20sort_pairs_segmentedILj256ELj4ELj4EaN10test_utils4lessEEvPKT2_PS2_PKjT3_
	.globl	_Z20sort_pairs_segmentedILj256ELj4ELj4EaN10test_utils4lessEEvPKT2_PS2_PKjT3_
	.p2align	8
	.type	_Z20sort_pairs_segmentedILj256ELj4ELj4EaN10test_utils4lessEEvPKT2_PS2_PKjT3_,@function
_Z20sort_pairs_segmentedILj256ELj4ELj4EaN10test_utils4lessEEvPKT2_PS2_PKjT3_: ; @_Z20sort_pairs_segmentedILj256ELj4ELj4EaN10test_utils4lessEEvPKT2_PS2_PKjT3_
; %bb.0:
	s_clause 0x1
	s_load_dwordx2 s[0:1], s[4:5], 0x10
	s_load_dwordx4 s[8:11], s[4:5], 0x0
	v_lshrrev_b32_e32 v6, 2, v0
	v_mov_b32_e32 v1, 0
	v_mov_b32_e32 v9, 0
	;; [unrolled: 1-line block ×3, first 2 shown]
	v_lshl_or_b32 v0, s6, 6, v6
	v_lshlrev_b64 v[2:3], 2, v[0:1]
	v_lshlrev_b32_e32 v4, 4, v0
	s_waitcnt lgkmcnt(0)
	v_add_co_u32 v2, vcc_lo, s0, v2
	v_add_co_ci_u32_e64 v3, null, s1, v3, vcc_lo
	global_load_dword v5, v[2:3], off
	v_mbcnt_lo_u32_b32 v2, -1, 0
	v_lshlrev_b32_e32 v7, 2, v2
	v_add_co_u32 v2, s0, s8, v4
	v_add_co_ci_u32_e64 v3, null, s9, 0, s0
	v_and_b32_e32 v0, 12, v7
	v_add_co_u32 v2, vcc_lo, v2, v0
	v_add_co_ci_u32_e64 v3, null, 0, v3, vcc_lo
	s_waitcnt vmcnt(0)
	v_cmp_lt_u32_e64 s0, v0, v5
	s_and_saveexec_b32 s1, s0
	s_cbranch_execz .LBB55_2
; %bb.1:
	global_load_ubyte v9, v[2:3], off
	v_mov_b32_e32 v8, 0
.LBB55_2:
	s_or_b32 exec_lo, exec_lo, s1
	v_or_b32_e32 v10, 1, v0
	v_mov_b32_e32 v13, v1
	v_cmp_lt_u32_e64 s1, v10, v5
	s_and_saveexec_b32 s2, s1
	s_cbranch_execz .LBB55_4
; %bb.3:
	global_load_ubyte v13, v[2:3], off offset:1
.LBB55_4:
	s_or_b32 exec_lo, exec_lo, s2
	v_or_b32_e32 v11, 2, v0
	v_cmp_lt_u32_e64 s2, v11, v5
	s_and_saveexec_b32 s3, s2
	s_cbranch_execz .LBB55_6
; %bb.5:
	global_load_ubyte v1, v[2:3], off offset:2
.LBB55_6:
	s_or_b32 exec_lo, exec_lo, s3
	v_or_b32_e32 v12, 3, v0
	v_cmp_lt_u32_e64 s3, v12, v5
	s_and_saveexec_b32 s4, s3
	s_cbranch_execz .LBB55_8
; %bb.7:
	global_load_ubyte v8, v[2:3], off offset:3
.LBB55_8:
	s_or_b32 exec_lo, exec_lo, s4
	s_waitcnt vmcnt(0)
	v_add_nc_u16 v2, v9, 1
	v_mov_b32_e32 v3, 0xffff
	v_perm_b32 v15, v1, v8, 0xc0c0004
	v_add_nc_u16 v1, v1, 1
	v_cmp_lt_i32_e32 vcc_lo, v10, v5
	v_mov_b32_e32 v10, 0xff
	v_and_b32_sdwa v2, v3, v2 dst_sel:DWORD dst_unused:UNUSED_PAD src0_sel:DWORD src1_sel:BYTE_0
	v_lshlrev_b16 v3, 8, v13
	v_perm_b32 v13, v9, v13, 0xc0c0004
	v_lshlrev_b16 v8, 8, v8
	v_cmp_lt_i32_e64 s5, v12, v5
	v_cndmask_b32_e64 v14, 0, v2, s0
	s_mov_b32 s4, exec_lo
	v_or_b32_e32 v2, v3, v14
	v_add_nc_u16 v2, 0x100, v2
	v_and_b32_e32 v3, 0xffff, v2
	v_mov_b32_e32 v2, 0x7f00
	v_cndmask_b32_e64 v3, v14, v3, s1
	v_lshlrev_b32_e32 v14, 16, v15
	v_or_b32_sdwa v9, v9, v2 dst_sel:DWORD dst_unused:UNUSED_PAD src0_sel:BYTE_0 src1_sel:DWORD
	v_perm_b32 v1, v1, v3, 0xc0c0304
	v_or_b32_e32 v13, v13, v14
	v_or_b32_sdwa v9, v9, v14 dst_sel:DWORD dst_unused:UNUSED_PAD src0_sel:WORD_0 src1_sel:DWORD
	v_mov_b32_e32 v14, 0xffffff00
	v_lshl_or_b32 v1, v1, 16, v3
	v_cndmask_b32_e32 v9, v9, v13, vcc_lo
	v_cmp_lt_i32_e32 vcc_lo, v11, v5
	v_cndmask_b32_e64 v3, v3, v1, s2
	v_mov_b32_e32 v1, 0x7f
	v_and_b32_sdwa v14, v9, v14 dst_sel:DWORD dst_unused:UNUSED_PAD src0_sel:WORD_1 src1_sel:DWORD
	v_and_b32_sdwa v10, v3, v10 dst_sel:DWORD dst_unused:UNUSED_PAD src0_sel:WORD_1 src1_sel:DWORD
	v_or_b32_sdwa v1, v14, v1 dst_sel:WORD_1 dst_unused:UNUSED_PAD src0_sel:DWORD src1_sel:DWORD
	v_or_b32_e32 v8, v8, v10
	v_and_or_b32 v1, 0xffff, v9, v1
	v_add_nc_u16 v8, 0x100, v8
	v_cndmask_b32_e32 v1, v1, v13, vcc_lo
	v_lshlrev_b32_e32 v8, 16, v8
	v_lshrrev_b32_e32 v13, 24, v1
	v_lshrrev_b32_e32 v10, 16, v1
	;; [unrolled: 1-line block ×3, first 2 shown]
	v_and_or_b32 v11, 0xffff, v3, v8
                                        ; implicit-def: $vgpr8
	v_cmpx_ge_i32_e64 v12, v5
; %bb.9:
	v_or_b32_sdwa v2, v10, v2 dst_sel:WORD_1 dst_unused:UNUSED_PAD src0_sel:BYTE_0 src1_sel:DWORD
	v_cmp_lt_i32_e32 vcc_lo, v0, v5
	v_mov_b32_e32 v13, 0x7f
	s_andn2_b32 s5, s5, exec_lo
	v_and_or_b32 v8, 0xffff, v1, v2
	s_and_b32 s6, vcc_lo, exec_lo
	s_or_b32 s5, s5, s6
; %bb.10:
	s_or_b32 exec_lo, exec_lo, s4
	v_cndmask_b32_e64 v2, v3, v11, s3
	s_and_saveexec_b32 s4, s5
	s_cbranch_execz .LBB55_14
; %bb.11:
	v_perm_b32 v3, v10, v13, 0xc0c0004
	v_perm_b32 v8, v9, v1, 0xc0c0004
	;; [unrolled: 1-line block ×4, first 2 shown]
	v_cmp_lt_i16_sdwa vcc_lo, sext(v9), sext(v1) src0_sel:BYTE_0 src1_sel:BYTE_0
	v_lshlrev_b32_e32 v3, 16, v3
	v_cndmask_b32_e32 v1, v2, v11, vcc_lo
	v_or_b32_e32 v8, v8, v3
	v_or_b32_e32 v3, v10, v3
	v_mov_b32_e32 v11, 0xffffff00
	v_cndmask_b32_e32 v2, v3, v8, vcc_lo
	v_lshrrev_b32_e32 v3, 16, v1
	v_lshrrev_b32_e32 v8, 16, v2
	v_perm_b32 v3, 0, v3, 0xc0c0001
	v_lshrrev_b32_e32 v9, 24, v2
	v_perm_b32 v10, 0, v8, 0xc0c0001
	v_lshlrev_b32_e32 v3, 16, v3
	v_bfe_i32 v9, v9, 0, 8
	v_bfe_i32 v8, v8, 0, 8
	v_lshlrev_b32_e32 v10, 16, v10
	v_and_or_b32 v3, 0xffff, v1, v3
	v_cmp_lt_i16_e32 vcc_lo, v9, v8
	v_and_or_b32 v10, 0xffff, v2, v10
	v_cndmask_b32_e32 v1, v1, v3, vcc_lo
	v_min_i16 v3, v9, v8
	v_cndmask_b32_e32 v2, v2, v10, vcc_lo
	v_lshlrev_b16 v8, 8, v3
	v_and_b32_sdwa v9, v2, v11 dst_sel:DWORD dst_unused:UNUSED_PAD src0_sel:WORD_1 src1_sel:DWORD
	v_lshrrev_b32_e32 v10, 8, v2
	v_perm_b32 v11, v1, v1, 0x7050604
	v_or_b32_sdwa v8, v2, v8 dst_sel:DWORD dst_unused:UNUSED_PAD src0_sel:BYTE_0 src1_sel:DWORD
	v_or_b32_sdwa v9, v2, v9 dst_sel:WORD_1 dst_unused:UNUSED_PAD src0_sel:BYTE_1 src1_sel:DWORD
	v_bfe_i32 v10, v10, 0, 8
	v_or_b32_sdwa v8, v8, v9 dst_sel:DWORD dst_unused:UNUSED_PAD src0_sel:WORD_0 src1_sel:DWORD
	v_cmp_lt_i16_e32 vcc_lo, v3, v10
	v_min_i16 v3, v3, v10
	v_cndmask_b32_e32 v2, v2, v8, vcc_lo
	v_cndmask_b32_e32 v1, v1, v11, vcc_lo
	v_lshlrev_b16 v8, 8, v2
	v_perm_b32 v9, 0, v1, 0xc0c0001
	v_cmp_lt_i16_sdwa vcc_lo, v3, sext(v2) src0_sel:DWORD src1_sel:BYTE_0
	v_or_b32_sdwa v8, v3, v8 dst_sel:DWORD dst_unused:UNUSED_PAD src0_sel:BYTE_0 src1_sel:DWORD
	v_and_or_b32 v9, 0xffff0000, v1, v9
	v_and_b32_e32 v8, 0xffff, v8
	v_cndmask_b32_e32 v1, v1, v9, vcc_lo
	v_and_or_b32 v8, 0xffff0000, v2, v8
	v_cndmask_b32_e32 v3, v2, v8, vcc_lo
	v_lshrrev_b32_e32 v2, 16, v1
	v_lshrrev_b32_e32 v8, 16, v3
	;; [unrolled: 1-line block ×3, first 2 shown]
	v_perm_b32 v2, 0, v2, 0xc0c0001
	v_perm_b32 v10, 0, v8, 0xc0c0001
	v_bfe_i32 v9, v9, 0, 8
	v_bfe_i32 v11, v8, 0, 8
	v_lshlrev_b32_e32 v2, 16, v2
	v_lshlrev_b32_e32 v10, 16, v10
	v_cmp_lt_i16_e32 vcc_lo, v9, v11
	v_and_or_b32 v2, 0xffff, v1, v2
	v_and_or_b32 v8, 0xffff, v3, v10
	v_cndmask_b32_e32 v2, v1, v2, vcc_lo
	v_min_i16 v1, v9, v11
	v_cndmask_b32_e32 v8, v3, v8, vcc_lo
	v_lshrrev_b32_e32 v3, 8, v8
	v_cmp_lt_i16_sdwa s6, v1, sext(v3) src0_sel:DWORD src1_sel:BYTE_0
	s_and_saveexec_b32 s5, s6
; %bb.12:
	v_perm_b32 v8, v8, v1, 0x7050004
	v_perm_b32 v2, v2, v2, 0x7050604
; %bb.13:
	s_or_b32 exec_lo, exec_lo, s5
.LBB55_14:
	s_or_b32 exec_lo, exec_lo, s4
	v_and_b32_e32 v1, 8, v7
	v_and_b32_e32 v10, 4, v7
	v_mad_u32_u24 v13, v6, 17, v0
	s_mov_b32 s5, 0
	s_mov_b32 s4, exec_lo
	v_min_i32_e32 v9, v5, v1
	v_min_i32_e32 v10, v5, v10
	; wave barrier
	ds_write_b32 v13, v8
	v_add_nc_u32_e32 v1, 4, v9
	; wave barrier
	v_min_i32_e32 v3, v5, v1
	v_add_nc_u32_e32 v1, 4, v3
	v_sub_nc_u32_e32 v12, v3, v9
	v_min_i32_e32 v7, v5, v1
	v_min_i32_e32 v12, v10, v12
	v_sub_nc_u32_e32 v1, v7, v3
	v_sub_nc_u32_e32 v11, v10, v1
	v_cmp_ge_i32_e32 vcc_lo, v10, v1
	v_mul_u32_u24_e32 v1, 17, v6
	v_cndmask_b32_e32 v11, 0, v11, vcc_lo
	v_cmpx_lt_i32_e64 v11, v12
	s_cbranch_execz .LBB55_18
; %bb.15:
	v_add_nc_u32_e32 v6, v1, v9
	v_add3_u32 v8, v1, v3, v10
	.p2align	6
.LBB55_16:                              ; =>This Inner Loop Header: Depth=1
	v_sub_nc_u32_e32 v13, v12, v11
	v_lshrrev_b32_e32 v13, 1, v13
	v_add_nc_u32_e32 v13, v13, v11
	v_add_nc_u32_e32 v14, v6, v13
	v_xad_u32 v15, v13, -1, v8
	v_add_nc_u32_e32 v16, 1, v13
	ds_read_i8 v14, v14
	ds_read_i8 v15, v15
	s_waitcnt lgkmcnt(0)
	v_cmp_lt_i16_e32 vcc_lo, v15, v14
	v_cndmask_b32_e32 v12, v12, v13, vcc_lo
	v_cndmask_b32_e32 v11, v16, v11, vcc_lo
	v_cmp_ge_i32_e32 vcc_lo, v11, v12
	s_or_b32 s5, vcc_lo, s5
	s_andn2_b32 exec_lo, exec_lo, s5
	s_cbranch_execnz .LBB55_16
; %bb.17:
	s_or_b32 exec_lo, exec_lo, s5
.LBB55_18:
	s_or_b32 exec_lo, exec_lo, s4
	v_add_nc_u32_e32 v8, v3, v10
	v_add_nc_u32_e32 v6, v11, v9
                                        ; implicit-def: $vgpr12
	v_sub_nc_u32_e32 v8, v8, v11
	v_add_nc_u32_e32 v13, v1, v6
	v_cmp_le_i32_e32 vcc_lo, v3, v6
	v_add_nc_u32_e32 v9, v1, v8
	v_cmp_gt_i32_e64 s5, v7, v8
	ds_read_u8 v10, v13
	ds_read_u8 v11, v9
	s_waitcnt lgkmcnt(1)
	v_bfe_i32 v10, v10, 0, 8
	s_waitcnt lgkmcnt(0)
	v_bfe_i32 v11, v11, 0, 8
	v_cmp_lt_i16_e64 s4, v11, v10
	s_or_b32 s4, vcc_lo, s4
	s_and_b32 vcc_lo, s5, s4
	s_xor_b32 s4, vcc_lo, -1
	s_and_saveexec_b32 s5, s4
	s_xor_b32 s4, exec_lo, s5
; %bb.19:
	ds_read_u8 v12, v13 offset:1
                                        ; implicit-def: $vgpr9
; %bb.20:
	s_or_saveexec_b32 s4, s4
	v_mov_b32_e32 v13, v11
	s_xor_b32 exec_lo, exec_lo, s4
	s_cbranch_execz .LBB55_22
; %bb.21:
	ds_read_u8 v13, v9 offset:1
	s_waitcnt lgkmcnt(1)
	v_mov_b32_e32 v12, v10
.LBB55_22:
	s_or_b32 exec_lo, exec_lo, s4
	v_add_nc_u32_e32 v9, 1, v6
	v_add_nc_u32_e32 v14, 1, v8
	s_waitcnt lgkmcnt(0)
	v_cmp_lt_i16_sdwa s6, sext(v13), sext(v12) src0_sel:BYTE_0 src1_sel:BYTE_0
	v_cndmask_b32_e32 v9, v9, v6, vcc_lo
	v_cndmask_b32_e32 v16, v8, v14, vcc_lo
                                        ; implicit-def: $vgpr14
	v_cmp_ge_i32_e64 s4, v9, v3
	v_cmp_lt_i32_e64 s5, v16, v7
	s_or_b32 s4, s4, s6
	s_and_b32 s4, s5, s4
	s_xor_b32 s5, s4, -1
	s_and_saveexec_b32 s6, s5
	s_xor_b32 s5, exec_lo, s6
; %bb.23:
	v_add_nc_u32_e32 v14, v1, v9
	ds_read_u8 v14, v14 offset:1
; %bb.24:
	s_or_saveexec_b32 s5, s5
	v_mov_b32_e32 v15, v13
	s_xor_b32 exec_lo, exec_lo, s5
	s_cbranch_execz .LBB55_26
; %bb.25:
	s_waitcnt lgkmcnt(0)
	v_add_nc_u32_e32 v14, v1, v16
	ds_read_u8 v15, v14 offset:1
	v_mov_b32_e32 v14, v12
.LBB55_26:
	s_or_b32 exec_lo, exec_lo, s5
	v_add_nc_u32_e32 v17, 1, v9
	v_add_nc_u32_e32 v19, 1, v16
	s_waitcnt lgkmcnt(0)
	v_cmp_lt_i16_sdwa s7, sext(v15), sext(v14) src0_sel:BYTE_0 src1_sel:BYTE_0
	v_cndmask_b32_e64 v18, v17, v9, s4
	v_cndmask_b32_e64 v17, v16, v19, s4
                                        ; implicit-def: $vgpr19
	v_cmp_ge_i32_e64 s5, v18, v3
	v_cmp_lt_i32_e64 s6, v17, v7
	s_or_b32 s5, s5, s7
	s_and_b32 s5, s6, s5
	s_xor_b32 s6, s5, -1
	s_and_saveexec_b32 s7, s6
	s_xor_b32 s6, exec_lo, s7
; %bb.27:
	v_add_nc_u32_e32 v19, v1, v18
	ds_read_u8 v19, v19 offset:1
; %bb.28:
	s_or_saveexec_b32 s6, s6
	v_mov_b32_e32 v20, v15
	s_xor_b32 exec_lo, exec_lo, s6
	s_cbranch_execz .LBB55_30
; %bb.29:
	s_waitcnt lgkmcnt(0)
	v_add_nc_u32_e32 v19, v1, v17
	ds_read_u8 v20, v19 offset:1
	v_mov_b32_e32 v19, v14
.LBB55_30:
	s_or_b32 exec_lo, exec_lo, s6
	v_add_nc_u32_e32 v21, 1, v18
	v_add_nc_u32_e32 v22, 1, v17
	v_cndmask_b32_e64 v23, v18, v17, s5
	v_cndmask_b32_e64 v9, v9, v16, s4
	v_min_i32_e32 v16, 0, v5
	v_cndmask_b32_e64 v18, v21, v18, s5
	v_cndmask_b32_e64 v17, v17, v22, s5
	s_waitcnt lgkmcnt(0)
	v_cmp_lt_i16_sdwa s8, sext(v20), sext(v19) src0_sel:BYTE_0 src1_sel:BYTE_0
	v_cndmask_b32_e32 v8, v6, v8, vcc_lo
	v_add_nc_u32_e32 v6, 8, v16
	v_cmp_ge_i32_e64 s6, v18, v3
	v_cmp_lt_i32_e64 s7, v17, v7
	v_add_nc_u32_e32 v3, v1, v0
	v_add_nc_u32_e32 v8, v1, v8
	v_min_i32_e32 v6, v5, v6
	s_or_b32 s6, s6, s8
	v_add_nc_u32_e32 v9, v1, v9
	s_and_b32 s6, s7, s6
	v_cndmask_b32_e64 v7, v18, v17, s6
	v_add_nc_u32_e32 v17, 8, v6
	v_add_nc_u32_e32 v18, v1, v23
	; wave barrier
	ds_write_b32 v3, v2
	v_add_nc_u32_e32 v7, v1, v7
	; wave barrier
	v_min_i32_e32 v2, v5, v17
	v_min_i32_e32 v17, v5, v0
	ds_read_u8 v8, v8
	ds_read_u8 v9, v9
	;; [unrolled: 1-line block ×4, first 2 shown]
	v_cndmask_b32_e64 v19, v19, v20, s6
	v_cndmask_b32_e64 v14, v14, v15, s5
	v_sub_nc_u32_e32 v20, v2, v6
	v_cndmask_b32_e64 v12, v12, v13, s4
	v_sub_nc_u32_e32 v15, v6, v16
	v_cndmask_b32_e32 v18, v10, v11, vcc_lo
	s_mov_b32 s5, 0
	v_sub_nc_u32_e32 v13, v17, v20
	v_cmp_ge_i32_e32 vcc_lo, v17, v20
	v_min_i32_e32 v11, v17, v15
	s_mov_b32 s4, exec_lo
	; wave barrier
	v_cndmask_b32_e32 v10, 0, v13, vcc_lo
	ds_write_b8 v3, v18
	ds_write_b8 v3, v12 offset:1
	ds_write_b8 v3, v14 offset:2
	;; [unrolled: 1-line block ×3, first 2 shown]
	; wave barrier
	v_cmpx_lt_i32_e64 v10, v11
	s_cbranch_execz .LBB55_34
; %bb.31:
	v_add_nc_u32_e32 v12, v1, v16
	v_add3_u32 v13, v1, v6, v17
	.p2align	6
.LBB55_32:                              ; =>This Inner Loop Header: Depth=1
	v_sub_nc_u32_e32 v14, v11, v10
	v_lshrrev_b32_e32 v14, 1, v14
	v_add_nc_u32_e32 v14, v14, v10
	v_add_nc_u32_e32 v15, v12, v14
	v_xad_u32 v18, v14, -1, v13
	v_add_nc_u32_e32 v19, 1, v14
	ds_read_i8 v15, v15
	ds_read_i8 v18, v18
	s_waitcnt lgkmcnt(0)
	v_cmp_lt_i16_e32 vcc_lo, v18, v15
	v_cndmask_b32_e32 v11, v11, v14, vcc_lo
	v_cndmask_b32_e32 v10, v19, v10, vcc_lo
	v_cmp_ge_i32_e32 vcc_lo, v10, v11
	s_or_b32 s5, vcc_lo, s5
	s_andn2_b32 exec_lo, exec_lo, s5
	s_cbranch_execnz .LBB55_32
; %bb.33:
	s_or_b32 exec_lo, exec_lo, s5
.LBB55_34:
	s_or_b32 exec_lo, exec_lo, s4
	v_add_nc_u32_e32 v11, v6, v17
	v_add_nc_u32_e32 v14, v10, v16
                                        ; implicit-def: $vgpr12
	v_sub_nc_u32_e32 v15, v11, v10
	v_add_nc_u32_e32 v13, v1, v14
	v_cmp_le_i32_e32 vcc_lo, v6, v14
	v_add_nc_u32_e32 v16, v1, v15
	v_cmp_gt_i32_e64 s5, v2, v15
	ds_read_u8 v10, v13
	ds_read_u8 v11, v16
	s_waitcnt lgkmcnt(1)
	v_bfe_i32 v10, v10, 0, 8
	s_waitcnt lgkmcnt(0)
	v_bfe_i32 v11, v11, 0, 8
	v_cmp_lt_i16_e64 s4, v11, v10
	s_or_b32 s4, vcc_lo, s4
	s_and_b32 s4, s5, s4
	s_xor_b32 s5, s4, -1
	s_and_saveexec_b32 s6, s5
	s_xor_b32 s5, exec_lo, s6
; %bb.35:
	ds_read_u8 v12, v13 offset:1
                                        ; implicit-def: $vgpr16
; %bb.36:
	s_or_saveexec_b32 s5, s5
	v_mov_b32_e32 v13, v11
	s_xor_b32 exec_lo, exec_lo, s5
	s_cbranch_execz .LBB55_38
; %bb.37:
	ds_read_u8 v13, v16 offset:1
	s_waitcnt lgkmcnt(1)
	v_mov_b32_e32 v12, v10
.LBB55_38:
	s_or_b32 exec_lo, exec_lo, s5
	v_add_nc_u32_e32 v16, 1, v14
	v_add_nc_u32_e32 v17, 1, v15
	s_waitcnt lgkmcnt(0)
	v_cmp_lt_i16_sdwa s6, sext(v13), sext(v12) src0_sel:BYTE_0 src1_sel:BYTE_0
                                        ; implicit-def: $vgpr18
	v_cndmask_b32_e64 v16, v16, v14, s4
	v_cndmask_b32_e64 v17, v15, v17, s4
	v_cmp_ge_i32_e32 vcc_lo, v16, v6
	v_cmp_lt_i32_e64 s5, v17, v2
	s_or_b32 s6, vcc_lo, s6
	s_and_b32 vcc_lo, s5, s6
	s_xor_b32 s5, vcc_lo, -1
	s_and_saveexec_b32 s6, s5
	s_xor_b32 s5, exec_lo, s6
; %bb.39:
	v_add_nc_u32_e32 v18, v1, v16
	ds_read_u8 v18, v18 offset:1
; %bb.40:
	s_or_saveexec_b32 s5, s5
	v_mov_b32_e32 v19, v13
	s_xor_b32 exec_lo, exec_lo, s5
	s_cbranch_execz .LBB55_42
; %bb.41:
	s_waitcnt lgkmcnt(0)
	v_add_nc_u32_e32 v18, v1, v17
	ds_read_u8 v19, v18 offset:1
	v_mov_b32_e32 v18, v12
.LBB55_42:
	s_or_b32 exec_lo, exec_lo, s5
	v_add_nc_u32_e32 v20, 1, v16
	v_add_nc_u32_e32 v21, 1, v17
	s_waitcnt lgkmcnt(0)
	v_cmp_lt_i16_sdwa s7, sext(v19), sext(v18) src0_sel:BYTE_0 src1_sel:BYTE_0
                                        ; implicit-def: $vgpr22
	v_cndmask_b32_e32 v25, v20, v16, vcc_lo
	v_cndmask_b32_e32 v20, v17, v21, vcc_lo
                                        ; implicit-def: $vgpr21
	v_cmp_ge_i32_e64 s5, v25, v6
	v_cmp_lt_i32_e64 s6, v20, v2
	s_or_b32 s5, s5, s7
	s_and_b32 s5, s6, s5
	s_xor_b32 s6, s5, -1
	s_and_saveexec_b32 s7, s6
	s_xor_b32 s6, exec_lo, s7
; %bb.43:
	v_add_nc_u32_e32 v21, v1, v25
	ds_read_u8 v22, v21 offset:1
	v_add_nc_u32_e32 v21, 1, v25
; %bb.44:
	s_or_saveexec_b32 s6, s6
	v_mov_b32_e32 v23, v25
	v_mov_b32_e32 v24, v19
	s_xor_b32 exec_lo, exec_lo, s6
	s_cbranch_execz .LBB55_46
; %bb.45:
	v_add_nc_u32_e32 v21, v1, v20
	s_waitcnt lgkmcnt(0)
	v_add_nc_u32_e32 v22, 1, v20
	v_mov_b32_e32 v23, v20
	ds_read_u8 v24, v21 offset:1
	v_mov_b32_e32 v21, v25
	v_mov_b32_e32 v20, v22
	;; [unrolled: 1-line block ×3, first 2 shown]
.LBB55_46:
	s_or_b32 exec_lo, exec_lo, s6
	v_cndmask_b32_e64 v14, v14, v15, s4
	v_cmp_ge_i32_e64 s6, v21, v6
	; wave barrier
	ds_write_b8 v3, v8
	ds_write_b8 v3, v9 offset:1
	v_add_nc_u32_e32 v6, v1, v14
	ds_write_b8 v3, v5 offset:2
	ds_write_b8 v3, v7 offset:3
	; wave barrier
	s_waitcnt lgkmcnt(4)
	v_cmp_lt_i16_sdwa s8, sext(v24), sext(v22) src0_sel:BYTE_0 src1_sel:BYTE_0
	ds_read_u8 v3, v6
	v_cmp_lt_i32_e64 s7, v20, v2
	v_cndmask_b32_e32 v2, v16, v17, vcc_lo
	v_cndmask_b32_e64 v7, v10, v11, s4
	s_or_b32 s6, s6, s8
	v_cndmask_b32_e64 v8, v18, v19, s5
	s_and_b32 s6, s7, s6
	v_add_nc_u32_e32 v2, v1, v2
	v_cndmask_b32_e64 v5, v22, v24, s6
	v_cndmask_b32_e64 v6, v21, v20, s6
	v_add_nc_u32_e32 v9, v1, v23
	v_lshlrev_b16 v5, 8, v5
	v_add_nc_u32_e32 v1, v1, v6
	v_cndmask_b32_sdwa v6, v12, v13, vcc_lo dst_sel:BYTE_1 dst_unused:UNUSED_PAD src0_sel:DWORD src1_sel:DWORD
	ds_read_u8 v2, v2
	ds_read_u8 v9, v9
	;; [unrolled: 1-line block ×3, first 2 shown]
	v_or_b32_sdwa v5, v8, v5 dst_sel:WORD_1 dst_unused:UNUSED_PAD src0_sel:BYTE_0 src1_sel:DWORD
	s_waitcnt lgkmcnt(3)
	v_add_nc_u16 v3, v3, v7
	v_or_b32_sdwa v7, v7, v6 dst_sel:DWORD dst_unused:UNUSED_PAD src0_sel:BYTE_0 src1_sel:DWORD
	v_or_b32_sdwa v3, v3, v6 dst_sel:DWORD dst_unused:UNUSED_PAD src0_sel:BYTE_0 src1_sel:DWORD
	v_or_b32_sdwa v6, v7, v5 dst_sel:DWORD dst_unused:UNUSED_PAD src0_sel:WORD_0 src1_sel:DWORD
	v_or_b32_sdwa v3, v3, v5 dst_sel:DWORD dst_unused:UNUSED_PAD src0_sel:WORD_0 src1_sel:DWORD
	v_cndmask_b32_e64 v3, v6, v3, s0
	v_lshrrev_b32_e32 v5, 8, v3
	s_waitcnt lgkmcnt(2)
	v_add_nc_u16 v2, v5, v2
	v_mov_b32_e32 v5, 0xff
	v_lshlrev_b16 v2, 8, v2
	v_or_b32_sdwa v2, v3, v2 dst_sel:DWORD dst_unused:UNUSED_PAD src0_sel:BYTE_0 src1_sel:DWORD
	v_and_b32_e32 v2, 0xffff, v2
	v_and_or_b32 v2, 0xffff0000, v3, v2
	v_cndmask_b32_e64 v2, v3, v2, s1
	v_lshrrev_b32_e32 v3, 16, v2
	s_waitcnt lgkmcnt(1)
	v_add_nc_u16 v3, v3, v9
	v_perm_b32 v3, v3, v2, 0xc0c0304
	v_lshlrev_b32_e32 v3, 16, v3
	v_and_or_b32 v3, 0xffff, v2, v3
	v_cndmask_b32_e64 v2, v2, v3, s2
	v_lshrrev_b32_e32 v3, 24, v2
	s_waitcnt lgkmcnt(0)
	v_add_nc_u16 v1, v3, v1
	v_and_b32_sdwa v3, v2, v5 dst_sel:DWORD dst_unused:UNUSED_PAD src0_sel:WORD_1 src1_sel:DWORD
	v_lshlrev_b16 v1, 8, v1
	v_or_b32_sdwa v1, v3, v1 dst_sel:WORD_1 dst_unused:UNUSED_PAD src0_sel:DWORD src1_sel:DWORD
	v_add_co_u32 v3, s4, s10, v4
	v_add_co_ci_u32_e64 v4, null, s11, 0, s4
	v_and_or_b32 v1, 0xffff, v2, v1
	v_add_co_u32 v0, vcc_lo, v3, v0
	v_cndmask_b32_e64 v2, v2, v1, s3
	v_add_co_ci_u32_e64 v1, null, 0, v4, vcc_lo
	s_and_saveexec_b32 s4, s0
	s_cbranch_execnz .LBB55_51
; %bb.47:
	s_or_b32 exec_lo, exec_lo, s4
	s_and_saveexec_b32 s0, s1
	s_cbranch_execnz .LBB55_52
.LBB55_48:
	s_or_b32 exec_lo, exec_lo, s0
	s_and_saveexec_b32 s0, s2
	s_cbranch_execnz .LBB55_53
.LBB55_49:
	s_or_b32 exec_lo, exec_lo, s0
	s_and_saveexec_b32 s0, s3
	s_cbranch_execnz .LBB55_54
.LBB55_50:
	s_endpgm
.LBB55_51:
	global_store_byte v[0:1], v2, off
	s_or_b32 exec_lo, exec_lo, s4
	s_and_saveexec_b32 s0, s1
	s_cbranch_execz .LBB55_48
.LBB55_52:
	v_lshrrev_b32_e32 v3, 8, v2
	global_store_byte v[0:1], v3, off offset:1
	s_or_b32 exec_lo, exec_lo, s0
	s_and_saveexec_b32 s0, s2
	s_cbranch_execz .LBB55_49
.LBB55_53:
	global_store_byte_d16_hi v[0:1], v2, off offset:2
	s_or_b32 exec_lo, exec_lo, s0
	s_and_saveexec_b32 s0, s3
	s_cbranch_execz .LBB55_50
.LBB55_54:
	v_lshrrev_b32_e32 v2, 24, v2
	global_store_byte v[0:1], v2, off offset:3
	s_endpgm
	.section	.rodata,"a",@progbits
	.p2align	6, 0x0
	.amdhsa_kernel _Z20sort_pairs_segmentedILj256ELj4ELj4EaN10test_utils4lessEEvPKT2_PS2_PKjT3_
		.amdhsa_group_segment_fixed_size 1088
		.amdhsa_private_segment_fixed_size 0
		.amdhsa_kernarg_size 28
		.amdhsa_user_sgpr_count 6
		.amdhsa_user_sgpr_private_segment_buffer 1
		.amdhsa_user_sgpr_dispatch_ptr 0
		.amdhsa_user_sgpr_queue_ptr 0
		.amdhsa_user_sgpr_kernarg_segment_ptr 1
		.amdhsa_user_sgpr_dispatch_id 0
		.amdhsa_user_sgpr_flat_scratch_init 0
		.amdhsa_user_sgpr_private_segment_size 0
		.amdhsa_wavefront_size32 1
		.amdhsa_uses_dynamic_stack 0
		.amdhsa_system_sgpr_private_segment_wavefront_offset 0
		.amdhsa_system_sgpr_workgroup_id_x 1
		.amdhsa_system_sgpr_workgroup_id_y 0
		.amdhsa_system_sgpr_workgroup_id_z 0
		.amdhsa_system_sgpr_workgroup_info 0
		.amdhsa_system_vgpr_workitem_id 0
		.amdhsa_next_free_vgpr 26
		.amdhsa_next_free_sgpr 12
		.amdhsa_reserve_vcc 1
		.amdhsa_reserve_flat_scratch 0
		.amdhsa_float_round_mode_32 0
		.amdhsa_float_round_mode_16_64 0
		.amdhsa_float_denorm_mode_32 3
		.amdhsa_float_denorm_mode_16_64 3
		.amdhsa_dx10_clamp 1
		.amdhsa_ieee_mode 1
		.amdhsa_fp16_overflow 0
		.amdhsa_workgroup_processor_mode 1
		.amdhsa_memory_ordered 1
		.amdhsa_forward_progress 1
		.amdhsa_shared_vgpr_count 0
		.amdhsa_exception_fp_ieee_invalid_op 0
		.amdhsa_exception_fp_denorm_src 0
		.amdhsa_exception_fp_ieee_div_zero 0
		.amdhsa_exception_fp_ieee_overflow 0
		.amdhsa_exception_fp_ieee_underflow 0
		.amdhsa_exception_fp_ieee_inexact 0
		.amdhsa_exception_int_div_zero 0
	.end_amdhsa_kernel
	.section	.text._Z20sort_pairs_segmentedILj256ELj4ELj4EaN10test_utils4lessEEvPKT2_PS2_PKjT3_,"axG",@progbits,_Z20sort_pairs_segmentedILj256ELj4ELj4EaN10test_utils4lessEEvPKT2_PS2_PKjT3_,comdat
.Lfunc_end55:
	.size	_Z20sort_pairs_segmentedILj256ELj4ELj4EaN10test_utils4lessEEvPKT2_PS2_PKjT3_, .Lfunc_end55-_Z20sort_pairs_segmentedILj256ELj4ELj4EaN10test_utils4lessEEvPKT2_PS2_PKjT3_
                                        ; -- End function
	.set _Z20sort_pairs_segmentedILj256ELj4ELj4EaN10test_utils4lessEEvPKT2_PS2_PKjT3_.num_vgpr, 26
	.set _Z20sort_pairs_segmentedILj256ELj4ELj4EaN10test_utils4lessEEvPKT2_PS2_PKjT3_.num_agpr, 0
	.set _Z20sort_pairs_segmentedILj256ELj4ELj4EaN10test_utils4lessEEvPKT2_PS2_PKjT3_.numbered_sgpr, 12
	.set _Z20sort_pairs_segmentedILj256ELj4ELj4EaN10test_utils4lessEEvPKT2_PS2_PKjT3_.num_named_barrier, 0
	.set _Z20sort_pairs_segmentedILj256ELj4ELj4EaN10test_utils4lessEEvPKT2_PS2_PKjT3_.private_seg_size, 0
	.set _Z20sort_pairs_segmentedILj256ELj4ELj4EaN10test_utils4lessEEvPKT2_PS2_PKjT3_.uses_vcc, 1
	.set _Z20sort_pairs_segmentedILj256ELj4ELj4EaN10test_utils4lessEEvPKT2_PS2_PKjT3_.uses_flat_scratch, 0
	.set _Z20sort_pairs_segmentedILj256ELj4ELj4EaN10test_utils4lessEEvPKT2_PS2_PKjT3_.has_dyn_sized_stack, 0
	.set _Z20sort_pairs_segmentedILj256ELj4ELj4EaN10test_utils4lessEEvPKT2_PS2_PKjT3_.has_recursion, 0
	.set _Z20sort_pairs_segmentedILj256ELj4ELj4EaN10test_utils4lessEEvPKT2_PS2_PKjT3_.has_indirect_call, 0
	.section	.AMDGPU.csdata,"",@progbits
; Kernel info:
; codeLenInByte = 3112
; TotalNumSgprs: 14
; NumVgprs: 26
; ScratchSize: 0
; MemoryBound: 0
; FloatMode: 240
; IeeeMode: 1
; LDSByteSize: 1088 bytes/workgroup (compile time only)
; SGPRBlocks: 0
; VGPRBlocks: 3
; NumSGPRsForWavesPerEU: 14
; NumVGPRsForWavesPerEU: 26
; Occupancy: 16
; WaveLimiterHint : 0
; COMPUTE_PGM_RSRC2:SCRATCH_EN: 0
; COMPUTE_PGM_RSRC2:USER_SGPR: 6
; COMPUTE_PGM_RSRC2:TRAP_HANDLER: 0
; COMPUTE_PGM_RSRC2:TGID_X_EN: 1
; COMPUTE_PGM_RSRC2:TGID_Y_EN: 0
; COMPUTE_PGM_RSRC2:TGID_Z_EN: 0
; COMPUTE_PGM_RSRC2:TIDIG_COMP_CNT: 0
	.section	.text._Z9sort_keysILj256ELj4ELj8EaN10test_utils4lessEEvPKT2_PS2_T3_,"axG",@progbits,_Z9sort_keysILj256ELj4ELj8EaN10test_utils4lessEEvPKT2_PS2_T3_,comdat
	.protected	_Z9sort_keysILj256ELj4ELj8EaN10test_utils4lessEEvPKT2_PS2_T3_ ; -- Begin function _Z9sort_keysILj256ELj4ELj8EaN10test_utils4lessEEvPKT2_PS2_T3_
	.globl	_Z9sort_keysILj256ELj4ELj8EaN10test_utils4lessEEvPKT2_PS2_T3_
	.p2align	8
	.type	_Z9sort_keysILj256ELj4ELj8EaN10test_utils4lessEEvPKT2_PS2_T3_,@function
_Z9sort_keysILj256ELj4ELj8EaN10test_utils4lessEEvPKT2_PS2_T3_: ; @_Z9sort_keysILj256ELj4ELj8EaN10test_utils4lessEEvPKT2_PS2_T3_
; %bb.0:
	s_load_dwordx4 s[8:11], s[4:5], 0x0
	s_lshl_b32 s7, s6, 11
	v_lshlrev_b32_e32 v1, 3, v0
	v_mov_b32_e32 v14, 0xff
	v_lshrrev_b32_e32 v0, 2, v0
	s_waitcnt lgkmcnt(0)
	s_add_u32 s0, s8, s7
	s_addc_u32 s1, s9, 0
	global_load_dwordx2 v[2:3], v1, s[0:1]
	; wave barrier
	s_waitcnt vmcnt(0)
	v_lshrrev_b32_e32 v4, 8, v2
	v_perm_b32 v5, 0, v2, 0xc0c0001
	v_bfe_i32 v6, v2, 0, 8
	v_lshrrev_b32_e32 v11, 8, v3
	v_bfe_i32 v13, v3, 0, 8
	v_bfe_i32 v4, v4, 0, 8
	v_and_or_b32 v5, 0xffff0000, v2, v5
	v_perm_b32 v15, v3, v3, 0x7060405
	v_bfe_i32 v11, v11, 0, 8
	v_cmp_lt_i16_e32 vcc_lo, v4, v6
	v_min_i16 v16, v11, v13
	v_cndmask_b32_e32 v2, v2, v5, vcc_lo
	v_lshrrev_b32_e32 v5, 16, v2
	v_lshrrev_b32_e32 v7, 24, v2
	v_perm_b32 v8, 0, v5, 0xc0c0001
	v_bfe_i32 v7, v7, 0, 8
	v_bfe_i32 v5, v5, 0, 8
	v_lshlrev_b32_e32 v8, 16, v8
	v_min_i16 v9, v7, v5
	v_cmp_lt_i16_e32 vcc_lo, v7, v5
	v_max_i16 v5, v7, v5
	v_and_or_b32 v8, 0xffff, v2, v8
	v_lshlrev_b16 v10, 8, v9
	v_cndmask_b32_e32 v2, v2, v8, vcc_lo
	v_max_i16 v8, v4, v6
	v_min_i16 v4, v4, v6
	v_max_i16 v6, v11, v13
	v_or_b32_sdwa v10, v2, v10 dst_sel:DWORD dst_unused:UNUSED_PAD src0_sel:BYTE_0 src1_sel:DWORD
	v_perm_b32 v12, v8, v2, 0xc0c0304
	v_cmp_lt_i16_e32 vcc_lo, v9, v8
	v_min_i16 v17, v9, v8
	v_max_i16 v8, v9, v8
	v_and_b32_e32 v10, 0xffff, v10
	v_lshl_or_b32 v10, v12, 16, v10
	v_mov_b32_e32 v12, 0xffffff00
	v_cndmask_b32_e32 v2, v2, v10, vcc_lo
	v_cmp_lt_i16_e32 vcc_lo, v11, v13
	v_lshlrev_b16 v10, 8, v16
	v_and_b32_sdwa v11, v2, v14 dst_sel:DWORD dst_unused:UNUSED_PAD src0_sel:WORD_1 src1_sel:DWORD
	v_cndmask_b32_e32 v3, v3, v15, vcc_lo
	v_lshlrev_b16 v15, 8, v4
	v_cmp_lt_i16_e32 vcc_lo, v16, v5
	v_or_b32_sdwa v10, v11, v10 dst_sel:WORD_1 dst_unused:UNUSED_PAD src0_sel:DWORD src1_sel:DWORD
	v_lshrrev_b32_e32 v13, 24, v3
	v_lshrrev_b32_e32 v18, 16, v3
	v_or_b32_sdwa v15, v17, v15 dst_sel:DWORD dst_unused:UNUSED_PAD src0_sel:BYTE_0 src1_sel:DWORD
	v_perm_b32 v11, v3, v3, 0x6070504
	v_and_or_b32 v7, 0xffff, v2, v10
	v_bfe_i32 v13, v13, 0, 8
	v_bfe_i32 v10, v18, 0, 8
	v_and_b32_e32 v15, 0xffff, v15
	v_lshlrev_b16 v18, 8, v8
	v_cndmask_b32_e32 v2, v2, v7, vcc_lo
	v_min_i16 v7, v16, v5
	v_cmp_lt_i16_e64 s0, v13, v10
	v_cmp_lt_i16_e64 s1, v7, v8
	v_cndmask_b32_e64 v3, v3, v11, s0
	v_and_or_b32 v11, 0xffff0000, v2, v15
	v_cmp_lt_i16_e64 s0, v9, v4
	v_max_i16 v15, v13, v10
	v_min_i16 v10, v13, v10
	v_or_b32_sdwa v13, v7, v18 dst_sel:WORD_1 dst_unused:UNUSED_PAD src0_sel:BYTE_0 src1_sel:DWORD
	v_perm_b32 v9, v5, v3, 0x3020104
	v_cndmask_b32_e64 v2, v2, v11, s0
	v_min_i16 v11, v7, v8
	v_max_i16 v5, v16, v5
	v_cndmask_b32_e64 v21, v17, v4, s0
	v_cndmask_b32_e32 v3, v3, v9, vcc_lo
	v_and_or_b32 v13, 0xffff, v2, v13
	v_lshlrev_b16 v20, 8, v11
	v_lshlrev_b16 v16, 8, v10
	v_min_i16 v19, v10, v6
	v_and_b32_sdwa v24, v3, v12 dst_sel:DWORD dst_unused:UNUSED_PAD src0_sel:WORD_1 src1_sel:DWORD
	v_cndmask_b32_e64 v2, v2, v13, s1
	v_lshlrev_b16 v13, 8, v5
	v_or_b32_sdwa v16, v3, v16 dst_sel:DWORD dst_unused:UNUSED_PAD src0_sel:BYTE_0 src1_sel:DWORD
	v_cmp_lt_i16_e32 vcc_lo, v11, v21
	v_or_b32_sdwa v24, v6, v24 dst_sel:WORD_1 dst_unused:UNUSED_PAD src0_sel:BYTE_0 src1_sel:DWORD
	v_or_b32_sdwa v20, v2, v20 dst_sel:DWORD dst_unused:UNUSED_PAD src0_sel:BYTE_0 src1_sel:DWORD
	v_perm_b32 v9, v21, v2, 0xc0c0304
	v_or_b32_sdwa v13, v19, v13 dst_sel:DWORD dst_unused:UNUSED_PAD src0_sel:BYTE_0 src1_sel:DWORD
	v_min_i16 v22, v19, v5
	v_max_i16 v18, v10, v6
	v_and_b32_e32 v20, 0xffff, v20
	v_cndmask_b32_e64 v4, v4, v17, s0
	v_max_i16 v7, v7, v8
	v_lshlrev_b16 v25, 8, v22
	v_lshlrev_b16 v23, 8, v18
	v_lshl_or_b32 v9, v9, 16, v20
	v_cmp_gt_i16_e64 s0, v6, v15
	v_max_i16 v8, v19, v5
	v_max_i16 v20, v22, v7
	v_or_b32_sdwa v23, v15, v23 dst_sel:WORD_1 dst_unused:UNUSED_PAD src0_sel:BYTE_0 src1_sel:DWORD
	v_cndmask_b32_e32 v2, v2, v9, vcc_lo
	v_and_b32_e32 v9, 0xffff, v13
	v_or_b32_sdwa v13, v16, v24 dst_sel:DWORD dst_unused:UNUSED_PAD src0_sel:WORD_0 src1_sel:DWORD
	v_cmp_lt_i16_e32 vcc_lo, v10, v6
	v_min_i16 v16, v11, v21
	v_and_b32_sdwa v17, v2, v14 dst_sel:DWORD dst_unused:UNUSED_PAD src0_sel:WORD_1 src1_sel:DWORD
	v_lshlrev_b16 v24, 8, v4
	v_max_i16 v11, v11, v21
	v_cndmask_b32_e32 v3, v3, v13, vcc_lo
	v_cmp_lt_i16_e32 vcc_lo, v19, v5
	v_or_b32_sdwa v13, v17, v25 dst_sel:WORD_1 dst_unused:UNUSED_PAD src0_sel:DWORD src1_sel:DWORD
	v_or_b32_sdwa v17, v16, v24 dst_sel:DWORD dst_unused:UNUSED_PAD src0_sel:BYTE_0 src1_sel:DWORD
	v_min_i16 v10, v22, v7
	v_and_or_b32 v9, 0xffff0000, v3, v9
	v_lshlrev_b16 v5, 8, v11
	v_and_or_b32 v13, 0xffff, v2, v13
	v_and_b32_e32 v17, 0xffff, v17
	v_cmp_lt_i16_e64 s1, v16, v4
	v_cndmask_b32_e32 v3, v3, v9, vcc_lo
	v_cmp_lt_i16_e32 vcc_lo, v22, v7
	v_or_b32_sdwa v5, v10, v5 dst_sel:WORD_1 dst_unused:UNUSED_PAD src0_sel:BYTE_0 src1_sel:DWORD
	v_min_i16 v19, v10, v11
	v_lshlrev_b16 v24, 8, v20
	v_max_i16 v9, v16, v4
	v_cndmask_b32_e32 v2, v2, v13, vcc_lo
	v_and_or_b32 v13, 0xffff, v3, v23
	v_lshlrev_b16 v6, 8, v19
	v_min_i16 v4, v16, v4
	v_min_i16 v16, v19, v9
	v_and_or_b32 v17, 0xffff0000, v2, v17
	v_cndmask_b32_e64 v3, v3, v13, s0
	v_max_i16 v13, v19, v9
	v_cndmask_b32_e64 v2, v2, v17, s1
	v_perm_b32 v7, v7, v3, 0x3020104
	v_cndmask_b32_e64 v17, v18, v15, s0
	v_cndmask_b32_e64 v15, v15, v18, s0
	s_mov_b32 s1, exec_lo
	v_and_or_b32 v5, 0xffff, v2, v5
	v_cndmask_b32_e32 v3, v3, v7, vcc_lo
	v_cmp_lt_i16_e32 vcc_lo, v10, v11
	v_lshlrev_b16 v7, 8, v17
	v_min_i16 v18, v17, v8
	v_and_b32_sdwa v21, v3, v12 dst_sel:DWORD dst_unused:UNUSED_PAD src0_sel:WORD_1 src1_sel:DWORD
	v_cndmask_b32_e32 v2, v2, v5, vcc_lo
	v_or_b32_sdwa v7, v3, v7 dst_sel:DWORD dst_unused:UNUSED_PAD src0_sel:BYTE_0 src1_sel:DWORD
	v_or_b32_sdwa v23, v18, v24 dst_sel:DWORD dst_unused:UNUSED_PAD src0_sel:BYTE_0 src1_sel:DWORD
	v_cmp_lt_i16_e32 vcc_lo, v17, v8
	v_or_b32_sdwa v21, v8, v21 dst_sel:WORD_1 dst_unused:UNUSED_PAD src0_sel:BYTE_0 src1_sel:DWORD
	v_or_b32_sdwa v6, v2, v6 dst_sel:DWORD dst_unused:UNUSED_PAD src0_sel:BYTE_0 src1_sel:DWORD
	v_perm_b32 v22, v9, v2, 0xc0c0304
	v_max_i16 v24, v17, v8
	v_lshlrev_b16 v5, 8, v4
	v_or_b32_sdwa v7, v7, v21 dst_sel:DWORD dst_unused:UNUSED_PAD src0_sel:WORD_0 src1_sel:DWORD
	v_and_b32_e32 v6, 0xffff, v6
	v_min_i16 v21, v18, v20
	v_or_b32_sdwa v5, v16, v5 dst_sel:DWORD dst_unused:UNUSED_PAD src0_sel:BYTE_0 src1_sel:DWORD
	v_cndmask_b32_e32 v3, v3, v7, vcc_lo
	v_lshl_or_b32 v6, v22, 16, v6
	v_and_b32_e32 v22, 0xffff, v23
	v_cmp_lt_i16_e32 vcc_lo, v19, v9
	v_lshlrev_b16 v8, 8, v21
	v_and_b32_e32 v5, 0xffff, v5
	v_and_or_b32 v7, 0xffff0000, v3, v22
	v_cndmask_b32_e32 v2, v2, v6, vcc_lo
	v_lshlrev_b16 v6, 8, v24
	v_cmp_lt_i16_e32 vcc_lo, v18, v20
	v_and_b32_sdwa v9, v2, v14 dst_sel:DWORD dst_unused:UNUSED_PAD src0_sel:WORD_1 src1_sel:DWORD
	v_or_b32_sdwa v6, v15, v6 dst_sel:WORD_1 dst_unused:UNUSED_PAD src0_sel:BYTE_0 src1_sel:DWORD
	v_cndmask_b32_e32 v3, v3, v7, vcc_lo
	v_max_i16 v7, v10, v11
	v_cmp_lt_i16_e32 vcc_lo, v15, v24
	v_or_b32_sdwa v8, v9, v8 dst_sel:WORD_1 dst_unused:UNUSED_PAD src0_sel:DWORD src1_sel:DWORD
	v_max_i16 v11, v15, v24
	v_and_or_b32 v6, 0xffff, v3, v6
	v_lshlrev_b16 v9, 8, v13
	v_max_i16 v10, v18, v20
	v_and_or_b32 v8, 0xffff, v2, v8
	v_max_i16 v17, v21, v7
	v_cndmask_b32_e32 v3, v3, v6, vcc_lo
	v_cmp_lt_i16_e32 vcc_lo, v21, v7
	v_min_i16 v6, v15, v24
	v_perm_b32 v15, v7, v3, 0x3020104
	v_cndmask_b32_e32 v2, v2, v8, vcc_lo
	v_min_i16 v8, v21, v7
	v_lshlrev_b16 v7, 8, v6
	v_cndmask_b32_e32 v3, v3, v15, vcc_lo
	v_and_or_b32 v5, 0xffff0000, v2, v5
	v_cmp_lt_i16_e32 vcc_lo, v19, v4
	v_or_b32_sdwa v9, v8, v9 dst_sel:WORD_1 dst_unused:UNUSED_PAD src0_sel:BYTE_0 src1_sel:DWORD
	v_min_i16 v15, v6, v10
	v_and_b32_sdwa v18, v3, v12 dst_sel:DWORD dst_unused:UNUSED_PAD src0_sel:WORD_1 src1_sel:DWORD
	v_lshlrev_b16 v19, 8, v17
	v_cndmask_b32_e32 v2, v2, v5, vcc_lo
	v_min_i16 v5, v8, v13
	v_or_b32_sdwa v7, v3, v7 dst_sel:DWORD dst_unused:UNUSED_PAD src0_sel:BYTE_0 src1_sel:DWORD
	v_or_b32_sdwa v18, v10, v18 dst_sel:WORD_1 dst_unused:UNUSED_PAD src0_sel:BYTE_0 src1_sel:DWORD
	v_cmp_lt_i16_e64 s0, v8, v13
	v_and_or_b32 v9, 0xffff, v2, v9
	v_lshlrev_b16 v20, 8, v5
	v_cndmask_b32_e32 v4, v16, v4, vcc_lo
	v_or_b32_sdwa v7, v7, v18 dst_sel:DWORD dst_unused:UNUSED_PAD src0_sel:WORD_0 src1_sel:DWORD
	v_cmp_lt_i16_e32 vcc_lo, v6, v10
	v_cndmask_b32_e64 v2, v2, v9, s0
	v_or_b32_sdwa v9, v15, v19 dst_sel:DWORD dst_unused:UNUSED_PAD src0_sel:BYTE_0 src1_sel:DWORD
	v_max_i16 v19, v6, v10
	v_min_i16 v18, v15, v17
	v_cndmask_b32_e32 v3, v3, v7, vcc_lo
	v_or_b32_sdwa v16, v2, v20 dst_sel:DWORD dst_unused:UNUSED_PAD src0_sel:BYTE_0 src1_sel:DWORD
	v_and_b32_e32 v9, 0xffff, v9
	v_perm_b32 v6, v4, v2, 0xc0c0304
	v_cmp_lt_i16_e32 vcc_lo, v15, v17
	v_and_b32_e32 v7, 0xffff, v16
	v_lshlrev_b16 v16, 8, v19
	v_and_or_b32 v9, 0xffff0000, v3, v9
	v_lshl_or_b32 v6, v6, 16, v7
	v_or_b32_sdwa v7, v11, v16 dst_sel:WORD_1 dst_unused:UNUSED_PAD src0_sel:BYTE_0 src1_sel:DWORD
	v_cndmask_b32_e32 v3, v3, v9, vcc_lo
	v_cmp_lt_i16_e32 vcc_lo, v5, v4
	v_lshlrev_b16 v4, 8, v18
	v_mov_b32_e32 v9, 0
	v_and_or_b32 v5, 0xffff, v3, v7
	v_cndmask_b32_e32 v2, v2, v6, vcc_lo
	v_cmp_gt_i16_e32 vcc_lo, v10, v11
	v_max_i16 v7, v8, v13
	v_and_b32_sdwa v6, v2, v14 dst_sel:DWORD dst_unused:UNUSED_PAD src0_sel:WORD_1 src1_sel:DWORD
	v_cndmask_b32_e32 v3, v3, v5, vcc_lo
	v_mbcnt_lo_u32_b32 v5, -1, 0
	v_cmp_lt_i16_e64 s0, v18, v7
	v_cndmask_b32_e32 v11, v19, v11, vcc_lo
	v_or_b32_sdwa v4, v6, v4 dst_sel:WORD_1 dst_unused:UNUSED_PAD src0_sel:DWORD src1_sel:DWORD
	v_perm_b32 v6, v7, v3, 0x3020104
	v_lshlrev_b32_e32 v5, 3, v5
	v_max_i16 v14, v15, v17
	v_and_or_b32 v4, 0xffff, v2, v4
	v_cndmask_b32_e64 v13, v3, v6, s0
	v_and_b32_e32 v7, 16, v5
	v_cmp_lt_i16_e32 vcc_lo, v11, v14
	v_mov_b32_e32 v6, 0
	v_cndmask_b32_e64 v10, v2, v4, s0
	v_lshlrev_b16 v2, 8, v11
	v_and_b32_sdwa v3, v13, v12 dst_sel:DWORD dst_unused:UNUSED_PAD src0_sel:WORD_1 src1_sel:DWORD
	v_or_b32_e32 v4, 8, v7
	s_mov_b32 s0, 0
	v_or_b32_sdwa v8, v13, v2 dst_sel:DWORD dst_unused:UNUSED_PAD src0_sel:BYTE_0 src1_sel:DWORD
	v_or_b32_sdwa v3, v14, v3 dst_sel:WORD_1 dst_unused:UNUSED_PAD src0_sel:BYTE_0 src1_sel:DWORD
	v_and_b32_e32 v2, 24, v5
	v_and_b32_e32 v5, 8, v5
	v_sub_nc_u32_e32 v12, v4, v7
	v_or_b32_sdwa v15, v8, v3 dst_sel:DWORD dst_unused:UNUSED_PAD src0_sel:WORD_0 src1_sel:DWORD
	v_mad_u32_u24 v3, v0, 33, v2
	v_mul_u32_u24_e32 v0, 33, v0
	v_min_i32_e32 v8, v5, v12
	v_cndmask_b32_e32 v11, v13, v15, vcc_lo
	ds_write_b64 v3, v[10:11]
	; wave barrier
	v_cmpx_lt_i32_e32 0, v8
	s_cbranch_execz .LBB56_4
; %bb.1:
	v_add_nc_u32_e32 v9, v0, v7
	v_add_nc_u32_e32 v10, v9, v5
	.p2align	6
.LBB56_2:                               ; =>This Inner Loop Header: Depth=1
	v_sub_nc_u32_e32 v11, v8, v6
	v_lshrrev_b32_e32 v11, 1, v11
	v_add_nc_u32_e32 v11, v11, v6
	v_add_nc_u32_e32 v12, v9, v11
	v_xad_u32 v13, v11, -1, v10
	v_add_nc_u32_e32 v14, 1, v11
	ds_read_i8 v12, v12
	ds_read_i8 v13, v13 offset:8
	s_waitcnt lgkmcnt(0)
	v_cmp_lt_i16_e32 vcc_lo, v13, v12
	v_cndmask_b32_e32 v8, v8, v11, vcc_lo
	v_cndmask_b32_e32 v6, v14, v6, vcc_lo
	v_cmp_ge_i32_e32 vcc_lo, v6, v8
	s_or_b32 s0, vcc_lo, s0
	s_andn2_b32 exec_lo, exec_lo, s0
	s_cbranch_execnz .LBB56_2
; %bb.3:
	s_or_b32 exec_lo, exec_lo, s0
	v_mov_b32_e32 v9, v6
.LBB56_4:
	s_or_b32 exec_lo, exec_lo, s1
	v_add_nc_u32_e32 v6, v7, v5
	v_add_nc_u32_e32 v10, v9, v7
	v_add_nc_u32_e32 v11, v4, v5
	v_add_nc_u32_e32 v7, 16, v7
	v_cmp_lt_i32_e32 vcc_lo, 7, v9
	v_sub_nc_u32_e32 v6, v6, v9
	v_add_nc_u32_e32 v13, v0, v10
	v_sub_nc_u32_e32 v11, v11, v9
	v_add_nc_u32_e32 v12, v0, v6
	ds_read_u8 v6, v13
	ds_read_u8 v8, v12 offset:8
	v_cmp_gt_i32_e64 s1, v7, v11
	s_waitcnt lgkmcnt(1)
	v_bfe_i32 v5, v6, 0, 8
	s_waitcnt lgkmcnt(0)
	v_bfe_i32 v6, v8, 0, 8
                                        ; implicit-def: $vgpr8
	v_cmp_lt_i16_e64 s0, v6, v5
	s_or_b32 s0, vcc_lo, s0
	s_and_b32 s0, s1, s0
	s_xor_b32 s1, s0, -1
	s_and_saveexec_b32 s2, s1
	s_xor_b32 s1, exec_lo, s2
; %bb.5:
	ds_read_u8 v8, v13 offset:1
                                        ; implicit-def: $vgpr12
; %bb.6:
	s_or_saveexec_b32 s1, s1
	v_mov_b32_e32 v9, v6
	s_xor_b32 exec_lo, exec_lo, s1
	s_cbranch_execz .LBB56_8
; %bb.7:
	ds_read_u8 v9, v12 offset:9
	s_waitcnt lgkmcnt(1)
	v_mov_b32_e32 v8, v5
.LBB56_8:
	s_or_b32 exec_lo, exec_lo, s1
	v_add_nc_u32_e32 v12, 1, v10
	v_add_nc_u32_e32 v14, 1, v11
	s_waitcnt lgkmcnt(0)
	v_cmp_lt_i16_sdwa s2, sext(v9), sext(v8) src0_sel:BYTE_0 src1_sel:BYTE_0
	v_cndmask_b32_e64 v13, v12, v10, s0
	v_cndmask_b32_e64 v12, v11, v14, s0
                                        ; implicit-def: $vgpr10
	v_cmp_ge_i32_e32 vcc_lo, v13, v4
	v_cmp_lt_i32_e64 s1, v12, v7
	s_or_b32 s2, vcc_lo, s2
	s_and_b32 s1, s1, s2
	s_xor_b32 s2, s1, -1
	s_and_saveexec_b32 s3, s2
	s_xor_b32 s2, exec_lo, s3
; %bb.9:
	v_add_nc_u32_e32 v10, v0, v13
	ds_read_u8 v10, v10 offset:1
; %bb.10:
	s_or_saveexec_b32 s2, s2
	v_mov_b32_e32 v11, v9
	s_xor_b32 exec_lo, exec_lo, s2
	s_cbranch_execz .LBB56_12
; %bb.11:
	s_waitcnt lgkmcnt(0)
	v_add_nc_u32_e32 v10, v0, v12
	ds_read_u8 v11, v10 offset:1
	v_mov_b32_e32 v10, v8
.LBB56_12:
	s_or_b32 exec_lo, exec_lo, s2
	v_add_nc_u32_e32 v14, 1, v13
	v_add_nc_u32_e32 v16, 1, v12
	s_waitcnt lgkmcnt(0)
	v_cmp_lt_i16_sdwa s3, sext(v11), sext(v10) src0_sel:BYTE_0 src1_sel:BYTE_0
	v_cndmask_b32_e64 v15, v14, v13, s1
	v_cndmask_b32_e64 v14, v12, v16, s1
                                        ; implicit-def: $vgpr12
	v_cmp_ge_i32_e32 vcc_lo, v15, v4
	v_cmp_lt_i32_e64 s2, v14, v7
	s_or_b32 s3, vcc_lo, s3
	s_and_b32 s2, s2, s3
	s_xor_b32 s3, s2, -1
	s_and_saveexec_b32 s4, s3
	s_xor_b32 s3, exec_lo, s4
; %bb.13:
	v_add_nc_u32_e32 v12, v0, v15
	ds_read_u8 v12, v12 offset:1
; %bb.14:
	s_or_saveexec_b32 s3, s3
	v_mov_b32_e32 v13, v11
	s_xor_b32 exec_lo, exec_lo, s3
	s_cbranch_execz .LBB56_16
; %bb.15:
	s_waitcnt lgkmcnt(0)
	v_add_nc_u32_e32 v12, v0, v14
	ds_read_u8 v13, v12 offset:1
	v_mov_b32_e32 v12, v10
.LBB56_16:
	s_or_b32 exec_lo, exec_lo, s3
	v_add_nc_u32_e32 v16, 1, v15
	v_add_nc_u32_e32 v18, 1, v14
	s_waitcnt lgkmcnt(0)
	v_cmp_lt_i16_sdwa s4, sext(v13), sext(v12) src0_sel:BYTE_0 src1_sel:BYTE_0
	v_cndmask_b32_e64 v17, v16, v15, s2
	v_cndmask_b32_e64 v16, v14, v18, s2
                                        ; implicit-def: $vgpr14
	v_cmp_ge_i32_e32 vcc_lo, v17, v4
	v_cmp_lt_i32_e64 s3, v16, v7
	s_or_b32 s4, vcc_lo, s4
	s_and_b32 s3, s3, s4
	s_xor_b32 s4, s3, -1
	s_and_saveexec_b32 s5, s4
	s_xor_b32 s4, exec_lo, s5
; %bb.17:
	v_add_nc_u32_e32 v14, v0, v17
	ds_read_u8 v14, v14 offset:1
; %bb.18:
	s_or_saveexec_b32 s4, s4
	v_mov_b32_e32 v15, v13
	s_xor_b32 exec_lo, exec_lo, s4
	s_cbranch_execz .LBB56_20
; %bb.19:
	s_waitcnt lgkmcnt(0)
	v_add_nc_u32_e32 v14, v0, v16
	ds_read_u8 v15, v14 offset:1
	v_mov_b32_e32 v14, v12
.LBB56_20:
	s_or_b32 exec_lo, exec_lo, s4
	v_add_nc_u32_e32 v18, 1, v17
	v_add_nc_u32_e32 v20, 1, v16
	s_waitcnt lgkmcnt(0)
	v_cmp_lt_i16_sdwa s5, sext(v15), sext(v14) src0_sel:BYTE_0 src1_sel:BYTE_0
	v_cndmask_b32_e64 v19, v18, v17, s3
	v_cndmask_b32_e64 v18, v16, v20, s3
                                        ; implicit-def: $vgpr16
	v_cmp_ge_i32_e32 vcc_lo, v19, v4
	v_cmp_lt_i32_e64 s4, v18, v7
	s_or_b32 s5, vcc_lo, s5
	s_and_b32 s4, s4, s5
	s_xor_b32 s5, s4, -1
	s_and_saveexec_b32 s6, s5
	s_xor_b32 s5, exec_lo, s6
; %bb.21:
	v_add_nc_u32_e32 v16, v0, v19
	ds_read_u8 v16, v16 offset:1
; %bb.22:
	s_or_saveexec_b32 s5, s5
	v_mov_b32_e32 v17, v15
	s_xor_b32 exec_lo, exec_lo, s5
	s_cbranch_execz .LBB56_24
; %bb.23:
	s_waitcnt lgkmcnt(0)
	v_add_nc_u32_e32 v16, v0, v18
	ds_read_u8 v17, v16 offset:1
	v_mov_b32_e32 v16, v14
.LBB56_24:
	s_or_b32 exec_lo, exec_lo, s5
	v_add_nc_u32_e32 v20, 1, v19
	v_add_nc_u32_e32 v22, 1, v18
	s_waitcnt lgkmcnt(0)
	v_cmp_lt_i16_sdwa s6, sext(v17), sext(v16) src0_sel:BYTE_0 src1_sel:BYTE_0
	v_cndmask_b32_e64 v21, v20, v19, s4
	v_cndmask_b32_e64 v20, v18, v22, s4
                                        ; implicit-def: $vgpr18
	v_cmp_ge_i32_e32 vcc_lo, v21, v4
	v_cmp_lt_i32_e64 s5, v20, v7
	s_or_b32 s6, vcc_lo, s6
	s_and_b32 vcc_lo, s5, s6
	s_xor_b32 s5, vcc_lo, -1
	s_and_saveexec_b32 s6, s5
	s_xor_b32 s5, exec_lo, s6
; %bb.25:
	v_add_nc_u32_e32 v18, v0, v21
	ds_read_u8 v18, v18 offset:1
; %bb.26:
	s_or_saveexec_b32 s5, s5
	v_mov_b32_e32 v19, v17
	s_xor_b32 exec_lo, exec_lo, s5
	s_cbranch_execz .LBB56_28
; %bb.27:
	s_waitcnt lgkmcnt(0)
	v_add_nc_u32_e32 v18, v0, v20
	ds_read_u8 v19, v18 offset:1
	v_mov_b32_e32 v18, v16
.LBB56_28:
	s_or_b32 exec_lo, exec_lo, s5
	v_add_nc_u32_e32 v22, 1, v21
	v_add_nc_u32_e32 v23, 1, v20
	s_waitcnt lgkmcnt(0)
	v_cmp_lt_i16_sdwa s8, sext(v19), sext(v18) src0_sel:BYTE_0 src1_sel:BYTE_0
	v_cndmask_b32_e32 v22, v22, v21, vcc_lo
	v_cndmask_b32_e32 v21, v20, v23, vcc_lo
                                        ; implicit-def: $vgpr20
	v_cmp_ge_i32_e64 s5, v22, v4
	v_cmp_lt_i32_e64 s6, v21, v7
	s_or_b32 s5, s5, s8
	s_and_b32 s5, s6, s5
	s_xor_b32 s6, s5, -1
	s_and_saveexec_b32 s8, s6
	s_xor_b32 s6, exec_lo, s8
; %bb.29:
	v_add_nc_u32_e32 v20, v0, v22
	ds_read_u8 v20, v20 offset:1
; %bb.30:
	s_or_saveexec_b32 s6, s6
	v_mov_b32_e32 v23, v19
	s_xor_b32 exec_lo, exec_lo, s6
	s_cbranch_execz .LBB56_32
; %bb.31:
	s_waitcnt lgkmcnt(0)
	v_add_nc_u32_e32 v20, v0, v21
	ds_read_u8 v23, v20 offset:1
	v_mov_b32_e32 v20, v18
.LBB56_32:
	s_or_b32 exec_lo, exec_lo, s6
	v_add_nc_u32_e32 v24, 1, v22
	v_add_nc_u32_e32 v25, 1, v21
	v_cndmask_b32_e64 v18, v18, v19, s5
	v_cndmask_b32_e64 v14, v14, v15, s4
	;; [unrolled: 1-line block ×5, first 2 shown]
	s_waitcnt lgkmcnt(0)
	v_cmp_lt_i16_sdwa s5, sext(v23), sext(v20) src0_sel:BYTE_0 src1_sel:BYTE_0
	v_cndmask_b32_sdwa v6, v16, v17, vcc_lo dst_sel:BYTE_1 dst_unused:UNUSED_PAD src0_sel:DWORD src1_sel:DWORD
	v_cmp_ge_i32_e64 s4, v22, v4
	v_cndmask_b32_e64 v4, v10, v11, s2
	v_cmp_lt_i32_e64 s2, v19, v7
	v_cndmask_b32_e64 v7, v8, v9, s1
	v_or_b32_sdwa v10, v14, v6 dst_sel:DWORD dst_unused:UNUSED_PAD src0_sel:BYTE_0 src1_sel:DWORD
	s_or_b32 s0, s4, s5
	v_sub_nc_u32_e64 v6, v2, 16 clamp
	s_and_b32 vcc_lo, s2, s0
	v_lshlrev_b16 v7, 8, v7
	v_cndmask_b32_e32 v8, v20, v23, vcc_lo
	s_mov_b32 vcc_lo, s3
	s_mov_b32 s0, exec_lo
	v_cndmask_b32_sdwa v9, v12, v13, vcc_lo dst_sel:BYTE_1 dst_unused:UNUSED_PAD src0_sel:DWORD src1_sel:DWORD
	v_or_b32_sdwa v5, v5, v7 dst_sel:DWORD dst_unused:UNUSED_PAD src0_sel:BYTE_0 src1_sel:DWORD
	v_lshlrev_b16 v8, 8, v8
	; wave barrier
	v_or_b32_sdwa v9, v4, v9 dst_sel:WORD_1 dst_unused:UNUSED_PAD src0_sel:BYTE_0 src1_sel:DWORD
	v_min_u32_e32 v4, 16, v2
	v_or_b32_sdwa v8, v18, v8 dst_sel:WORD_1 dst_unused:UNUSED_PAD src0_sel:BYTE_0 src1_sel:DWORD
	v_or_b32_sdwa v7, v5, v9 dst_sel:DWORD dst_unused:UNUSED_PAD src0_sel:WORD_0 src1_sel:DWORD
	v_or_b32_sdwa v8, v10, v8 dst_sel:DWORD dst_unused:UNUSED_PAD src0_sel:WORD_0 src1_sel:DWORD
	ds_write_b64 v3, v[7:8]
	; wave barrier
	v_cmpx_lt_u32_e64 v6, v4
	s_cbranch_execz .LBB56_36
; %bb.33:
	s_mov_b32 s1, 0
	.p2align	6
.LBB56_34:                              ; =>This Inner Loop Header: Depth=1
	v_sub_nc_u32_e32 v5, v4, v6
	v_lshrrev_b32_e32 v5, 1, v5
	v_add_nc_u32_e32 v5, v5, v6
	v_add_nc_u32_e32 v7, v0, v5
	v_xad_u32 v8, v5, -1, v3
	v_add_nc_u32_e32 v9, 1, v5
	ds_read_i8 v7, v7
	ds_read_i8 v8, v8 offset:16
	s_waitcnt lgkmcnt(0)
	v_cmp_lt_i16_e32 vcc_lo, v8, v7
	v_cndmask_b32_e32 v4, v4, v5, vcc_lo
	v_cndmask_b32_e32 v6, v9, v6, vcc_lo
	v_cmp_ge_i32_e32 vcc_lo, v6, v4
	s_or_b32 s1, vcc_lo, s1
	s_andn2_b32 exec_lo, exec_lo, s1
	s_cbranch_execnz .LBB56_34
; %bb.35:
	s_or_b32 exec_lo, exec_lo, s1
.LBB56_36:
	s_or_b32 exec_lo, exec_lo, s0
	v_sub_nc_u32_e32 v4, v2, v6
	v_add_nc_u32_e32 v5, v0, v6
	v_cmp_lt_i32_e32 vcc_lo, 15, v6
	v_add_nc_u32_e32 v8, v0, v4
	v_add_nc_u32_e32 v7, 16, v4
                                        ; implicit-def: $vgpr4
	ds_read_u8 v2, v5
	ds_read_u8 v3, v8 offset:16
	v_cmp_gt_i32_e64 s1, 32, v7
	s_waitcnt lgkmcnt(1)
	v_bfe_i32 v2, v2, 0, 8
	s_waitcnt lgkmcnt(0)
	v_bfe_i32 v3, v3, 0, 8
	v_cmp_lt_i16_e64 s0, v3, v2
	s_or_b32 s0, vcc_lo, s0
	s_and_b32 s0, s1, s0
	s_xor_b32 s1, s0, -1
	s_and_saveexec_b32 s2, s1
	s_xor_b32 s1, exec_lo, s2
; %bb.37:
	ds_read_u8 v4, v5 offset:1
                                        ; implicit-def: $vgpr8
; %bb.38:
	s_or_saveexec_b32 s1, s1
	v_mov_b32_e32 v5, v3
	s_xor_b32 exec_lo, exec_lo, s1
	s_cbranch_execz .LBB56_40
; %bb.39:
	ds_read_u8 v5, v8 offset:17
	s_waitcnt lgkmcnt(1)
	v_mov_b32_e32 v4, v2
.LBB56_40:
	s_or_b32 exec_lo, exec_lo, s1
	v_add_nc_u32_e32 v8, 1, v6
	v_add_nc_u32_e32 v10, 1, v7
	s_waitcnt lgkmcnt(0)
	v_cmp_lt_i16_sdwa s2, sext(v5), sext(v4) src0_sel:BYTE_0 src1_sel:BYTE_0
	v_cndmask_b32_e64 v9, v8, v6, s0
	v_cndmask_b32_e64 v8, v7, v10, s0
                                        ; implicit-def: $vgpr6
	v_cmp_lt_i32_e32 vcc_lo, 15, v9
	v_cmp_gt_i32_e64 s1, 32, v8
	s_or_b32 s2, vcc_lo, s2
	s_and_b32 s1, s1, s2
	s_xor_b32 s2, s1, -1
	s_and_saveexec_b32 s3, s2
	s_xor_b32 s2, exec_lo, s3
; %bb.41:
	v_add_nc_u32_e32 v6, v0, v9
	ds_read_u8 v6, v6 offset:1
; %bb.42:
	s_or_saveexec_b32 s2, s2
	v_mov_b32_e32 v7, v5
	s_xor_b32 exec_lo, exec_lo, s2
	s_cbranch_execz .LBB56_44
; %bb.43:
	s_waitcnt lgkmcnt(0)
	v_add_nc_u32_e32 v6, v0, v8
	ds_read_u8 v7, v6 offset:1
	v_mov_b32_e32 v6, v4
.LBB56_44:
	s_or_b32 exec_lo, exec_lo, s2
	v_add_nc_u32_e32 v10, 1, v9
	v_add_nc_u32_e32 v12, 1, v8
	s_waitcnt lgkmcnt(0)
	v_cmp_lt_i16_sdwa s3, sext(v7), sext(v6) src0_sel:BYTE_0 src1_sel:BYTE_0
	v_cndmask_b32_e64 v11, v10, v9, s1
	v_cndmask_b32_e64 v10, v8, v12, s1
                                        ; implicit-def: $vgpr8
	v_cmp_lt_i32_e32 vcc_lo, 15, v11
	v_cmp_gt_i32_e64 s2, 32, v10
	s_or_b32 s3, vcc_lo, s3
	s_and_b32 s2, s2, s3
	s_xor_b32 s3, s2, -1
	s_and_saveexec_b32 s4, s3
	s_xor_b32 s3, exec_lo, s4
; %bb.45:
	v_add_nc_u32_e32 v8, v0, v11
	ds_read_u8 v8, v8 offset:1
; %bb.46:
	s_or_saveexec_b32 s3, s3
	v_mov_b32_e32 v9, v7
	s_xor_b32 exec_lo, exec_lo, s3
	s_cbranch_execz .LBB56_48
; %bb.47:
	s_waitcnt lgkmcnt(0)
	v_add_nc_u32_e32 v8, v0, v10
	ds_read_u8 v9, v8 offset:1
	v_mov_b32_e32 v8, v6
.LBB56_48:
	s_or_b32 exec_lo, exec_lo, s3
	v_add_nc_u32_e32 v12, 1, v11
	v_add_nc_u32_e32 v14, 1, v10
	s_waitcnt lgkmcnt(0)
	v_cmp_lt_i16_sdwa s4, sext(v9), sext(v8) src0_sel:BYTE_0 src1_sel:BYTE_0
	v_cndmask_b32_e64 v13, v12, v11, s2
	v_cndmask_b32_e64 v12, v10, v14, s2
                                        ; implicit-def: $vgpr10
	v_cmp_lt_i32_e32 vcc_lo, 15, v13
	v_cmp_gt_i32_e64 s3, 32, v12
	s_or_b32 s4, vcc_lo, s4
	s_and_b32 s3, s3, s4
	s_xor_b32 s4, s3, -1
	s_and_saveexec_b32 s5, s4
	s_xor_b32 s4, exec_lo, s5
; %bb.49:
	v_add_nc_u32_e32 v10, v0, v13
	ds_read_u8 v10, v10 offset:1
; %bb.50:
	s_or_saveexec_b32 s4, s4
	v_mov_b32_e32 v11, v9
	s_xor_b32 exec_lo, exec_lo, s4
	s_cbranch_execz .LBB56_52
; %bb.51:
	s_waitcnt lgkmcnt(0)
	v_add_nc_u32_e32 v10, v0, v12
	ds_read_u8 v11, v10 offset:1
	v_mov_b32_e32 v10, v8
.LBB56_52:
	s_or_b32 exec_lo, exec_lo, s4
	v_add_nc_u32_e32 v14, 1, v13
	v_add_nc_u32_e32 v16, 1, v12
	s_waitcnt lgkmcnt(0)
	v_cmp_lt_i16_sdwa s5, sext(v11), sext(v10) src0_sel:BYTE_0 src1_sel:BYTE_0
	v_cndmask_b32_e64 v15, v14, v13, s3
	v_cndmask_b32_e64 v14, v12, v16, s3
                                        ; implicit-def: $vgpr12
	v_cmp_lt_i32_e32 vcc_lo, 15, v15
	v_cmp_gt_i32_e64 s4, 32, v14
	s_or_b32 s5, vcc_lo, s5
	s_and_b32 s4, s4, s5
	s_xor_b32 s5, s4, -1
	s_and_saveexec_b32 s6, s5
	s_xor_b32 s5, exec_lo, s6
; %bb.53:
	v_add_nc_u32_e32 v12, v0, v15
	ds_read_u8 v12, v12 offset:1
; %bb.54:
	s_or_saveexec_b32 s5, s5
	v_mov_b32_e32 v13, v11
	s_xor_b32 exec_lo, exec_lo, s5
	s_cbranch_execz .LBB56_56
; %bb.55:
	s_waitcnt lgkmcnt(0)
	v_add_nc_u32_e32 v12, v0, v14
	ds_read_u8 v13, v12 offset:1
	v_mov_b32_e32 v12, v10
.LBB56_56:
	s_or_b32 exec_lo, exec_lo, s5
	v_add_nc_u32_e32 v16, 1, v15
	v_add_nc_u32_e32 v18, 1, v14
	s_waitcnt lgkmcnt(0)
	v_cmp_lt_i16_sdwa s6, sext(v13), sext(v12) src0_sel:BYTE_0 src1_sel:BYTE_0
	v_cndmask_b32_e64 v17, v16, v15, s4
	v_cndmask_b32_e64 v16, v14, v18, s4
                                        ; implicit-def: $vgpr15
	v_cmp_lt_i32_e32 vcc_lo, 15, v17
	v_cmp_gt_i32_e64 s5, 32, v16
	s_or_b32 s6, vcc_lo, s6
	s_and_b32 vcc_lo, s5, s6
	s_xor_b32 s5, vcc_lo, -1
	s_and_saveexec_b32 s6, s5
	s_xor_b32 s5, exec_lo, s6
; %bb.57:
	v_add_nc_u32_e32 v14, v0, v17
	ds_read_u8 v15, v14 offset:1
; %bb.58:
	s_or_saveexec_b32 s5, s5
	v_mov_b32_e32 v14, v13
	s_xor_b32 exec_lo, exec_lo, s5
	s_cbranch_execz .LBB56_60
; %bb.59:
	v_add_nc_u32_e32 v14, v0, v16
	s_waitcnt lgkmcnt(0)
	v_mov_b32_e32 v15, v12
	ds_read_u8 v14, v14 offset:1
.LBB56_60:
	s_or_b32 exec_lo, exec_lo, s5
	v_add_nc_u32_e32 v18, 1, v17
	v_add_nc_u32_e32 v19, 1, v16
	s_waitcnt lgkmcnt(0)
	v_cmp_ge_i16_sdwa s8, sext(v14), sext(v15) src0_sel:BYTE_0 src1_sel:BYTE_0
	v_cndmask_b32_e32 v20, v18, v17, vcc_lo
	v_cndmask_b32_e32 v16, v16, v19, vcc_lo
                                        ; implicit-def: $vgpr18
                                        ; implicit-def: $vgpr19
	v_cmp_gt_i32_e64 s5, 16, v20
	v_cmp_lt_i32_e64 s6, 31, v16
	s_and_b32 s5, s5, s8
	s_or_b32 s5, s6, s5
	s_and_saveexec_b32 s6, s5
	s_xor_b32 s5, exec_lo, s6
; %bb.61:
	v_add_nc_u32_e32 v0, v0, v20
	v_add_nc_u32_e32 v19, 1, v20
                                        ; implicit-def: $vgpr20
	ds_read_u8 v18, v0 offset:1
                                        ; implicit-def: $vgpr0
; %bb.62:
	s_or_saveexec_b32 s5, s5
	v_mov_b32_e32 v17, v15
	s_xor_b32 exec_lo, exec_lo, s5
	s_cbranch_execz .LBB56_64
; %bb.63:
	v_add_nc_u32_e32 v0, v0, v16
	v_add_nc_u32_e32 v16, 1, v16
	v_mov_b32_e32 v17, v14
	v_mov_b32_e32 v19, v20
	s_waitcnt lgkmcnt(0)
	v_mov_b32_e32 v18, v15
	ds_read_u8 v0, v0 offset:1
	s_waitcnt lgkmcnt(0)
	v_mov_b32_e32 v14, v0
.LBB56_64:
	s_or_b32 exec_lo, exec_lo, s5
	v_cmp_lt_i32_e64 s5, 15, v19
	s_waitcnt lgkmcnt(0)
	v_cmp_lt_i16_sdwa s6, sext(v14), sext(v18) src0_sel:BYTE_0 src1_sel:BYTE_0
	v_cndmask_b32_e64 v10, v10, v11, s4
	v_cmp_gt_i32_e64 s4, 32, v16
	v_cndmask_b32_sdwa v0, v12, v13, vcc_lo dst_sel:BYTE_1 dst_unused:UNUSED_PAD src0_sel:DWORD src1_sel:DWORD
	s_mov_b32 vcc_lo, s3
	s_or_b32 s5, s5, s6
	v_cndmask_b32_sdwa v8, v8, v9, vcc_lo dst_sel:BYTE_1 dst_unused:UNUSED_PAD src0_sel:DWORD src1_sel:DWORD
	s_and_b32 vcc_lo, s4, s5
	v_cndmask_b32_e64 v2, v2, v3, s0
	v_cndmask_b32_e32 v9, v18, v14, vcc_lo
	s_mov_b32 vcc_lo, s1
	v_cndmask_b32_e64 v3, v6, v7, s2
	v_cndmask_b32_sdwa v4, v4, v5, vcc_lo dst_sel:BYTE_1 dst_unused:UNUSED_PAD src0_sel:DWORD src1_sel:DWORD
	s_add_u32 s0, s10, s7
	v_lshlrev_b16 v5, 8, v9
	s_addc_u32 s1, s11, 0
	v_or_b32_sdwa v3, v3, v8 dst_sel:WORD_1 dst_unused:UNUSED_PAD src0_sel:BYTE_0 src1_sel:DWORD
	v_or_b32_sdwa v2, v2, v4 dst_sel:DWORD dst_unused:UNUSED_PAD src0_sel:BYTE_0 src1_sel:DWORD
	v_or_b32_sdwa v4, v10, v0 dst_sel:DWORD dst_unused:UNUSED_PAD src0_sel:BYTE_0 src1_sel:DWORD
	v_or_b32_sdwa v5, v17, v5 dst_sel:WORD_1 dst_unused:UNUSED_PAD src0_sel:BYTE_0 src1_sel:DWORD
	v_add_co_u32 v0, s0, s0, v1
	v_add_co_ci_u32_e64 v1, null, s1, 0, s0
	v_or_b32_sdwa v2, v2, v3 dst_sel:DWORD dst_unused:UNUSED_PAD src0_sel:WORD_0 src1_sel:DWORD
	v_or_b32_sdwa v3, v4, v5 dst_sel:DWORD dst_unused:UNUSED_PAD src0_sel:WORD_0 src1_sel:DWORD
	global_store_dwordx2 v[0:1], v[2:3], off
	s_endpgm
	.section	.rodata,"a",@progbits
	.p2align	6, 0x0
	.amdhsa_kernel _Z9sort_keysILj256ELj4ELj8EaN10test_utils4lessEEvPKT2_PS2_T3_
		.amdhsa_group_segment_fixed_size 2112
		.amdhsa_private_segment_fixed_size 0
		.amdhsa_kernarg_size 20
		.amdhsa_user_sgpr_count 6
		.amdhsa_user_sgpr_private_segment_buffer 1
		.amdhsa_user_sgpr_dispatch_ptr 0
		.amdhsa_user_sgpr_queue_ptr 0
		.amdhsa_user_sgpr_kernarg_segment_ptr 1
		.amdhsa_user_sgpr_dispatch_id 0
		.amdhsa_user_sgpr_flat_scratch_init 0
		.amdhsa_user_sgpr_private_segment_size 0
		.amdhsa_wavefront_size32 1
		.amdhsa_uses_dynamic_stack 0
		.amdhsa_system_sgpr_private_segment_wavefront_offset 0
		.amdhsa_system_sgpr_workgroup_id_x 1
		.amdhsa_system_sgpr_workgroup_id_y 0
		.amdhsa_system_sgpr_workgroup_id_z 0
		.amdhsa_system_sgpr_workgroup_info 0
		.amdhsa_system_vgpr_workitem_id 0
		.amdhsa_next_free_vgpr 26
		.amdhsa_next_free_sgpr 12
		.amdhsa_reserve_vcc 1
		.amdhsa_reserve_flat_scratch 0
		.amdhsa_float_round_mode_32 0
		.amdhsa_float_round_mode_16_64 0
		.amdhsa_float_denorm_mode_32 3
		.amdhsa_float_denorm_mode_16_64 3
		.amdhsa_dx10_clamp 1
		.amdhsa_ieee_mode 1
		.amdhsa_fp16_overflow 0
		.amdhsa_workgroup_processor_mode 1
		.amdhsa_memory_ordered 1
		.amdhsa_forward_progress 1
		.amdhsa_shared_vgpr_count 0
		.amdhsa_exception_fp_ieee_invalid_op 0
		.amdhsa_exception_fp_denorm_src 0
		.amdhsa_exception_fp_ieee_div_zero 0
		.amdhsa_exception_fp_ieee_overflow 0
		.amdhsa_exception_fp_ieee_underflow 0
		.amdhsa_exception_fp_ieee_inexact 0
		.amdhsa_exception_int_div_zero 0
	.end_amdhsa_kernel
	.section	.text._Z9sort_keysILj256ELj4ELj8EaN10test_utils4lessEEvPKT2_PS2_T3_,"axG",@progbits,_Z9sort_keysILj256ELj4ELj8EaN10test_utils4lessEEvPKT2_PS2_T3_,comdat
.Lfunc_end56:
	.size	_Z9sort_keysILj256ELj4ELj8EaN10test_utils4lessEEvPKT2_PS2_T3_, .Lfunc_end56-_Z9sort_keysILj256ELj4ELj8EaN10test_utils4lessEEvPKT2_PS2_T3_
                                        ; -- End function
	.set _Z9sort_keysILj256ELj4ELj8EaN10test_utils4lessEEvPKT2_PS2_T3_.num_vgpr, 26
	.set _Z9sort_keysILj256ELj4ELj8EaN10test_utils4lessEEvPKT2_PS2_T3_.num_agpr, 0
	.set _Z9sort_keysILj256ELj4ELj8EaN10test_utils4lessEEvPKT2_PS2_T3_.numbered_sgpr, 12
	.set _Z9sort_keysILj256ELj4ELj8EaN10test_utils4lessEEvPKT2_PS2_T3_.num_named_barrier, 0
	.set _Z9sort_keysILj256ELj4ELj8EaN10test_utils4lessEEvPKT2_PS2_T3_.private_seg_size, 0
	.set _Z9sort_keysILj256ELj4ELj8EaN10test_utils4lessEEvPKT2_PS2_T3_.uses_vcc, 1
	.set _Z9sort_keysILj256ELj4ELj8EaN10test_utils4lessEEvPKT2_PS2_T3_.uses_flat_scratch, 0
	.set _Z9sort_keysILj256ELj4ELj8EaN10test_utils4lessEEvPKT2_PS2_T3_.has_dyn_sized_stack, 0
	.set _Z9sort_keysILj256ELj4ELj8EaN10test_utils4lessEEvPKT2_PS2_T3_.has_recursion, 0
	.set _Z9sort_keysILj256ELj4ELj8EaN10test_utils4lessEEvPKT2_PS2_T3_.has_indirect_call, 0
	.section	.AMDGPU.csdata,"",@progbits
; Kernel info:
; codeLenInByte = 4284
; TotalNumSgprs: 14
; NumVgprs: 26
; ScratchSize: 0
; MemoryBound: 0
; FloatMode: 240
; IeeeMode: 1
; LDSByteSize: 2112 bytes/workgroup (compile time only)
; SGPRBlocks: 0
; VGPRBlocks: 3
; NumSGPRsForWavesPerEU: 14
; NumVGPRsForWavesPerEU: 26
; Occupancy: 16
; WaveLimiterHint : 0
; COMPUTE_PGM_RSRC2:SCRATCH_EN: 0
; COMPUTE_PGM_RSRC2:USER_SGPR: 6
; COMPUTE_PGM_RSRC2:TRAP_HANDLER: 0
; COMPUTE_PGM_RSRC2:TGID_X_EN: 1
; COMPUTE_PGM_RSRC2:TGID_Y_EN: 0
; COMPUTE_PGM_RSRC2:TGID_Z_EN: 0
; COMPUTE_PGM_RSRC2:TIDIG_COMP_CNT: 0
	.section	.text._Z10sort_pairsILj256ELj4ELj8EaN10test_utils4lessEEvPKT2_PS2_T3_,"axG",@progbits,_Z10sort_pairsILj256ELj4ELj8EaN10test_utils4lessEEvPKT2_PS2_T3_,comdat
	.protected	_Z10sort_pairsILj256ELj4ELj8EaN10test_utils4lessEEvPKT2_PS2_T3_ ; -- Begin function _Z10sort_pairsILj256ELj4ELj8EaN10test_utils4lessEEvPKT2_PS2_T3_
	.globl	_Z10sort_pairsILj256ELj4ELj8EaN10test_utils4lessEEvPKT2_PS2_T3_
	.p2align	8
	.type	_Z10sort_pairsILj256ELj4ELj8EaN10test_utils4lessEEvPKT2_PS2_T3_,@function
_Z10sort_pairsILj256ELj4ELj8EaN10test_utils4lessEEvPKT2_PS2_T3_: ; @_Z10sort_pairsILj256ELj4ELj8EaN10test_utils4lessEEvPKT2_PS2_T3_
; %bb.0:
	s_load_dwordx4 s[36:39], s[4:5], 0x0
	s_lshl_b32 s40, s6, 11
	v_lshlrev_b32_e32 v3, 3, v0
	v_lshrrev_b32_e32 v0, 2, v0
	s_mov_b32 s28, 0
	s_mov_b32 s29, exec_lo
	s_waitcnt lgkmcnt(0)
	s_add_u32 s0, s36, s40
	s_addc_u32 s1, s37, 0
	global_load_dwordx2 v[1:2], v3, s[0:1]
	; wave barrier
	s_waitcnt vmcnt(0)
	v_lshrrev_b32_e32 v9, 8, v1
	v_lshrrev_b32_e32 v7, 16, v1
	v_lshrrev_b32_e32 v10, 24, v1
	v_perm_b32 v12, v2, v2, 0x7060405
	v_lshlrev_b16 v4, 8, v9
	v_perm_b32 v5, 0, v7, 0xc0c0001
	v_lshlrev_b16 v8, 8, v10
	v_or_b32_sdwa v6, v1, v4 dst_sel:DWORD dst_unused:UNUSED_PAD src0_sel:BYTE_0 src1_sel:DWORD
	v_perm_b32 v4, 0, v1, 0xc0c0001
	v_lshlrev_b32_e32 v11, 16, v5
	v_lshrrev_b32_e32 v5, 8, v2
	v_or_b32_sdwa v7, v7, v8 dst_sel:DWORD dst_unused:UNUSED_PAD src0_sel:BYTE_0 src1_sel:DWORD
	v_cmp_lt_i16_sdwa s0, sext(v9), sext(v6) src0_sel:BYTE_0 src1_sel:BYTE_0
	v_cmp_lt_i16_sdwa s1, sext(v5), sext(v2) src0_sel:BYTE_0 src1_sel:BYTE_0
	;; [unrolled: 1-line block ×3, first 2 shown]
	v_cndmask_b32_e64 v4, v1, v4, s0
	v_cndmask_b32_e64 v8, v2, v12, s1
	v_bfi_b32 v1, 0xffff, v4, v1
	v_and_or_b32 v4, 0xffff, v4, v11
	v_mov_b32_e32 v11, 0xff
	v_lshrrev_b32_e32 v12, 16, v8
	v_perm_b32 v13, v8, v8, 0x6070504
	v_cndmask_b32_e64 v1, v1, v4, s2
	v_lshrrev_b32_e32 v4, 24, v8
	v_lshrrev_b32_e32 v14, 16, v1
	v_lshrrev_b32_e32 v15, 8, v1
	v_perm_b32 v16, v1, v1, 0x7050604
	v_cmp_lt_i16_sdwa s4, sext(v4), sext(v12) src0_sel:BYTE_0 src1_sel:BYTE_0
	v_cmp_lt_i16_sdwa s5, sext(v14), sext(v15) src0_sel:BYTE_0 src1_sel:BYTE_0
	v_cndmask_b32_e64 v4, v8, v13, s4
	v_cndmask_b32_e64 v1, v1, v16, s5
	v_lshlrev_b16 v8, 8, v4
	v_and_b32_sdwa v12, v1, v11 dst_sel:DWORD dst_unused:UNUSED_PAD src0_sel:WORD_1 src1_sel:DWORD
	v_or_b32_sdwa v8, v12, v8 dst_sel:WORD_1 dst_unused:UNUSED_PAD src0_sel:DWORD src1_sel:DWORD
	v_lshrrev_b32_e32 v12, 24, v1
	v_and_or_b32 v8, 0xffff, v1, v8
	v_cmp_lt_i16_sdwa s3, sext(v4), sext(v12) src0_sel:BYTE_0 src1_sel:BYTE_0
	v_cndmask_b32_e64 v8, v1, v8, s3
	v_perm_b32 v1, v1, v4, 0x3020107
	v_perm_b32 v12, 0, v8, 0xc0c0001
	v_lshrrev_b32_e32 v13, 8, v8
	v_cndmask_b32_e64 v1, v4, v1, s3
	v_and_or_b32 v12, 0xffff0000, v8, v12
	v_cmp_lt_i16_sdwa s6, sext(v13), sext(v8) src0_sel:BYTE_0 src1_sel:BYTE_0
	v_lshrrev_b32_e32 v13, 8, v1
	v_perm_b32 v14, v1, v1, 0x7050604
	v_cndmask_b32_e64 v4, v8, v12, s6
	v_lshrrev_b32_e32 v8, 16, v1
	v_lshrrev_b32_e32 v12, 16, v4
	v_cmp_lt_i16_sdwa s7, sext(v8), sext(v13) src0_sel:BYTE_0 src1_sel:BYTE_0
	v_perm_b32 v15, 0, v12, 0xc0c0001
	v_cndmask_b32_e64 v1, v1, v14, s7
	v_lshlrev_b32_e32 v8, 16, v15
	v_lshrrev_b32_e32 v13, 8, v1
	v_lshrrev_b32_e32 v15, 24, v4
	v_perm_b32 v14, v1, v1, 0x7060405
	v_and_or_b32 v8, 0xffff, v4, v8
	v_cmp_lt_i16_sdwa s8, sext(v13), sext(v1) src0_sel:BYTE_0 src1_sel:BYTE_0
	v_cmp_lt_i16_sdwa s9, sext(v15), sext(v12) src0_sel:BYTE_0 src1_sel:BYTE_0
	v_cndmask_b32_e64 v1, v1, v14, s8
	v_cndmask_b32_e64 v4, v4, v8, s9
	v_lshrrev_b32_e32 v8, 24, v1
	v_lshrrev_b32_e32 v12, 16, v1
	v_lshrrev_b32_e32 v14, 16, v4
	v_lshrrev_b32_e32 v15, 8, v4
	v_perm_b32 v13, v1, v1, 0x6070504
	v_perm_b32 v16, v4, v4, 0x7050604
	v_cmp_lt_i16_sdwa s11, sext(v8), sext(v12) src0_sel:BYTE_0 src1_sel:BYTE_0
	v_cmp_lt_i16_sdwa s12, sext(v14), sext(v15) src0_sel:BYTE_0 src1_sel:BYTE_0
	v_cndmask_b32_e64 v1, v1, v13, s11
	v_cndmask_b32_e64 v4, v4, v16, s12
	v_lshlrev_b16 v8, 8, v1
	v_and_b32_sdwa v12, v4, v11 dst_sel:DWORD dst_unused:UNUSED_PAD src0_sel:WORD_1 src1_sel:DWORD
	v_or_b32_sdwa v8, v12, v8 dst_sel:WORD_1 dst_unused:UNUSED_PAD src0_sel:DWORD src1_sel:DWORD
	v_lshrrev_b32_e32 v12, 24, v4
	v_and_or_b32 v8, 0xffff, v4, v8
	v_cmp_lt_i16_sdwa s10, sext(v1), sext(v12) src0_sel:BYTE_0 src1_sel:BYTE_0
	v_cndmask_b32_e64 v8, v4, v8, s10
	v_perm_b32 v4, v4, v1, 0x3020107
	v_perm_b32 v12, 0, v8, 0xc0c0001
	v_lshrrev_b32_e32 v13, 8, v8
	v_cndmask_b32_e64 v1, v1, v4, s10
	v_and_or_b32 v12, 0xffff0000, v8, v12
	v_cmp_lt_i16_sdwa s13, sext(v13), sext(v8) src0_sel:BYTE_0 src1_sel:BYTE_0
	v_lshrrev_b32_e32 v13, 8, v1
	v_perm_b32 v14, v1, v1, 0x7050604
	v_cndmask_b32_e64 v4, v8, v12, s13
	v_lshrrev_b32_e32 v8, 16, v1
	v_lshrrev_b32_e32 v12, 16, v4
	v_cmp_lt_i16_sdwa s14, sext(v8), sext(v13) src0_sel:BYTE_0 src1_sel:BYTE_0
	v_perm_b32 v15, 0, v12, 0xc0c0001
	v_cndmask_b32_e64 v1, v1, v14, s14
	v_lshlrev_b32_e32 v8, 16, v15
	v_lshrrev_b32_e32 v13, 8, v1
	v_lshrrev_b32_e32 v15, 24, v4
	v_perm_b32 v14, v1, v1, 0x7060405
	v_and_or_b32 v8, 0xffff, v4, v8
	v_cmp_lt_i16_sdwa s17, sext(v13), sext(v1) src0_sel:BYTE_0 src1_sel:BYTE_0
	v_cmp_lt_i16_sdwa s18, sext(v15), sext(v12) src0_sel:BYTE_0 src1_sel:BYTE_0
	v_cndmask_b32_e64 v1, v1, v14, s17
	v_cndmask_b32_e64 v4, v4, v8, s18
	v_lshrrev_b32_e32 v8, 24, v1
	v_lshrrev_b32_e32 v12, 16, v1
	v_lshrrev_b32_e32 v14, 16, v4
	v_lshrrev_b32_e32 v15, 8, v4
	v_perm_b32 v13, v1, v1, 0x6070504
	;; [unrolled: 40-line block ×3, first 2 shown]
	v_perm_b32 v16, v4, v4, 0x7050604
	v_cmp_lt_i16_sdwa s15, sext(v8), sext(v12) src0_sel:BYTE_0 src1_sel:BYTE_0
	v_mbcnt_lo_u32_b32 v8, -1, 0
	v_cmp_lt_i16_sdwa s16, sext(v14), sext(v15) src0_sel:BYTE_0 src1_sel:BYTE_0
	v_mov_b32_e32 v14, 0
	v_cndmask_b32_e64 v1, v1, v13, s15
	v_lshlrev_b32_e32 v15, 3, v8
	v_cndmask_b32_e64 v4, v4, v16, s16
	v_lshlrev_b16 v12, 8, v1
	v_and_b32_sdwa v13, v4, v11 dst_sel:DWORD dst_unused:UNUSED_PAD src0_sel:WORD_1 src1_sel:DWORD
	v_perm_b32 v16, v4, v1, 0x3020107
	v_or_b32_sdwa v8, v13, v12 dst_sel:WORD_1 dst_unused:UNUSED_PAD src0_sel:DWORD src1_sel:DWORD
	v_lshrrev_b32_e32 v12, 24, v4
	v_and_b32_e32 v13, 16, v15
	v_and_or_b32 v17, 0xffff, v4, v8
	v_cmp_lt_i16_sdwa s20, sext(v1), sext(v12) src0_sel:BYTE_0 src1_sel:BYTE_0
	v_or_b32_e32 v8, 8, v13
	v_and_b32_e32 v12, 8, v15
	v_cndmask_b32_e64 v18, v1, v16, s20
	v_cndmask_b32_e64 v17, v4, v17, s20
	v_and_b32_e32 v4, 24, v15
	v_sub_nc_u32_e32 v16, v8, v13
	v_mov_b32_e32 v15, 0
	v_lshrrev_b32_e32 v19, 16, v18
	v_lshrrev_b32_e32 v20, 8, v18
	v_perm_b32 v21, v18, v18, 0x7050604
	v_mad_u32_u24 v1, v0, 33, v4
	v_min_i32_e32 v16, v12, v16
	v_mul_u32_u24_e32 v0, 33, v0
	v_cmp_lt_i16_sdwa s27, sext(v19), sext(v20) src0_sel:BYTE_0 src1_sel:BYTE_0
	v_cndmask_b32_e64 v18, v18, v21, s27
	ds_write_b64 v1, v[17:18]
	; wave barrier
	v_cmpx_lt_i32_e32 0, v16
	s_cbranch_execz .LBB57_4
; %bb.1:
	v_add_nc_u32_e32 v15, v0, v13
	v_add_nc_u32_e32 v17, v15, v12
	.p2align	6
.LBB57_2:                               ; =>This Inner Loop Header: Depth=1
	v_sub_nc_u32_e32 v18, v16, v14
	v_lshrrev_b32_e32 v18, 1, v18
	v_add_nc_u32_e32 v18, v18, v14
	v_add_nc_u32_e32 v19, v15, v18
	v_xad_u32 v20, v18, -1, v17
	v_add_nc_u32_e32 v21, 1, v18
	ds_read_i8 v19, v19
	ds_read_i8 v20, v20 offset:8
	s_waitcnt lgkmcnt(0)
	v_cmp_lt_i16_e32 vcc_lo, v20, v19
	v_cndmask_b32_e32 v16, v16, v18, vcc_lo
	v_cndmask_b32_e32 v14, v21, v14, vcc_lo
	v_cmp_ge_i32_e32 vcc_lo, v14, v16
	s_or_b32 s28, vcc_lo, s28
	s_andn2_b32 exec_lo, exec_lo, s28
	s_cbranch_execnz .LBB57_2
; %bb.3:
	s_or_b32 exec_lo, exec_lo, s28
	v_mov_b32_e32 v15, v14
.LBB57_4:
	s_or_b32 exec_lo, exec_lo, s29
	v_and_b32_e32 v28, 0xff, v9
	v_add_nc_u32_e32 v9, v13, v12
	v_and_b32_sdwa v26, v10, v11 dst_sel:BYTE_1 dst_unused:UNUSED_PAD src0_sel:DWORD src1_sel:DWORD
	v_add_nc_u32_e32 v10, v15, v13
	v_mov_b32_e32 v14, 24
	v_add_nc_u32_e32 v18, v8, v12
	v_sub_nc_u32_e32 v9, v9, v15
	v_cmp_lt_i32_e32 vcc_lo, 7, v15
	v_add_nc_u32_e32 v17, v0, v10
	v_lshrrev_b32_sdwa v24, v14, v2 dst_sel:BYTE_1 dst_unused:UNUSED_PAD src0_sel:DWORD src1_sel:DWORD
	v_lshrrev_b32_e32 v27, 16, v2
	v_add_nc_u32_e32 v16, v0, v9
	ds_read_u8 v9, v17
	ds_read_u8 v14, v16 offset:8
	s_waitcnt lgkmcnt(1)
	v_bfe_i32 v11, v9, 0, 8
	s_waitcnt lgkmcnt(0)
	v_bfe_i32 v12, v14, 0, 8
	v_add_nc_u32_e32 v9, 16, v13
	v_sub_nc_u32_e32 v13, v18, v15
                                        ; implicit-def: $vgpr14
	v_cmp_lt_i16_e64 s28, v12, v11
	v_cmp_gt_i32_e64 s29, v9, v13
	s_or_b32 s28, vcc_lo, s28
	s_and_b32 s28, s29, s28
	s_xor_b32 s29, s28, -1
	s_and_saveexec_b32 s30, s29
	s_xor_b32 s29, exec_lo, s30
; %bb.5:
	ds_read_u8 v14, v17 offset:1
                                        ; implicit-def: $vgpr16
; %bb.6:
	s_or_saveexec_b32 s29, s29
	v_mov_b32_e32 v15, v12
	s_xor_b32 exec_lo, exec_lo, s29
	s_cbranch_execz .LBB57_8
; %bb.7:
	ds_read_u8 v15, v16 offset:9
	s_waitcnt lgkmcnt(1)
	v_mov_b32_e32 v14, v11
.LBB57_8:
	s_or_b32 exec_lo, exec_lo, s29
	v_add_nc_u32_e32 v16, 1, v10
	v_add_nc_u32_e32 v17, 1, v13
	s_waitcnt lgkmcnt(0)
	v_cmp_lt_i16_sdwa s30, sext(v15), sext(v14) src0_sel:BYTE_0 src1_sel:BYTE_0
                                        ; implicit-def: $vgpr20
	v_cndmask_b32_e64 v16, v16, v10, s28
	v_cndmask_b32_e64 v17, v13, v17, s28
	v_cmp_ge_i32_e32 vcc_lo, v16, v8
	v_cmp_lt_i32_e64 s29, v17, v9
	s_or_b32 s30, vcc_lo, s30
	s_and_b32 s29, s29, s30
	s_xor_b32 s30, s29, -1
	s_and_saveexec_b32 s31, s30
	s_xor_b32 s30, exec_lo, s31
; %bb.9:
	v_add_nc_u32_e32 v18, v0, v16
	ds_read_u8 v20, v18 offset:1
; %bb.10:
	s_or_saveexec_b32 s30, s30
	v_mov_b32_e32 v21, v15
	s_xor_b32 exec_lo, exec_lo, s30
	s_cbranch_execz .LBB57_12
; %bb.11:
	v_add_nc_u32_e32 v18, v0, v17
	s_waitcnt lgkmcnt(0)
	v_mov_b32_e32 v20, v14
	ds_read_u8 v21, v18 offset:1
.LBB57_12:
	s_or_b32 exec_lo, exec_lo, s30
	v_add_nc_u32_e32 v18, 1, v16
	v_add_nc_u32_e32 v19, 1, v17
	s_waitcnt lgkmcnt(0)
	v_cmp_lt_i16_sdwa s31, sext(v21), sext(v20) src0_sel:BYTE_0 src1_sel:BYTE_0
                                        ; implicit-def: $vgpr25
	v_cndmask_b32_e64 v22, v18, v16, s29
	v_cndmask_b32_e64 v23, v17, v19, s29
	v_cmp_ge_i32_e32 vcc_lo, v22, v8
	v_cmp_lt_i32_e64 s30, v23, v9
	s_or_b32 s31, vcc_lo, s31
	s_and_b32 s31, s30, s31
	s_xor_b32 s30, s31, -1
	s_and_saveexec_b32 s33, s30
	s_xor_b32 s30, exec_lo, s33
; %bb.13:
	v_add_nc_u32_e32 v18, v0, v22
	ds_read_u8 v25, v18 offset:1
; %bb.14:
	s_or_saveexec_b32 s30, s30
	v_mov_b32_e32 v29, v21
	s_xor_b32 exec_lo, exec_lo, s30
	s_cbranch_execz .LBB57_16
; %bb.15:
	v_add_nc_u32_e32 v18, v0, v23
	s_waitcnt lgkmcnt(0)
	v_mov_b32_e32 v25, v20
	ds_read_u8 v29, v18 offset:1
.LBB57_16:
	s_or_b32 exec_lo, exec_lo, s30
	v_add_nc_u32_e32 v18, 1, v22
	v_add_nc_u32_e32 v19, 1, v23
	s_waitcnt lgkmcnt(0)
	v_cmp_lt_i16_sdwa s33, sext(v29), sext(v25) src0_sel:BYTE_0 src1_sel:BYTE_0
	v_cndmask_b32_e64 v30, v18, v22, s31
	v_cndmask_b32_e64 v31, v23, v19, s31
                                        ; implicit-def: $vgpr18
	v_cmp_ge_i32_e32 vcc_lo, v30, v8
	v_cmp_lt_i32_e64 s30, v31, v9
	s_or_b32 s33, vcc_lo, s33
	s_and_b32 s33, s30, s33
	s_xor_b32 s30, s33, -1
	s_and_saveexec_b32 s34, s30
	s_xor_b32 s30, exec_lo, s34
; %bb.17:
	v_add_nc_u32_e32 v18, v0, v30
	ds_read_u8 v18, v18 offset:1
; %bb.18:
	s_or_saveexec_b32 s30, s30
	v_mov_b32_e32 v19, v29
	s_xor_b32 exec_lo, exec_lo, s30
	s_cbranch_execz .LBB57_20
; %bb.19:
	s_waitcnt lgkmcnt(0)
	v_add_nc_u32_e32 v18, v0, v31
	ds_read_u8 v19, v18 offset:1
	v_mov_b32_e32 v18, v25
.LBB57_20:
	s_or_b32 exec_lo, exec_lo, s30
	v_add_nc_u32_e32 v32, 1, v30
	v_add_nc_u32_e32 v33, 1, v31
	s_waitcnt lgkmcnt(0)
	v_cmp_lt_i16_sdwa s34, sext(v19), sext(v18) src0_sel:BYTE_0 src1_sel:BYTE_0
	v_cndmask_b32_e64 v34, v32, v30, s33
	v_cndmask_b32_e64 v35, v31, v33, s33
                                        ; implicit-def: $vgpr32
	v_cmp_ge_i32_e32 vcc_lo, v34, v8
	v_cmp_lt_i32_e64 s30, v35, v9
	s_or_b32 s34, vcc_lo, s34
	s_and_b32 s30, s30, s34
	s_xor_b32 s34, s30, -1
	s_and_saveexec_b32 s35, s34
	s_xor_b32 s34, exec_lo, s35
; %bb.21:
	v_add_nc_u32_e32 v32, v0, v34
	ds_read_u8 v32, v32 offset:1
; %bb.22:
	s_or_saveexec_b32 s34, s34
	v_mov_b32_e32 v33, v19
	s_xor_b32 exec_lo, exec_lo, s34
	s_cbranch_execz .LBB57_24
; %bb.23:
	s_waitcnt lgkmcnt(0)
	v_add_nc_u32_e32 v32, v0, v35
	ds_read_u8 v33, v32 offset:1
	v_mov_b32_e32 v32, v18
.LBB57_24:
	s_or_b32 exec_lo, exec_lo, s34
	v_add_nc_u32_e32 v36, 1, v34
	v_add_nc_u32_e32 v37, 1, v35
	s_waitcnt lgkmcnt(0)
	v_cmp_lt_i16_sdwa s35, sext(v33), sext(v32) src0_sel:BYTE_0 src1_sel:BYTE_0
                                        ; implicit-def: $vgpr42
	v_cndmask_b32_e64 v40, v36, v34, s30
	v_cndmask_b32_e64 v41, v35, v37, s30
	v_cmp_ge_i32_e32 vcc_lo, v40, v8
	v_cmp_lt_i32_e64 s34, v41, v9
	s_or_b32 s35, vcc_lo, s35
	s_and_b32 vcc_lo, s34, s35
	s_xor_b32 s34, vcc_lo, -1
	s_and_saveexec_b32 s35, s34
	s_xor_b32 s34, exec_lo, s35
; %bb.25:
	v_add_nc_u32_e32 v36, v0, v40
	ds_read_u8 v42, v36 offset:1
; %bb.26:
	s_or_saveexec_b32 s34, s34
	v_mov_b32_e32 v43, v33
	s_xor_b32 exec_lo, exec_lo, s34
	s_cbranch_execz .LBB57_28
; %bb.27:
	v_add_nc_u32_e32 v36, v0, v41
	s_waitcnt lgkmcnt(0)
	v_mov_b32_e32 v42, v32
	ds_read_u8 v43, v36 offset:1
.LBB57_28:
	s_or_b32 exec_lo, exec_lo, s34
	v_add_nc_u32_e32 v36, 1, v40
	v_add_nc_u32_e32 v38, 1, v41
	s_waitcnt lgkmcnt(0)
	v_cmp_lt_i16_sdwa s36, sext(v43), sext(v42) src0_sel:BYTE_0 src1_sel:BYTE_0
	v_cndmask_b32_e32 v37, v36, v40, vcc_lo
	v_cndmask_b32_e32 v39, v41, v38, vcc_lo
                                        ; implicit-def: $vgpr36
	v_cmp_ge_i32_e64 s34, v37, v8
	v_cmp_lt_i32_e64 s35, v39, v9
	s_or_b32 s34, s34, s36
	s_and_b32 s34, s35, s34
	s_xor_b32 s35, s34, -1
	s_and_saveexec_b32 s36, s35
	s_xor_b32 s35, exec_lo, s36
; %bb.29:
	v_add_nc_u32_e32 v36, v0, v37
	ds_read_u8 v36, v36 offset:1
; %bb.30:
	s_or_saveexec_b32 s35, s35
	v_mov_b32_e32 v38, v43
	s_xor_b32 exec_lo, exec_lo, s35
	s_cbranch_execz .LBB57_32
; %bb.31:
	s_waitcnt lgkmcnt(0)
	v_add_nc_u32_e32 v36, v0, v39
	ds_read_u8 v38, v36 offset:1
	v_mov_b32_e32 v36, v42
.LBB57_32:
	s_or_b32 exec_lo, exec_lo, s35
	v_add_nc_u16 v7, v7, 1
	v_add_nc_u16 v28, v28, 1
	;; [unrolled: 1-line block ×5, first 2 shown]
	v_or_b32_sdwa v7, v26, v7 dst_sel:DWORD dst_unused:UNUSED_PAD src0_sel:DWORD src1_sel:BYTE_0
	v_lshlrev_b16 v26, 8, v28
	v_lshlrev_b16 v44, 8, v6
	;; [unrolled: 1-line block ×3, first 2 shown]
	v_or_b32_sdwa v24, v24, v27 dst_sel:DWORD dst_unused:UNUSED_PAD src0_sel:DWORD src1_sel:BYTE_0
	v_add_nc_u16 v7, 0x100, v7
	v_or_b32_sdwa v6, v6, v26 dst_sel:DWORD dst_unused:UNUSED_PAD src0_sel:BYTE_0 src1_sel:DWORD
	v_or_b32_sdwa v26, v28, v44 dst_sel:DWORD dst_unused:UNUSED_PAD src0_sel:BYTE_0 src1_sel:DWORD
	v_or_b32_sdwa v2, v5, v2 dst_sel:DWORD dst_unused:UNUSED_PAD src0_sel:DWORD src1_sel:BYTE_0
	v_add_nc_u16 v5, 0x100, v24
	v_cndmask_b32_e32 v40, v40, v41, vcc_lo
	v_and_b32_e32 v6, 0xffff, v6
	v_and_b32_e32 v24, 0xffff, v26
	v_lshlrev_b32_e32 v26, 16, v7
	v_add_nc_u16 v2, 0x100, v2
	v_lshlrev_b32_e32 v5, 16, v5
	v_perm_b32 v7, 0, v7, 0xc0c0001
	v_cndmask_b32_e64 v6, v6, v24, s0
	v_mov_b32_e32 v24, 0xff
	v_cndmask_b32_e64 v14, v14, v15, s29
	v_or_b32_sdwa v2, v2, v5 dst_sel:DWORD dst_unused:UNUSED_PAD src0_sel:WORD_0 src1_sel:DWORD
	v_lshlrev_b32_e32 v5, 16, v7
	v_or_b32_e32 v6, v6, v26
	v_cndmask_b32_e64 v12, v11, v12, s28
	v_add_nc_u32_e32 v27, 1, v37
	v_perm_b32 v7, v2, v2, 0x7060405
	v_cndmask_b32_e64 v16, v16, v17, s29
	v_and_or_b32 v5, 0xffff, v6, v5
	v_cndmask_b32_e64 v20, v20, v21, s31
	v_cndmask_b32_e64 v21, v22, v23, s31
	;; [unrolled: 1-line block ×5, first 2 shown]
	v_cndmask_b32_sdwa v13, v32, v33, vcc_lo dst_sel:BYTE_1 dst_unused:UNUSED_PAD src0_sel:DWORD src1_sel:DWORD
	s_waitcnt lgkmcnt(0)
	v_cmp_lt_i16_sdwa s1, sext(v38), sext(v36) src0_sel:BYTE_0 src1_sel:BYTE_0
	v_perm_b32 v6, v2, v2, 0x6070504
	v_cndmask_b32_e64 v25, v25, v29, s33
	v_perm_b32 v7, v5, v5, 0x7050604
	v_cndmask_b32_e64 v29, v30, v31, s33
	v_cndmask_b32_e64 v34, v34, v35, s30
	v_cndmask_b32_e64 v2, v2, v6, s4
	v_cndmask_b32_e64 v28, v37, v39, s34
	v_cndmask_b32_e64 v5, v5, v7, s5
	v_add_nc_u32_e32 v17, v0, v4
	v_add_nc_u32_e32 v10, v0, v10
	v_lshlrev_b16 v6, 8, v2
	v_add_nc_u32_e32 v21, v0, v21
	v_and_b32_sdwa v7, v5, v24 dst_sel:DWORD dst_unused:UNUSED_PAD src0_sel:WORD_1 src1_sel:DWORD
	v_add_nc_u32_e32 v23, v0, v29
	; wave barrier
	v_cndmask_b32_e64 v26, v42, v43, s34
	v_or_b32_sdwa v6, v7, v6 dst_sel:WORD_1 dst_unused:UNUSED_PAD src0_sel:DWORD src1_sel:DWORD
	v_lshlrev_b16 v14, 8, v14
	v_cndmask_b32_e64 v18, v18, v19, s30
	v_and_or_b32 v6, 0xffff, v5, v6
	v_or_b32_sdwa v14, v12, v14 dst_sel:DWORD dst_unused:UNUSED_PAD src0_sel:BYTE_0 src1_sel:DWORD
	v_or_b32_sdwa v18, v18, v13 dst_sel:DWORD dst_unused:UNUSED_PAD src0_sel:BYTE_0 src1_sel:DWORD
	v_sub_nc_u32_e64 v12, v4, 16 clamp
	v_min_u32_e32 v13, 16, v4
	v_cndmask_b32_e64 v6, v5, v6, s3
	v_perm_b32 v5, v5, v2, 0x3020107
	v_perm_b32 v7, 0, v6, 0xc0c0001
	v_cndmask_b32_e64 v2, v2, v5, s3
	v_and_or_b32 v7, 0xffff0000, v6, v7
	v_cndmask_b32_e64 v6, v6, v7, s6
	v_perm_b32 v7, v2, v2, 0x7050604
	v_lshrrev_b32_e32 v5, 16, v6
	v_cndmask_b32_e64 v2, v2, v7, s7
	v_perm_b32 v5, 0, v5, 0xc0c0001
	v_perm_b32 v7, v2, v2, 0x7060405
	v_lshlrev_b32_e32 v5, 16, v5
	v_cndmask_b32_e64 v2, v2, v7, s8
	v_and_or_b32 v5, 0xffff, v6, v5
	v_cndmask_b32_e64 v5, v6, v5, s9
	v_perm_b32 v6, v2, v2, 0x6070504
	v_perm_b32 v7, v5, v5, 0x7050604
	v_cndmask_b32_e64 v2, v2, v6, s11
	v_cndmask_b32_e64 v5, v5, v7, s12
	v_lshlrev_b16 v6, 8, v2
	v_and_b32_sdwa v7, v5, v24 dst_sel:DWORD dst_unused:UNUSED_PAD src0_sel:WORD_1 src1_sel:DWORD
	v_or_b32_sdwa v6, v7, v6 dst_sel:WORD_1 dst_unused:UNUSED_PAD src0_sel:DWORD src1_sel:DWORD
	v_and_or_b32 v6, 0xffff, v5, v6
	v_cndmask_b32_e64 v6, v5, v6, s10
	v_perm_b32 v5, v5, v2, 0x3020107
	v_perm_b32 v7, 0, v6, 0xc0c0001
	v_cndmask_b32_e64 v2, v2, v5, s10
	v_and_or_b32 v7, 0xffff0000, v6, v7
	v_cndmask_b32_e64 v6, v6, v7, s13
	v_perm_b32 v7, v2, v2, 0x7050604
	v_lshrrev_b32_e32 v5, 16, v6
	v_cndmask_b32_e64 v2, v2, v7, s14
	v_perm_b32 v5, 0, v5, 0xc0c0001
	v_perm_b32 v7, v2, v2, 0x7060405
	v_lshlrev_b32_e32 v5, 16, v5
	v_cndmask_b32_e64 v2, v2, v7, s17
	v_and_or_b32 v5, 0xffff, v6, v5
	v_cndmask_b32_e64 v5, v6, v5, s18
	v_perm_b32 v6, v2, v2, 0x6070504
	v_perm_b32 v7, v5, v5, 0x7050604
	v_cndmask_b32_e64 v2, v2, v6, s21
	v_cndmask_b32_e64 v5, v5, v7, s22
	v_lshlrev_b16 v6, 8, v2
	v_and_b32_sdwa v7, v5, v24 dst_sel:DWORD dst_unused:UNUSED_PAD src0_sel:WORD_1 src1_sel:DWORD
	v_or_b32_sdwa v6, v7, v6 dst_sel:WORD_1 dst_unused:UNUSED_PAD src0_sel:DWORD src1_sel:DWORD
	v_and_or_b32 v6, 0xffff, v5, v6
	v_cndmask_b32_e64 v6, v5, v6, s19
	v_perm_b32 v5, v5, v2, 0x3020107
	v_perm_b32 v7, 0, v6, 0xc0c0001
	v_cndmask_b32_e64 v2, v2, v5, s19
	v_and_or_b32 v7, 0xffff0000, v6, v7
	v_perm_b32 v41, v2, v2, 0x7050604
	v_cndmask_b32_e64 v6, v6, v7, s26
	v_cndmask_b32_e64 v2, v2, v41, s23
	v_add_nc_u32_e32 v7, 1, v39
	v_lshrrev_b32_e32 v5, 16, v6
	v_perm_b32 v15, v2, v2, 0x7060405
	v_cndmask_b32_e64 v7, v39, v7, s34
	v_perm_b32 v5, 0, v5, 0xc0c0001
	v_cndmask_b32_e64 v2, v2, v15, s24
	v_cmp_lt_i32_e64 s0, v7, v9
	v_add_nc_u32_e32 v9, v0, v34
	v_lshlrev_b32_e32 v5, 16, v5
	v_and_or_b32 v5, 0xffff, v6, v5
	v_cndmask_b32_e64 v5, v6, v5, s25
	v_perm_b32 v6, v2, v2, 0x6070504
	v_perm_b32 v11, v5, v5, 0x7050604
	v_cndmask_b32_e64 v2, v2, v6, s15
	v_cndmask_b32_e64 v6, v27, v37, s34
	v_cndmask_b32_e64 v5, v5, v11, s16
	v_add_nc_u32_e32 v11, v0, v16
	v_lshlrev_b16 v15, 8, v2
	v_cmp_ge_i32_e32 vcc_lo, v6, v8
	v_and_b32_sdwa v16, v5, v24 dst_sel:DWORD dst_unused:UNUSED_PAD src0_sel:WORD_1 src1_sel:DWORD
	v_perm_b32 v22, v5, v2, 0x3020107
	s_or_b32 s1, vcc_lo, s1
	v_or_b32_sdwa v8, v16, v15 dst_sel:WORD_1 dst_unused:UNUSED_PAD src0_sel:DWORD src1_sel:DWORD
	v_cndmask_b32_e64 v2, v2, v22, s20
	s_and_b32 vcc_lo, s0, s1
	v_add_nc_u32_e32 v22, v0, v28
	v_cndmask_b32_e32 v7, v6, v7, vcc_lo
	v_and_or_b32 v8, 0xffff, v5, v8
	v_perm_b32 v15, v2, v2, 0x7050604
	v_cndmask_b32_e32 v16, v36, v38, vcc_lo
	s_mov_b32 s0, exec_lo
	v_add_nc_u32_e32 v24, v0, v7
	v_cndmask_b32_e64 v5, v5, v8, s20
	v_cndmask_b32_e64 v6, v2, v15, s27
	v_add_nc_u32_e32 v15, v0, v40
	v_lshlrev_b16 v16, 8, v16
	ds_write_b64 v17, v[5:6]
	; wave barrier
	ds_read_u8 v2, v10
	ds_read_u8 v5, v11
	;; [unrolled: 1-line block ×8, first 2 shown]
	v_lshlrev_b16 v15, 8, v25
	v_or_b32_sdwa v16, v26, v16 dst_sel:WORD_1 dst_unused:UNUSED_PAD src0_sel:BYTE_0 src1_sel:DWORD
	; wave barrier
	v_or_b32_sdwa v15, v20, v15 dst_sel:WORD_1 dst_unused:UNUSED_PAD src0_sel:BYTE_0 src1_sel:DWORD
	v_or_b32_sdwa v14, v14, v15 dst_sel:DWORD dst_unused:UNUSED_PAD src0_sel:WORD_0 src1_sel:DWORD
	v_or_b32_sdwa v15, v18, v16 dst_sel:DWORD dst_unused:UNUSED_PAD src0_sel:WORD_0 src1_sel:DWORD
	ds_write_b64 v17, v[14:15]
	; wave barrier
	v_cmpx_lt_u32_e64 v12, v13
	s_cbranch_execz .LBB57_36
; %bb.33:
	s_mov_b32 s1, 0
	.p2align	6
.LBB57_34:                              ; =>This Inner Loop Header: Depth=1
	v_sub_nc_u32_e32 v14, v13, v12
	v_lshrrev_b32_e32 v14, 1, v14
	v_add_nc_u32_e32 v14, v14, v12
	v_add_nc_u32_e32 v15, v0, v14
	v_xad_u32 v16, v14, -1, v1
	v_add_nc_u32_e32 v17, 1, v14
	ds_read_i8 v15, v15
	ds_read_i8 v16, v16 offset:16
	s_waitcnt lgkmcnt(0)
	v_cmp_lt_i16_e32 vcc_lo, v16, v15
	v_cndmask_b32_e32 v13, v13, v14, vcc_lo
	v_cndmask_b32_e32 v12, v17, v12, vcc_lo
	v_cmp_ge_i32_e32 vcc_lo, v12, v13
	s_or_b32 s1, vcc_lo, s1
	s_andn2_b32 exec_lo, exec_lo, s1
	s_cbranch_execnz .LBB57_34
; %bb.35:
	s_or_b32 exec_lo, exec_lo, s1
.LBB57_36:
	s_or_b32 exec_lo, exec_lo, s0
	v_sub_nc_u32_e32 v14, v4, v12
	v_add_nc_u32_e32 v15, v0, v12
	v_cmp_lt_i32_e32 vcc_lo, 15, v12
	v_add_nc_u32_e32 v17, v0, v14
	v_add_nc_u32_e32 v16, 16, v14
                                        ; implicit-def: $vgpr14
	ds_read_u8 v4, v15
	ds_read_u8 v13, v17 offset:16
	v_cmp_gt_i32_e64 s1, 32, v16
	s_waitcnt lgkmcnt(1)
	v_bfe_i32 v4, v4, 0, 8
	s_waitcnt lgkmcnt(0)
	v_bfe_i32 v13, v13, 0, 8
	v_cmp_lt_i16_e64 s0, v13, v4
	s_or_b32 s0, vcc_lo, s0
	s_and_b32 vcc_lo, s1, s0
	s_xor_b32 s0, vcc_lo, -1
	s_and_saveexec_b32 s1, s0
	s_xor_b32 s0, exec_lo, s1
; %bb.37:
	ds_read_u8 v14, v15 offset:1
                                        ; implicit-def: $vgpr17
; %bb.38:
	s_or_saveexec_b32 s0, s0
	v_mov_b32_e32 v15, v13
	s_xor_b32 exec_lo, exec_lo, s0
	s_cbranch_execz .LBB57_40
; %bb.39:
	ds_read_u8 v15, v17 offset:17
	s_waitcnt lgkmcnt(1)
	v_mov_b32_e32 v14, v4
.LBB57_40:
	s_or_b32 exec_lo, exec_lo, s0
	v_add_nc_u32_e32 v17, 1, v12
	v_add_nc_u32_e32 v18, 1, v16
	s_waitcnt lgkmcnt(0)
	v_cmp_lt_i16_sdwa s2, sext(v15), sext(v14) src0_sel:BYTE_0 src1_sel:BYTE_0
	v_cndmask_b32_e32 v20, v17, v12, vcc_lo
	v_cndmask_b32_e32 v21, v16, v18, vcc_lo
                                        ; implicit-def: $vgpr17
	v_cmp_lt_i32_e64 s0, 15, v20
	v_cmp_gt_i32_e64 s1, 32, v21
	s_or_b32 s0, s0, s2
	s_and_b32 s0, s1, s0
	s_xor_b32 s1, s0, -1
	s_and_saveexec_b32 s2, s1
	s_xor_b32 s1, exec_lo, s2
; %bb.41:
	v_add_nc_u32_e32 v17, v0, v20
	ds_read_u8 v17, v17 offset:1
; %bb.42:
	s_or_saveexec_b32 s1, s1
	v_mov_b32_e32 v18, v15
	s_xor_b32 exec_lo, exec_lo, s1
	s_cbranch_execz .LBB57_44
; %bb.43:
	s_waitcnt lgkmcnt(0)
	v_add_nc_u32_e32 v17, v0, v21
	ds_read_u8 v18, v17 offset:1
	v_mov_b32_e32 v17, v14
.LBB57_44:
	s_or_b32 exec_lo, exec_lo, s1
	v_add_nc_u32_e32 v19, 1, v20
	v_add_nc_u32_e32 v22, 1, v21
	s_waitcnt lgkmcnt(0)
	v_cmp_lt_i16_sdwa s3, sext(v18), sext(v17) src0_sel:BYTE_0 src1_sel:BYTE_0
	v_cndmask_b32_e64 v24, v19, v20, s0
	v_cndmask_b32_e64 v25, v21, v22, s0
                                        ; implicit-def: $vgpr19
	v_cmp_lt_i32_e64 s1, 15, v24
	v_cmp_gt_i32_e64 s2, 32, v25
	s_or_b32 s1, s1, s3
	s_and_b32 s1, s2, s1
	s_xor_b32 s2, s1, -1
	s_and_saveexec_b32 s3, s2
	s_xor_b32 s2, exec_lo, s3
; %bb.45:
	v_add_nc_u32_e32 v19, v0, v24
	ds_read_u8 v19, v19 offset:1
; %bb.46:
	s_or_saveexec_b32 s2, s2
	v_mov_b32_e32 v22, v18
	s_xor_b32 exec_lo, exec_lo, s2
	s_cbranch_execz .LBB57_48
; %bb.47:
	s_waitcnt lgkmcnt(0)
	v_add_nc_u32_e32 v19, v0, v25
	ds_read_u8 v22, v19 offset:1
	v_mov_b32_e32 v19, v17
.LBB57_48:
	s_or_b32 exec_lo, exec_lo, s2
	v_add_nc_u32_e32 v23, 1, v24
	v_add_nc_u32_e32 v26, 1, v25
	s_waitcnt lgkmcnt(0)
	v_cmp_lt_i16_sdwa s4, sext(v22), sext(v19) src0_sel:BYTE_0 src1_sel:BYTE_0
	v_cndmask_b32_e64 v28, v23, v24, s1
	v_cndmask_b32_e64 v29, v25, v26, s1
                                        ; implicit-def: $vgpr23
	v_cmp_lt_i32_e64 s2, 15, v28
	v_cmp_gt_i32_e64 s3, 32, v29
	s_or_b32 s2, s2, s4
	s_and_b32 s2, s3, s2
	s_xor_b32 s3, s2, -1
	s_and_saveexec_b32 s4, s3
	s_xor_b32 s3, exec_lo, s4
; %bb.49:
	v_add_nc_u32_e32 v23, v0, v28
	ds_read_u8 v23, v23 offset:1
; %bb.50:
	s_or_saveexec_b32 s3, s3
	v_mov_b32_e32 v26, v22
	s_xor_b32 exec_lo, exec_lo, s3
	s_cbranch_execz .LBB57_52
; %bb.51:
	s_waitcnt lgkmcnt(0)
	v_add_nc_u32_e32 v23, v0, v29
	ds_read_u8 v26, v23 offset:1
	v_mov_b32_e32 v23, v19
.LBB57_52:
	s_or_b32 exec_lo, exec_lo, s3
	v_add_nc_u32_e32 v27, 1, v28
	v_add_nc_u32_e32 v30, 1, v29
	s_waitcnt lgkmcnt(0)
	v_cmp_lt_i16_sdwa s5, sext(v26), sext(v23) src0_sel:BYTE_0 src1_sel:BYTE_0
	v_cndmask_b32_e64 v31, v27, v28, s2
	v_cndmask_b32_e64 v32, v29, v30, s2
                                        ; implicit-def: $vgpr27
	v_cmp_lt_i32_e64 s3, 15, v31
	v_cmp_gt_i32_e64 s4, 32, v32
	s_or_b32 s3, s3, s5
	s_and_b32 s3, s4, s3
	s_xor_b32 s4, s3, -1
	s_and_saveexec_b32 s5, s4
	s_xor_b32 s4, exec_lo, s5
; %bb.53:
	v_add_nc_u32_e32 v27, v0, v31
	ds_read_u8 v27, v27 offset:1
; %bb.54:
	s_or_saveexec_b32 s4, s4
	v_mov_b32_e32 v30, v26
	s_xor_b32 exec_lo, exec_lo, s4
	s_cbranch_execz .LBB57_56
; %bb.55:
	s_waitcnt lgkmcnt(0)
	v_add_nc_u32_e32 v27, v0, v32
	ds_read_u8 v30, v27 offset:1
	v_mov_b32_e32 v27, v23
.LBB57_56:
	s_or_b32 exec_lo, exec_lo, s4
	v_add_nc_u32_e32 v33, 1, v31
	v_add_nc_u32_e32 v34, 1, v32
	s_waitcnt lgkmcnt(0)
	v_cmp_lt_i16_sdwa s6, sext(v30), sext(v27) src0_sel:BYTE_0 src1_sel:BYTE_0
                                        ; implicit-def: $vgpr39
	v_cndmask_b32_e64 v33, v33, v31, s3
	v_cndmask_b32_e64 v34, v32, v34, s3
	v_cmp_lt_i32_e64 s4, 15, v33
	v_cmp_gt_i32_e64 s5, 32, v34
	s_or_b32 s4, s4, s6
	s_and_b32 s4, s5, s4
	s_xor_b32 s5, s4, -1
	s_and_saveexec_b32 s6, s5
	s_xor_b32 s5, exec_lo, s6
; %bb.57:
	v_add_nc_u32_e32 v35, v0, v33
	ds_read_u8 v39, v35 offset:1
; %bb.58:
	s_or_saveexec_b32 s5, s5
	v_mov_b32_e32 v36, v30
	s_xor_b32 exec_lo, exec_lo, s5
	s_cbranch_execz .LBB57_60
; %bb.59:
	v_add_nc_u32_e32 v35, v0, v34
	s_waitcnt lgkmcnt(0)
	v_mov_b32_e32 v39, v27
	ds_read_u8 v36, v35 offset:1
.LBB57_60:
	s_or_b32 exec_lo, exec_lo, s5
	v_add_nc_u32_e32 v35, 1, v33
	v_add_nc_u32_e32 v37, 1, v34
	s_waitcnt lgkmcnt(0)
	v_cmp_ge_i16_sdwa s7, sext(v36), sext(v39) src0_sel:BYTE_0 src1_sel:BYTE_0
                                        ; implicit-def: $vgpr41
                                        ; implicit-def: $vgpr40
	v_cndmask_b32_e64 v42, v35, v33, s4
	v_cndmask_b32_e64 v37, v34, v37, s4
	v_cmp_gt_i32_e64 s5, 16, v42
	v_cmp_lt_i32_e64 s6, 31, v37
	s_and_b32 s5, s5, s7
	s_or_b32 s5, s6, s5
	s_and_saveexec_b32 s6, s5
	s_xor_b32 s5, exec_lo, s6
; %bb.61:
	v_add_nc_u32_e32 v35, v0, v42
	v_add_nc_u32_e32 v40, 1, v42
	ds_read_u8 v41, v35 offset:1
; %bb.62:
	s_or_saveexec_b32 s5, s5
	v_mov_b32_e32 v35, v39
	v_mov_b32_e32 v38, v42
	s_xor_b32 exec_lo, exec_lo, s5
	s_cbranch_execz .LBB57_64
; %bb.63:
	v_add_nc_u32_e32 v35, v0, v37
	s_waitcnt lgkmcnt(0)
	v_add_nc_u32_e32 v41, 1, v37
	v_mov_b32_e32 v38, v37
	v_mov_b32_e32 v40, v42
	ds_read_u8 v43, v35 offset:1
	v_mov_b32_e32 v35, v36
	v_mov_b32_e32 v37, v41
	;; [unrolled: 1-line block ×3, first 2 shown]
	s_waitcnt lgkmcnt(0)
	v_mov_b32_e32 v36, v43
.LBB57_64:
	s_or_b32 exec_lo, exec_lo, s5
	v_cmp_lt_i32_e64 s5, 15, v40
	s_waitcnt lgkmcnt(0)
	v_cmp_lt_i16_sdwa s7, sext(v36), sext(v41) src0_sel:BYTE_0 src1_sel:BYTE_0
	v_perm_b32 v8, v8, v9, 0xc0c0004
	v_perm_b32 v9, v10, v11, 0xc0c0004
	;; [unrolled: 1-line block ×4, first 2 shown]
	v_cmp_gt_i32_e64 s6, 32, v37
	v_cndmask_b32_e32 v7, v12, v16, vcc_lo
	s_or_b32 s5, s5, s7
	v_lshl_or_b32 v6, v9, 16, v8
	v_lshl_or_b32 v5, v5, 16, v2
	v_cndmask_b32_e64 v20, v20, v21, s0
	v_cndmask_b32_e64 v24, v24, v25, s1
	s_and_b32 s5, s6, s5
	v_cndmask_b32_e64 v28, v28, v29, s2
	v_cndmask_b32_e64 v33, v33, v34, s4
	;; [unrolled: 1-line block ×4, first 2 shown]
	; wave barrier
	ds_write_b64 v1, v[5:6]
	v_add_nc_u32_e32 v1, v0, v7
	v_add_nc_u32_e32 v5, v0, v20
	;; [unrolled: 1-line block ×8, first 2 shown]
	; wave barrier
	ds_read_u8 v1, v1
	ds_read_u8 v5, v5
	;; [unrolled: 1-line block ×8, first 2 shown]
	v_cndmask_b32_e64 v2, v41, v36, s5
	v_cndmask_b32_e64 v11, v27, v30, s4
	v_cndmask_b32_e32 v4, v4, v13, vcc_lo
	v_cndmask_b32_e64 v12, v14, v15, s0
	v_cndmask_b32_e64 v13, v17, v18, s1
	;; [unrolled: 1-line block ×4, first 2 shown]
	s_add_u32 s0, s38, s40
	s_addc_u32 s1, s39, 0
	s_waitcnt lgkmcnt(7)
	v_add_nc_u16 v1, v1, v4
	s_waitcnt lgkmcnt(6)
	v_add_nc_u16 v4, v5, v12
	;; [unrolled: 2-line block ×8, first 2 shown]
	v_lshlrev_b16 v2, 8, v4
	v_lshlrev_b16 v4, 8, v6
	;; [unrolled: 1-line block ×4, first 2 shown]
	v_or_b32_sdwa v2, v1, v2 dst_sel:DWORD dst_unused:UNUSED_PAD src0_sel:BYTE_0 src1_sel:DWORD
	v_or_b32_sdwa v4, v5, v4 dst_sel:WORD_1 dst_unused:UNUSED_PAD src0_sel:BYTE_0 src1_sel:DWORD
	v_or_b32_sdwa v5, v7, v6 dst_sel:DWORD dst_unused:UNUSED_PAD src0_sel:BYTE_0 src1_sel:DWORD
	v_or_b32_sdwa v6, v9, v0 dst_sel:WORD_1 dst_unused:UNUSED_PAD src0_sel:BYTE_0 src1_sel:DWORD
	v_add_co_u32 v0, s0, s0, v3
	v_add_co_ci_u32_e64 v1, null, s1, 0, s0
	v_or_b32_sdwa v2, v2, v4 dst_sel:DWORD dst_unused:UNUSED_PAD src0_sel:WORD_0 src1_sel:DWORD
	v_or_b32_sdwa v3, v5, v6 dst_sel:DWORD dst_unused:UNUSED_PAD src0_sel:WORD_0 src1_sel:DWORD
	global_store_dwordx2 v[0:1], v[2:3], off
	s_endpgm
	.section	.rodata,"a",@progbits
	.p2align	6, 0x0
	.amdhsa_kernel _Z10sort_pairsILj256ELj4ELj8EaN10test_utils4lessEEvPKT2_PS2_T3_
		.amdhsa_group_segment_fixed_size 2112
		.amdhsa_private_segment_fixed_size 0
		.amdhsa_kernarg_size 20
		.amdhsa_user_sgpr_count 6
		.amdhsa_user_sgpr_private_segment_buffer 1
		.amdhsa_user_sgpr_dispatch_ptr 0
		.amdhsa_user_sgpr_queue_ptr 0
		.amdhsa_user_sgpr_kernarg_segment_ptr 1
		.amdhsa_user_sgpr_dispatch_id 0
		.amdhsa_user_sgpr_flat_scratch_init 0
		.amdhsa_user_sgpr_private_segment_size 0
		.amdhsa_wavefront_size32 1
		.amdhsa_uses_dynamic_stack 0
		.amdhsa_system_sgpr_private_segment_wavefront_offset 0
		.amdhsa_system_sgpr_workgroup_id_x 1
		.amdhsa_system_sgpr_workgroup_id_y 0
		.amdhsa_system_sgpr_workgroup_id_z 0
		.amdhsa_system_sgpr_workgroup_info 0
		.amdhsa_system_vgpr_workitem_id 0
		.amdhsa_next_free_vgpr 45
		.amdhsa_next_free_sgpr 41
		.amdhsa_reserve_vcc 1
		.amdhsa_reserve_flat_scratch 0
		.amdhsa_float_round_mode_32 0
		.amdhsa_float_round_mode_16_64 0
		.amdhsa_float_denorm_mode_32 3
		.amdhsa_float_denorm_mode_16_64 3
		.amdhsa_dx10_clamp 1
		.amdhsa_ieee_mode 1
		.amdhsa_fp16_overflow 0
		.amdhsa_workgroup_processor_mode 1
		.amdhsa_memory_ordered 1
		.amdhsa_forward_progress 1
		.amdhsa_shared_vgpr_count 0
		.amdhsa_exception_fp_ieee_invalid_op 0
		.amdhsa_exception_fp_denorm_src 0
		.amdhsa_exception_fp_ieee_div_zero 0
		.amdhsa_exception_fp_ieee_overflow 0
		.amdhsa_exception_fp_ieee_underflow 0
		.amdhsa_exception_fp_ieee_inexact 0
		.amdhsa_exception_int_div_zero 0
	.end_amdhsa_kernel
	.section	.text._Z10sort_pairsILj256ELj4ELj8EaN10test_utils4lessEEvPKT2_PS2_T3_,"axG",@progbits,_Z10sort_pairsILj256ELj4ELj8EaN10test_utils4lessEEvPKT2_PS2_T3_,comdat
.Lfunc_end57:
	.size	_Z10sort_pairsILj256ELj4ELj8EaN10test_utils4lessEEvPKT2_PS2_T3_, .Lfunc_end57-_Z10sort_pairsILj256ELj4ELj8EaN10test_utils4lessEEvPKT2_PS2_T3_
                                        ; -- End function
	.set _Z10sort_pairsILj256ELj4ELj8EaN10test_utils4lessEEvPKT2_PS2_T3_.num_vgpr, 45
	.set _Z10sort_pairsILj256ELj4ELj8EaN10test_utils4lessEEvPKT2_PS2_T3_.num_agpr, 0
	.set _Z10sort_pairsILj256ELj4ELj8EaN10test_utils4lessEEvPKT2_PS2_T3_.numbered_sgpr, 41
	.set _Z10sort_pairsILj256ELj4ELj8EaN10test_utils4lessEEvPKT2_PS2_T3_.num_named_barrier, 0
	.set _Z10sort_pairsILj256ELj4ELj8EaN10test_utils4lessEEvPKT2_PS2_T3_.private_seg_size, 0
	.set _Z10sort_pairsILj256ELj4ELj8EaN10test_utils4lessEEvPKT2_PS2_T3_.uses_vcc, 1
	.set _Z10sort_pairsILj256ELj4ELj8EaN10test_utils4lessEEvPKT2_PS2_T3_.uses_flat_scratch, 0
	.set _Z10sort_pairsILj256ELj4ELj8EaN10test_utils4lessEEvPKT2_PS2_T3_.has_dyn_sized_stack, 0
	.set _Z10sort_pairsILj256ELj4ELj8EaN10test_utils4lessEEvPKT2_PS2_T3_.has_recursion, 0
	.set _Z10sort_pairsILj256ELj4ELj8EaN10test_utils4lessEEvPKT2_PS2_T3_.has_indirect_call, 0
	.section	.AMDGPU.csdata,"",@progbits
; Kernel info:
; codeLenInByte = 5416
; TotalNumSgprs: 43
; NumVgprs: 45
; ScratchSize: 0
; MemoryBound: 0
; FloatMode: 240
; IeeeMode: 1
; LDSByteSize: 2112 bytes/workgroup (compile time only)
; SGPRBlocks: 0
; VGPRBlocks: 5
; NumSGPRsForWavesPerEU: 43
; NumVGPRsForWavesPerEU: 45
; Occupancy: 16
; WaveLimiterHint : 0
; COMPUTE_PGM_RSRC2:SCRATCH_EN: 0
; COMPUTE_PGM_RSRC2:USER_SGPR: 6
; COMPUTE_PGM_RSRC2:TRAP_HANDLER: 0
; COMPUTE_PGM_RSRC2:TGID_X_EN: 1
; COMPUTE_PGM_RSRC2:TGID_Y_EN: 0
; COMPUTE_PGM_RSRC2:TGID_Z_EN: 0
; COMPUTE_PGM_RSRC2:TIDIG_COMP_CNT: 0
	.section	.text._Z19sort_keys_segmentedILj256ELj4ELj8EaN10test_utils4lessEEvPKT2_PS2_PKjT3_,"axG",@progbits,_Z19sort_keys_segmentedILj256ELj4ELj8EaN10test_utils4lessEEvPKT2_PS2_PKjT3_,comdat
	.protected	_Z19sort_keys_segmentedILj256ELj4ELj8EaN10test_utils4lessEEvPKT2_PS2_PKjT3_ ; -- Begin function _Z19sort_keys_segmentedILj256ELj4ELj8EaN10test_utils4lessEEvPKT2_PS2_PKjT3_
	.globl	_Z19sort_keys_segmentedILj256ELj4ELj8EaN10test_utils4lessEEvPKT2_PS2_PKjT3_
	.p2align	8
	.type	_Z19sort_keys_segmentedILj256ELj4ELj8EaN10test_utils4lessEEvPKT2_PS2_PKjT3_,@function
_Z19sort_keys_segmentedILj256ELj4ELj8EaN10test_utils4lessEEvPKT2_PS2_PKjT3_: ; @_Z19sort_keys_segmentedILj256ELj4ELj8EaN10test_utils4lessEEvPKT2_PS2_PKjT3_
; %bb.0:
	s_clause 0x1
	s_load_dwordx2 s[0:1], s[4:5], 0x10
	s_load_dwordx4 s[16:19], s[4:5], 0x0
	v_lshrrev_b32_e32 v7, 2, v0
	v_mov_b32_e32 v1, 0
	v_mov_b32_e32 v9, 0
	;; [unrolled: 1-line block ×4, first 2 shown]
	v_lshl_or_b32 v0, s6, 6, v7
	v_mov_b32_e32 v12, 0
	v_mov_b32_e32 v10, 0
	v_lshlrev_b64 v[2:3], 2, v[0:1]
	v_lshlrev_b32_e32 v4, 5, v0
	v_mov_b32_e32 v0, 0
	s_waitcnt lgkmcnt(0)
	v_add_co_u32 v2, vcc_lo, s0, v2
	v_add_co_ci_u32_e64 v3, null, s1, v3, vcc_lo
	global_load_dword v6, v[2:3], off
	v_mbcnt_lo_u32_b32 v2, -1, 0
	v_lshlrev_b32_e32 v8, 3, v2
	v_add_co_u32 v2, s0, s16, v4
	v_add_co_ci_u32_e64 v3, null, s17, 0, s0
	v_and_b32_e32 v5, 24, v8
	v_add_co_u32 v2, vcc_lo, v2, v5
	v_add_co_ci_u32_e64 v3, null, 0, v3, vcc_lo
	s_waitcnt vmcnt(0)
	v_cmp_lt_u32_e64 s0, v5, v6
	s_and_saveexec_b32 s1, s0
	s_cbranch_execz .LBB58_2
; %bb.1:
	global_load_ubyte v9, v[2:3], off
	v_mov_b32_e32 v13, 0
	v_mov_b32_e32 v11, 0
	;; [unrolled: 1-line block ×5, first 2 shown]
.LBB58_2:
	s_or_b32 exec_lo, exec_lo, s1
	v_or_b32_e32 v14, 1, v5
	v_mov_b32_e32 v15, v1
	v_cmp_lt_u32_e64 s1, v14, v6
	s_and_saveexec_b32 s2, s1
	s_cbranch_execz .LBB58_4
; %bb.3:
	global_load_ubyte v15, v[2:3], off offset:1
.LBB58_4:
	s_or_b32 exec_lo, exec_lo, s2
	v_or_b32_e32 v16, 2, v5
	v_cmp_lt_u32_e64 s2, v16, v6
	s_and_saveexec_b32 s3, s2
	s_cbranch_execz .LBB58_6
; %bb.5:
	global_load_ubyte v1, v[2:3], off offset:2
.LBB58_6:
	s_or_b32 exec_lo, exec_lo, s3
	v_or_b32_e32 v17, 3, v5
	;; [unrolled: 8-line block ×6, first 2 shown]
	v_cmp_lt_u32_e64 s7, v21, v6
	s_and_saveexec_b32 s8, s7
	s_cbranch_execz .LBB58_16
; %bb.15:
	global_load_ubyte v10, v[2:3], off offset:7
.LBB58_16:
	s_or_b32 exec_lo, exec_lo, s8
	s_waitcnt vmcnt(0)
	v_perm_b32 v1, v1, v13, 0xc0c0004
	v_mov_b32_e32 v2, 0x7f00
	v_perm_b32 v3, v9, v15, 0xc0c0004
	v_cmp_lt_i32_e32 vcc_lo, v14, v6
	v_perm_b32 v11, v11, v12, 0xc0c0004
	v_lshlrev_b32_e32 v1, 16, v1
	v_or_b32_sdwa v9, v9, v2 dst_sel:DWORD dst_unused:UNUSED_PAD src0_sel:BYTE_0 src1_sel:DWORD
	v_mov_b32_e32 v12, 0x7f
	v_perm_b32 v0, v0, v10, 0xc0c0004
	v_and_b32_e32 v14, 0xffffff00, v11
	v_or_b32_e32 v13, v3, v1
	v_or_b32_sdwa v1, v9, v1 dst_sel:DWORD dst_unused:UNUSED_PAD src0_sel:WORD_0 src1_sel:DWORD
	v_mov_b32_e32 v9, 0xffffff00
	v_lshl_or_b32 v0, v0, 16, v11
	v_or_b32_e32 v10, 0x7f, v14
	v_cmp_lt_i32_e64 s8, v17, v6
	v_cndmask_b32_e32 v1, v1, v13, vcc_lo
	v_cmp_lt_i32_e32 vcc_lo, v16, v6
	s_mov_b32 s9, exec_lo
	v_and_b32_e32 v10, 0xffff, v10
	v_and_b32_sdwa v3, v1, v9 dst_sel:DWORD dst_unused:UNUSED_PAD src0_sel:WORD_1 src1_sel:DWORD
	v_and_or_b32 v10, 0xffff0000, v0, v10
	v_or_b32_sdwa v3, v3, v12 dst_sel:WORD_1 dst_unused:UNUSED_PAD src0_sel:DWORD src1_sel:DWORD
	v_and_or_b32 v1, 0xffff, v1, v3
	v_mov_b32_e32 v3, 0xff
	v_cndmask_b32_e32 v1, v1, v13, vcc_lo
	v_cmp_lt_i32_e32 vcc_lo, v18, v6
	v_and_b32_sdwa v11, v1, v3 dst_sel:DWORD dst_unused:UNUSED_PAD src0_sel:WORD_1 src1_sel:DWORD
	v_cndmask_b32_e32 v10, v10, v0, vcc_lo
	v_or_b32_sdwa v11, v11, v2 dst_sel:WORD_1 dst_unused:UNUSED_PAD src0_sel:DWORD src1_sel:DWORD
	v_or_b32_sdwa v14, v10, v2 dst_sel:DWORD dst_unused:UNUSED_PAD src0_sel:BYTE_0 src1_sel:DWORD
	v_and_or_b32 v1, 0xffff, v1, v11
	v_and_b32_e32 v11, 0xffff, v14
	v_cndmask_b32_e64 v1, v1, v13, s8
	v_and_or_b32 v10, 0xffff0000, v10, v11
	v_cmp_lt_i32_e64 s8, v21, v6
	v_cndmask_b32_e32 v1, v1, v13, vcc_lo
	v_cmp_lt_i32_e32 vcc_lo, v19, v6
	v_cndmask_b32_e32 v11, v1, v13, vcc_lo
	v_cndmask_b32_e32 v1, v10, v0, vcc_lo
	v_cmp_lt_i32_e32 vcc_lo, v20, v6
	v_and_b32_sdwa v9, v1, v9 dst_sel:DWORD dst_unused:UNUSED_PAD src0_sel:WORD_1 src1_sel:DWORD
	v_or_b32_sdwa v9, v9, v12 dst_sel:WORD_1 dst_unused:UNUSED_PAD src0_sel:DWORD src1_sel:DWORD
	v_and_or_b32 v1, 0xffff, v1, v9
	v_cndmask_b32_e32 v1, v1, v0, vcc_lo
	v_cndmask_b32_e32 v0, v11, v13, vcc_lo
	v_cmpx_ge_i32_e64 v21, v6
; %bb.17:
	v_and_b32_sdwa v3, v1, v3 dst_sel:DWORD dst_unused:UNUSED_PAD src0_sel:WORD_1 src1_sel:DWORD
	v_cmp_lt_i32_e32 vcc_lo, v5, v6
	s_andn2_b32 s8, s8, exec_lo
	v_or_b32_sdwa v2, v3, v2 dst_sel:WORD_1 dst_unused:UNUSED_PAD src0_sel:DWORD src1_sel:DWORD
	s_and_b32 s10, vcc_lo, exec_lo
	s_or_b32 s8, s8, s10
	v_and_or_b32 v1, 0xffff, v1, v2
; %bb.18:
	s_or_b32 exec_lo, exec_lo, s9
	s_and_saveexec_b32 s10, s8
	s_cbranch_execz .LBB58_22
; %bb.19:
	v_lshrrev_b32_e32 v2, 8, v0
	v_perm_b32 v3, 0, v0, 0xc0c0001
	v_bfe_i32 v9, v0, 0, 8
	v_bfe_i32 v16, v1, 0, 8
	v_perm_b32 v17, v1, v1, 0x7060405
	v_bfe_i32 v10, v2, 0, 8
	v_and_or_b32 v2, 0xffff0000, v0, v3
	v_mov_b32_e32 v18, 0xff
	v_cmp_lt_i16_e32 vcc_lo, v10, v9
	v_max_i16 v14, v10, v9
	v_min_i16 v9, v10, v9
	v_cndmask_b32_e32 v0, v0, v2, vcc_lo
	v_lshrrev_b32_e32 v2, 16, v0
	v_lshrrev_b32_e32 v3, 24, v0
	v_perm_b32 v11, 0, v2, 0xc0c0001
	v_bfe_i32 v3, v3, 0, 8
	v_bfe_i32 v12, v2, 0, 8
	v_lshlrev_b32_e32 v2, 16, v11
	v_min_i16 v11, v3, v12
	v_cmp_lt_i16_e32 vcc_lo, v3, v12
	v_max_i16 v3, v3, v12
	v_and_or_b32 v2, 0xffff, v0, v2
	v_lshlrev_b16 v13, 8, v11
	v_min_i16 v20, v11, v14
	v_cndmask_b32_e32 v0, v0, v2, vcc_lo
	v_cmp_lt_i16_e32 vcc_lo, v11, v14
	v_or_b32_sdwa v2, v0, v13 dst_sel:DWORD dst_unused:UNUSED_PAD src0_sel:BYTE_0 src1_sel:DWORD
	v_lshrrev_b32_e32 v13, 8, v1
	v_perm_b32 v15, v14, v0, 0xc0c0304
	v_max_i16 v14, v11, v14
	v_and_b32_e32 v2, 0xffff, v2
	v_bfe_i32 v13, v13, 0, 8
	v_lshl_or_b32 v15, v15, 16, v2
	v_min_i16 v19, v13, v16
	v_max_i16 v10, v13, v16
	v_mov_b32_e32 v2, 0xffffff00
	v_cndmask_b32_e32 v0, v0, v15, vcc_lo
	v_cmp_lt_i16_e32 vcc_lo, v13, v16
	v_lshlrev_b16 v13, 8, v19
	v_and_b32_sdwa v15, v0, v18 dst_sel:DWORD dst_unused:UNUSED_PAD src0_sel:WORD_1 src1_sel:DWORD
	v_cndmask_b32_e32 v1, v1, v17, vcc_lo
	v_lshlrev_b16 v17, 8, v9
	v_cmp_lt_i16_e32 vcc_lo, v19, v3
	v_or_b32_sdwa v13, v15, v13 dst_sel:WORD_1 dst_unused:UNUSED_PAD src0_sel:DWORD src1_sel:DWORD
	v_lshrrev_b32_e32 v16, 24, v1
	v_lshrrev_b32_e32 v21, 16, v1
	v_or_b32_sdwa v17, v20, v17 dst_sel:DWORD dst_unused:UNUSED_PAD src0_sel:BYTE_0 src1_sel:DWORD
	v_perm_b32 v15, v1, v1, 0x6070504
	v_and_or_b32 v12, 0xffff, v0, v13
	v_bfe_i32 v16, v16, 0, 8
	v_bfe_i32 v13, v21, 0, 8
	v_and_b32_e32 v17, 0xffff, v17
	v_lshlrev_b16 v21, 8, v14
	v_cndmask_b32_e32 v0, v0, v12, vcc_lo
	v_min_i16 v12, v19, v3
	v_cmp_lt_i16_e64 s8, v16, v13
	v_cmp_lt_i16_e64 s9, v12, v14
	v_cndmask_b32_e64 v1, v1, v15, s8
	v_and_or_b32 v15, 0xffff0000, v0, v17
	v_cmp_lt_i16_e64 s8, v11, v9
	v_max_i16 v17, v16, v13
	v_min_i16 v13, v16, v13
	v_or_b32_sdwa v16, v12, v21 dst_sel:WORD_1 dst_unused:UNUSED_PAD src0_sel:BYTE_0 src1_sel:DWORD
	v_perm_b32 v11, v3, v1, 0x3020104
	v_cndmask_b32_e64 v0, v0, v15, s8
	v_min_i16 v15, v12, v14
	v_max_i16 v3, v19, v3
	v_cndmask_b32_e64 v24, v20, v9, s8
	v_cndmask_b32_e32 v1, v1, v11, vcc_lo
	v_and_or_b32 v16, 0xffff, v0, v16
	v_lshlrev_b16 v23, 8, v15
	v_lshlrev_b16 v19, 8, v13
	v_min_i16 v22, v13, v10
	v_and_b32_sdwa v27, v1, v2 dst_sel:DWORD dst_unused:UNUSED_PAD src0_sel:WORD_1 src1_sel:DWORD
	v_cndmask_b32_e64 v0, v0, v16, s9
	v_lshlrev_b16 v16, 8, v3
	v_or_b32_sdwa v19, v1, v19 dst_sel:DWORD dst_unused:UNUSED_PAD src0_sel:BYTE_0 src1_sel:DWORD
	v_cmp_lt_i16_e32 vcc_lo, v15, v24
	v_or_b32_sdwa v27, v10, v27 dst_sel:WORD_1 dst_unused:UNUSED_PAD src0_sel:BYTE_0 src1_sel:DWORD
	v_or_b32_sdwa v23, v0, v23 dst_sel:DWORD dst_unused:UNUSED_PAD src0_sel:BYTE_0 src1_sel:DWORD
	v_perm_b32 v11, v24, v0, 0xc0c0304
	v_or_b32_sdwa v16, v22, v16 dst_sel:DWORD dst_unused:UNUSED_PAD src0_sel:BYTE_0 src1_sel:DWORD
	v_min_i16 v25, v22, v3
	v_max_i16 v21, v13, v10
	v_and_b32_e32 v23, 0xffff, v23
	v_cndmask_b32_e64 v9, v9, v20, s8
	v_max_i16 v12, v12, v14
	v_lshlrev_b16 v28, 8, v25
	v_lshlrev_b16 v26, 8, v21
	v_lshl_or_b32 v11, v11, 16, v23
	v_cmp_gt_i16_e64 s8, v10, v17
	v_max_i16 v14, v22, v3
	v_max_i16 v23, v25, v12
	v_or_b32_sdwa v26, v17, v26 dst_sel:WORD_1 dst_unused:UNUSED_PAD src0_sel:BYTE_0 src1_sel:DWORD
	v_cndmask_b32_e32 v0, v0, v11, vcc_lo
	v_and_b32_e32 v11, 0xffff, v16
	v_or_b32_sdwa v16, v19, v27 dst_sel:DWORD dst_unused:UNUSED_PAD src0_sel:WORD_0 src1_sel:DWORD
	v_cmp_lt_i16_e32 vcc_lo, v13, v10
	v_min_i16 v19, v15, v24
	v_and_b32_sdwa v20, v0, v18 dst_sel:DWORD dst_unused:UNUSED_PAD src0_sel:WORD_1 src1_sel:DWORD
	v_lshlrev_b16 v27, 8, v9
	v_max_i16 v15, v15, v24
	v_cndmask_b32_e32 v1, v1, v16, vcc_lo
	v_cmp_lt_i16_e32 vcc_lo, v22, v3
	v_or_b32_sdwa v16, v20, v28 dst_sel:WORD_1 dst_unused:UNUSED_PAD src0_sel:DWORD src1_sel:DWORD
	v_or_b32_sdwa v20, v19, v27 dst_sel:DWORD dst_unused:UNUSED_PAD src0_sel:BYTE_0 src1_sel:DWORD
	v_min_i16 v13, v25, v12
	v_and_or_b32 v11, 0xffff0000, v1, v11
	v_lshlrev_b16 v3, 8, v15
	v_and_or_b32 v16, 0xffff, v0, v16
	v_and_b32_e32 v20, 0xffff, v20
	v_cmp_lt_i16_e64 s9, v19, v9
	v_cndmask_b32_e32 v1, v1, v11, vcc_lo
	v_cmp_lt_i16_e32 vcc_lo, v25, v12
	v_or_b32_sdwa v3, v13, v3 dst_sel:WORD_1 dst_unused:UNUSED_PAD src0_sel:BYTE_0 src1_sel:DWORD
	v_min_i16 v22, v13, v15
	v_lshlrev_b16 v27, 8, v23
	v_max_i16 v11, v19, v9
	v_cndmask_b32_e32 v0, v0, v16, vcc_lo
	v_and_or_b32 v16, 0xffff, v1, v26
	v_lshlrev_b16 v10, 8, v22
	v_min_i16 v9, v19, v9
	v_min_i16 v19, v22, v11
	v_and_or_b32 v20, 0xffff0000, v0, v20
	v_cndmask_b32_e64 v1, v1, v16, s8
	v_max_i16 v16, v22, v11
	v_cndmask_b32_e64 v0, v0, v20, s9
	v_perm_b32 v12, v12, v1, 0x3020104
	v_cndmask_b32_e64 v20, v21, v17, s8
	v_cndmask_b32_e64 v17, v17, v21, s8
	v_and_or_b32 v3, 0xffff, v0, v3
	v_cndmask_b32_e32 v1, v1, v12, vcc_lo
	v_cmp_lt_i16_e32 vcc_lo, v13, v15
	v_lshlrev_b16 v12, 8, v20
	v_min_i16 v21, v20, v14
	v_and_b32_sdwa v24, v1, v2 dst_sel:DWORD dst_unused:UNUSED_PAD src0_sel:WORD_1 src1_sel:DWORD
	v_cndmask_b32_e32 v0, v0, v3, vcc_lo
	v_or_b32_sdwa v12, v1, v12 dst_sel:DWORD dst_unused:UNUSED_PAD src0_sel:BYTE_0 src1_sel:DWORD
	v_or_b32_sdwa v26, v21, v27 dst_sel:DWORD dst_unused:UNUSED_PAD src0_sel:BYTE_0 src1_sel:DWORD
	v_cmp_lt_i16_e32 vcc_lo, v20, v14
	v_or_b32_sdwa v24, v14, v24 dst_sel:WORD_1 dst_unused:UNUSED_PAD src0_sel:BYTE_0 src1_sel:DWORD
	v_or_b32_sdwa v10, v0, v10 dst_sel:DWORD dst_unused:UNUSED_PAD src0_sel:BYTE_0 src1_sel:DWORD
	v_perm_b32 v25, v11, v0, 0xc0c0304
	v_max_i16 v27, v20, v14
	v_lshlrev_b16 v3, 8, v9
	v_or_b32_sdwa v12, v12, v24 dst_sel:DWORD dst_unused:UNUSED_PAD src0_sel:WORD_0 src1_sel:DWORD
	v_and_b32_e32 v10, 0xffff, v10
	v_min_i16 v24, v21, v23
	v_or_b32_sdwa v3, v19, v3 dst_sel:DWORD dst_unused:UNUSED_PAD src0_sel:BYTE_0 src1_sel:DWORD
	v_cndmask_b32_e32 v1, v1, v12, vcc_lo
	v_lshl_or_b32 v10, v25, 16, v10
	v_and_b32_e32 v25, 0xffff, v26
	v_cmp_lt_i16_e32 vcc_lo, v22, v11
	v_lshlrev_b16 v12, 8, v24
	v_and_b32_e32 v3, 0xffff, v3
	v_and_or_b32 v11, 0xffff0000, v1, v25
	v_cndmask_b32_e32 v0, v0, v10, vcc_lo
	v_lshlrev_b16 v10, 8, v27
	v_cmp_lt_i16_e32 vcc_lo, v21, v23
	v_and_b32_sdwa v14, v0, v18 dst_sel:DWORD dst_unused:UNUSED_PAD src0_sel:WORD_1 src1_sel:DWORD
	v_or_b32_sdwa v10, v17, v10 dst_sel:WORD_1 dst_unused:UNUSED_PAD src0_sel:BYTE_0 src1_sel:DWORD
	v_cndmask_b32_e32 v1, v1, v11, vcc_lo
	v_max_i16 v11, v13, v15
	v_cmp_lt_i16_e32 vcc_lo, v17, v27
	v_or_b32_sdwa v12, v14, v12 dst_sel:WORD_1 dst_unused:UNUSED_PAD src0_sel:DWORD src1_sel:DWORD
	v_max_i16 v15, v17, v27
	v_and_or_b32 v10, 0xffff, v1, v10
	v_lshlrev_b16 v13, 8, v16
	v_max_i16 v14, v21, v23
	v_and_or_b32 v12, 0xffff, v0, v12
	v_cndmask_b32_e32 v1, v1, v10, vcc_lo
	v_cmp_lt_i16_e32 vcc_lo, v24, v11
	v_min_i16 v10, v17, v27
	v_perm_b32 v17, v11, v1, 0x3020104
	v_cndmask_b32_e32 v0, v0, v12, vcc_lo
	v_min_i16 v12, v24, v11
	v_max_i16 v11, v24, v11
	v_lshlrev_b16 v20, 8, v10
	v_cndmask_b32_e32 v1, v1, v17, vcc_lo
	v_and_or_b32 v3, 0xffff0000, v0, v3
	v_cmp_lt_i16_e32 vcc_lo, v22, v9
	v_or_b32_sdwa v13, v12, v13 dst_sel:WORD_1 dst_unused:UNUSED_PAD src0_sel:BYTE_0 src1_sel:DWORD
	v_min_i16 v17, v10, v14
	v_and_b32_sdwa v21, v1, v2 dst_sel:DWORD dst_unused:UNUSED_PAD src0_sel:WORD_1 src1_sel:DWORD
	v_lshlrev_b16 v22, 8, v11
	v_cndmask_b32_e32 v0, v0, v3, vcc_lo
	v_min_i16 v3, v12, v16
	v_or_b32_sdwa v20, v1, v20 dst_sel:DWORD dst_unused:UNUSED_PAD src0_sel:BYTE_0 src1_sel:DWORD
	v_or_b32_sdwa v21, v14, v21 dst_sel:WORD_1 dst_unused:UNUSED_PAD src0_sel:BYTE_0 src1_sel:DWORD
	v_cmp_lt_i16_e64 s8, v12, v16
	v_and_or_b32 v13, 0xffff, v0, v13
	v_lshlrev_b16 v23, 8, v3
	v_cndmask_b32_e32 v9, v19, v9, vcc_lo
	v_or_b32_sdwa v20, v20, v21 dst_sel:DWORD dst_unused:UNUSED_PAD src0_sel:WORD_0 src1_sel:DWORD
	v_cmp_lt_i16_e32 vcc_lo, v10, v14
	v_cndmask_b32_e64 v0, v0, v13, s8
	v_or_b32_sdwa v13, v17, v22 dst_sel:DWORD dst_unused:UNUSED_PAD src0_sel:BYTE_0 src1_sel:DWORD
	v_max_i16 v22, v10, v14
	v_min_i16 v21, v17, v11
	v_cndmask_b32_e32 v1, v1, v20, vcc_lo
	v_or_b32_sdwa v19, v0, v23 dst_sel:DWORD dst_unused:UNUSED_PAD src0_sel:BYTE_0 src1_sel:DWORD
	v_and_b32_e32 v13, 0xffff, v13
	v_perm_b32 v10, v9, v0, 0xc0c0304
	v_cmp_lt_i16_e32 vcc_lo, v17, v11
	v_lshlrev_b16 v20, 8, v22
	v_and_b32_e32 v19, 0xffff, v19
	v_and_or_b32 v13, 0xffff0000, v1, v13
	v_max_i16 v12, v12, v16
	v_lshl_or_b32 v10, v10, 16, v19
	v_cndmask_b32_e32 v1, v1, v13, vcc_lo
	v_cmp_lt_i16_e32 vcc_lo, v3, v9
	v_or_b32_sdwa v19, v15, v20 dst_sel:WORD_1 dst_unused:UNUSED_PAD src0_sel:BYTE_0 src1_sel:DWORD
	v_lshlrev_b16 v3, 8, v21
	v_cmp_lt_i16_e64 s8, v21, v12
	v_cndmask_b32_e32 v0, v0, v10, vcc_lo
	v_and_or_b32 v9, 0xffff, v1, v19
	v_cmp_gt_i16_e32 vcc_lo, v14, v15
	v_and_b32_sdwa v10, v0, v18 dst_sel:DWORD dst_unused:UNUSED_PAD src0_sel:WORD_1 src1_sel:DWORD
	v_cndmask_b32_e32 v1, v1, v9, vcc_lo
	v_or_b32_sdwa v9, v10, v3 dst_sel:WORD_1 dst_unused:UNUSED_PAD src0_sel:DWORD src1_sel:DWORD
	v_max_i16 v3, v17, v11
	v_perm_b32 v10, v12, v1, 0x3020104
	v_and_or_b32 v11, 0xffff, v0, v9
	v_cndmask_b32_e32 v9, v22, v15, vcc_lo
	v_cndmask_b32_e64 v1, v1, v10, s8
	v_cndmask_b32_e64 v0, v0, v11, s8
	s_mov_b32 s8, exec_lo
	v_cmpx_lt_i16_e64 v9, v3
; %bb.20:
	v_and_b32_sdwa v2, v1, v2 dst_sel:DWORD dst_unused:UNUSED_PAD src0_sel:WORD_1 src1_sel:DWORD
	v_lshlrev_b16 v9, 8, v9
	v_or_b32_sdwa v2, v3, v2 dst_sel:WORD_1 dst_unused:UNUSED_PAD src0_sel:BYTE_0 src1_sel:DWORD
	v_or_b32_sdwa v1, v1, v9 dst_sel:DWORD dst_unused:UNUSED_PAD src0_sel:BYTE_0 src1_sel:DWORD
	v_or_b32_sdwa v1, v1, v2 dst_sel:DWORD dst_unused:UNUSED_PAD src0_sel:WORD_0 src1_sel:DWORD
; %bb.21:
	s_or_b32 exec_lo, exec_lo, s8
.LBB58_22:
	s_or_b32 exec_lo, exec_lo, s10
	v_and_b32_e32 v2, 16, v8
	v_and_b32_e32 v10, 8, v8
	v_mad_u32_u24 v13, v7, 33, v5
	s_mov_b32 s9, 0
	s_mov_b32 s8, exec_lo
	v_min_i32_e32 v3, v6, v2
	v_min_i32_e32 v10, v6, v10
	; wave barrier
	ds_write_b64 v13, v[0:1]
	v_add_nc_u32_e32 v2, 8, v3
	; wave barrier
	v_min_i32_e32 v9, v6, v2
	v_add_nc_u32_e32 v2, 8, v9
	v_sub_nc_u32_e32 v12, v9, v3
	v_min_i32_e32 v8, v6, v2
	v_min_i32_e32 v12, v10, v12
	v_sub_nc_u32_e32 v2, v8, v9
	v_sub_nc_u32_e32 v11, v10, v2
	v_cmp_ge_i32_e32 vcc_lo, v10, v2
	v_mul_u32_u24_e32 v2, 33, v7
	v_cndmask_b32_e32 v11, 0, v11, vcc_lo
	v_cmpx_lt_i32_e64 v11, v12
	s_cbranch_execz .LBB58_26
; %bb.23:
	v_add_nc_u32_e32 v0, v2, v3
	v_add3_u32 v1, v2, v9, v10
	.p2align	6
.LBB58_24:                              ; =>This Inner Loop Header: Depth=1
	v_sub_nc_u32_e32 v7, v12, v11
	v_lshrrev_b32_e32 v7, 1, v7
	v_add_nc_u32_e32 v7, v7, v11
	v_add_nc_u32_e32 v13, v0, v7
	v_xad_u32 v14, v7, -1, v1
	v_add_nc_u32_e32 v15, 1, v7
	ds_read_i8 v13, v13
	ds_read_i8 v14, v14
	s_waitcnt lgkmcnt(0)
	v_cmp_lt_i16_e32 vcc_lo, v14, v13
	v_cndmask_b32_e32 v12, v12, v7, vcc_lo
	v_cndmask_b32_e32 v11, v15, v11, vcc_lo
	v_cmp_ge_i32_e32 vcc_lo, v11, v12
	s_or_b32 s9, vcc_lo, s9
	s_andn2_b32 exec_lo, exec_lo, s9
	s_cbranch_execnz .LBB58_24
; %bb.25:
	s_or_b32 exec_lo, exec_lo, s9
.LBB58_26:
	s_or_b32 exec_lo, exec_lo, s8
	v_add_nc_u32_e32 v0, v9, v10
	v_add_nc_u32_e32 v3, v11, v3
                                        ; implicit-def: $vgpr7
	v_sub_nc_u32_e32 v11, v0, v11
	v_add_nc_u32_e32 v10, v2, v3
	v_cmp_le_i32_e32 vcc_lo, v9, v3
	v_add_nc_u32_e32 v12, v2, v11
	v_cmp_gt_i32_e64 s9, v8, v11
	ds_read_u8 v0, v10
	ds_read_u8 v1, v12
	s_waitcnt lgkmcnt(1)
	v_bfe_i32 v0, v0, 0, 8
	s_waitcnt lgkmcnt(0)
	v_bfe_i32 v1, v1, 0, 8
	v_cmp_lt_i16_e64 s8, v1, v0
	s_or_b32 s8, vcc_lo, s8
	s_and_b32 s8, s9, s8
	s_xor_b32 s9, s8, -1
	s_and_saveexec_b32 s10, s9
	s_xor_b32 s9, exec_lo, s10
; %bb.27:
	ds_read_u8 v7, v10 offset:1
                                        ; implicit-def: $vgpr12
; %bb.28:
	s_or_saveexec_b32 s9, s9
	v_mov_b32_e32 v10, v1
	s_xor_b32 exec_lo, exec_lo, s9
	s_cbranch_execz .LBB58_30
; %bb.29:
	ds_read_u8 v10, v12 offset:1
	s_waitcnt lgkmcnt(1)
	v_mov_b32_e32 v7, v0
.LBB58_30:
	s_or_b32 exec_lo, exec_lo, s9
	v_add_nc_u32_e32 v12, 1, v3
	v_add_nc_u32_e32 v14, 1, v11
	s_waitcnt lgkmcnt(0)
	v_cmp_lt_i16_sdwa s10, sext(v10), sext(v7) src0_sel:BYTE_0 src1_sel:BYTE_0
	v_cndmask_b32_e64 v13, v12, v3, s8
	v_cndmask_b32_e64 v3, v11, v14, s8
                                        ; implicit-def: $vgpr11
	v_cmp_ge_i32_e32 vcc_lo, v13, v9
	v_cmp_lt_i32_e64 s9, v3, v8
	s_or_b32 s10, vcc_lo, s10
	s_and_b32 s9, s9, s10
	s_xor_b32 s10, s9, -1
	s_and_saveexec_b32 s11, s10
	s_xor_b32 s10, exec_lo, s11
; %bb.31:
	v_add_nc_u32_e32 v11, v2, v13
	ds_read_u8 v11, v11 offset:1
; %bb.32:
	s_or_saveexec_b32 s10, s10
	v_mov_b32_e32 v12, v10
	s_xor_b32 exec_lo, exec_lo, s10
	s_cbranch_execz .LBB58_34
; %bb.33:
	s_waitcnt lgkmcnt(0)
	v_add_nc_u32_e32 v11, v2, v3
	ds_read_u8 v12, v11 offset:1
	v_mov_b32_e32 v11, v7
.LBB58_34:
	s_or_b32 exec_lo, exec_lo, s10
	v_add_nc_u32_e32 v14, 1, v13
	v_add_nc_u32_e32 v16, 1, v3
	s_waitcnt lgkmcnt(0)
	v_cmp_lt_i16_sdwa s11, sext(v12), sext(v11) src0_sel:BYTE_0 src1_sel:BYTE_0
	v_cndmask_b32_e64 v15, v14, v13, s9
	v_cndmask_b32_e64 v14, v3, v16, s9
                                        ; implicit-def: $vgpr3
	v_cmp_ge_i32_e32 vcc_lo, v15, v9
	v_cmp_lt_i32_e64 s10, v14, v8
	s_or_b32 s11, vcc_lo, s11
	s_and_b32 s10, s10, s11
	s_xor_b32 s11, s10, -1
	s_and_saveexec_b32 s12, s11
	s_xor_b32 s11, exec_lo, s12
; %bb.35:
	v_add_nc_u32_e32 v3, v2, v15
	ds_read_u8 v3, v3 offset:1
; %bb.36:
	s_or_saveexec_b32 s11, s11
	v_mov_b32_e32 v13, v12
	s_xor_b32 exec_lo, exec_lo, s11
	s_cbranch_execz .LBB58_38
; %bb.37:
	s_waitcnt lgkmcnt(0)
	v_add_nc_u32_e32 v3, v2, v14
	ds_read_u8 v13, v3 offset:1
	v_mov_b32_e32 v3, v11
.LBB58_38:
	s_or_b32 exec_lo, exec_lo, s11
	v_add_nc_u32_e32 v16, 1, v15
	v_add_nc_u32_e32 v18, 1, v14
	s_waitcnt lgkmcnt(0)
	v_cmp_lt_i16_sdwa s12, sext(v13), sext(v3) src0_sel:BYTE_0 src1_sel:BYTE_0
	v_cndmask_b32_e64 v17, v16, v15, s10
	v_cndmask_b32_e64 v16, v14, v18, s10
                                        ; implicit-def: $vgpr14
	v_cmp_ge_i32_e32 vcc_lo, v17, v9
	v_cmp_lt_i32_e64 s11, v16, v8
	s_or_b32 s12, vcc_lo, s12
	s_and_b32 s11, s11, s12
	s_xor_b32 s12, s11, -1
	s_and_saveexec_b32 s13, s12
	s_xor_b32 s12, exec_lo, s13
; %bb.39:
	v_add_nc_u32_e32 v14, v2, v17
	ds_read_u8 v14, v14 offset:1
; %bb.40:
	s_or_saveexec_b32 s12, s12
	v_mov_b32_e32 v15, v13
	s_xor_b32 exec_lo, exec_lo, s12
	s_cbranch_execz .LBB58_42
; %bb.41:
	s_waitcnt lgkmcnt(0)
	v_add_nc_u32_e32 v14, v2, v16
	ds_read_u8 v15, v14 offset:1
	v_mov_b32_e32 v14, v3
.LBB58_42:
	s_or_b32 exec_lo, exec_lo, s12
	v_add_nc_u32_e32 v18, 1, v17
	v_add_nc_u32_e32 v20, 1, v16
	s_waitcnt lgkmcnt(0)
	v_cmp_lt_i16_sdwa s13, sext(v15), sext(v14) src0_sel:BYTE_0 src1_sel:BYTE_0
	v_cndmask_b32_e64 v19, v18, v17, s11
	v_cndmask_b32_e64 v18, v16, v20, s11
                                        ; implicit-def: $vgpr16
	v_cmp_ge_i32_e32 vcc_lo, v19, v9
	v_cmp_lt_i32_e64 s12, v18, v8
	s_or_b32 s13, vcc_lo, s13
	s_and_b32 s12, s12, s13
	s_xor_b32 s13, s12, -1
	s_and_saveexec_b32 s14, s13
	s_xor_b32 s13, exec_lo, s14
; %bb.43:
	v_add_nc_u32_e32 v16, v2, v19
	ds_read_u8 v16, v16 offset:1
; %bb.44:
	s_or_saveexec_b32 s13, s13
	v_mov_b32_e32 v17, v15
	s_xor_b32 exec_lo, exec_lo, s13
	s_cbranch_execz .LBB58_46
; %bb.45:
	s_waitcnt lgkmcnt(0)
	v_add_nc_u32_e32 v16, v2, v18
	ds_read_u8 v17, v16 offset:1
	v_mov_b32_e32 v16, v14
.LBB58_46:
	s_or_b32 exec_lo, exec_lo, s13
	v_add_nc_u32_e32 v20, 1, v19
	v_add_nc_u32_e32 v22, 1, v18
	s_waitcnt lgkmcnt(0)
	v_cmp_lt_i16_sdwa s14, sext(v17), sext(v16) src0_sel:BYTE_0 src1_sel:BYTE_0
	v_cndmask_b32_e64 v21, v20, v19, s12
	v_cndmask_b32_e64 v19, v18, v22, s12
                                        ; implicit-def: $vgpr18
	v_cmp_ge_i32_e32 vcc_lo, v21, v9
	v_cmp_lt_i32_e64 s13, v19, v8
	s_or_b32 s14, vcc_lo, s14
	s_and_b32 vcc_lo, s13, s14
	s_xor_b32 s13, vcc_lo, -1
	s_and_saveexec_b32 s14, s13
	s_xor_b32 s13, exec_lo, s14
; %bb.47:
	v_add_nc_u32_e32 v18, v2, v21
	ds_read_u8 v18, v18 offset:1
; %bb.48:
	s_or_saveexec_b32 s13, s13
	v_mov_b32_e32 v20, v17
	s_xor_b32 exec_lo, exec_lo, s13
	s_cbranch_execz .LBB58_50
; %bb.49:
	s_waitcnt lgkmcnt(0)
	v_add_nc_u32_e32 v18, v2, v19
	ds_read_u8 v20, v18 offset:1
	v_mov_b32_e32 v18, v16
.LBB58_50:
	s_or_b32 exec_lo, exec_lo, s13
	v_add_nc_u32_e32 v22, 1, v21
	v_add_nc_u32_e32 v23, 1, v19
	s_waitcnt lgkmcnt(0)
	v_cmp_lt_i16_sdwa s15, sext(v20), sext(v18) src0_sel:BYTE_0 src1_sel:BYTE_0
	v_cndmask_b32_e32 v22, v22, v21, vcc_lo
	v_cndmask_b32_e32 v23, v19, v23, vcc_lo
                                        ; implicit-def: $vgpr21
	v_cmp_ge_i32_e64 s13, v22, v9
	v_cmp_lt_i32_e64 s14, v23, v8
	s_or_b32 s13, s13, s15
	s_and_b32 s13, s14, s13
	s_xor_b32 s14, s13, -1
	s_and_saveexec_b32 s15, s14
	s_xor_b32 s14, exec_lo, s15
; %bb.51:
	v_add_nc_u32_e32 v19, v2, v22
	ds_read_u8 v21, v19 offset:1
; %bb.52:
	s_or_saveexec_b32 s14, s14
	v_mov_b32_e32 v24, v20
	s_xor_b32 exec_lo, exec_lo, s14
	s_cbranch_execz .LBB58_54
; %bb.53:
	v_add_nc_u32_e32 v19, v2, v23
	s_waitcnt lgkmcnt(0)
	v_mov_b32_e32 v21, v18
	ds_read_u8 v24, v19 offset:1
.LBB58_54:
	s_or_b32 exec_lo, exec_lo, s14
	v_min_i32_e32 v19, 0, v6
	v_add_nc_u32_e32 v26, 1, v22
	v_add_nc_u32_e32 v25, 1, v23
	v_cndmask_b32_sdwa v16, v16, v17, vcc_lo dst_sel:BYTE_1 dst_unused:UNUSED_PAD src0_sel:DWORD src1_sel:DWORD
	v_cndmask_b32_e64 v18, v18, v20, s13
	v_add_nc_u32_e32 v17, 16, v19
	v_cndmask_b32_e64 v22, v26, v22, s13
	v_cndmask_b32_e64 v20, v23, v25, s13
	s_mov_b32 vcc_lo, s11
	v_cndmask_b32_e64 v11, v11, v12, s10
	v_cndmask_b32_sdwa v13, v3, v13, vcc_lo dst_sel:BYTE_1 dst_unused:UNUSED_PAD src0_sel:DWORD src1_sel:DWORD
	v_min_i32_e32 v3, v6, v17
	v_cmp_ge_i32_e32 vcc_lo, v22, v9
	s_waitcnt lgkmcnt(0)
	v_cmp_lt_i16_sdwa s10, sext(v24), sext(v21) src0_sel:BYTE_0 src1_sel:BYTE_0
	v_cndmask_b32_e64 v7, v7, v10, s9
	v_cmp_lt_i32_e64 s9, v20, v8
	v_add_nc_u32_e32 v9, 16, v3
	v_cndmask_b32_e64 v1, v0, v1, s8
	s_or_b32 s8, vcc_lo, s10
	v_lshlrev_b16 v8, 8, v7
	s_and_b32 vcc_lo, s9, s8
	v_min_i32_e32 v7, v6, v9
	v_cndmask_b32_e32 v9, v21, v24, vcc_lo
	v_cndmask_b32_e64 v14, v14, v15, s12
	v_min_i32_e32 v0, v6, v5
	v_or_b32_sdwa v1, v1, v8 dst_sel:DWORD dst_unused:UNUSED_PAD src0_sel:BYTE_0 src1_sel:DWORD
	v_sub_nc_u32_e32 v6, v7, v3
	v_lshlrev_b16 v8, 8, v9
	v_or_b32_sdwa v9, v11, v13 dst_sel:WORD_1 dst_unused:UNUSED_PAD src0_sel:BYTE_0 src1_sel:DWORD
	v_or_b32_sdwa v11, v14, v16 dst_sel:DWORD dst_unused:UNUSED_PAD src0_sel:BYTE_0 src1_sel:DWORD
	v_sub_nc_u32_e32 v13, v3, v19
	v_sub_nc_u32_e32 v12, v0, v6
	v_or_b32_sdwa v14, v18, v8 dst_sel:WORD_1 dst_unused:UNUSED_PAD src0_sel:BYTE_0 src1_sel:DWORD
	v_cmp_ge_i32_e32 vcc_lo, v0, v6
	v_add_nc_u32_e32 v10, v2, v5
	v_or_b32_sdwa v8, v1, v9 dst_sel:DWORD dst_unused:UNUSED_PAD src0_sel:WORD_0 src1_sel:DWORD
	v_min_i32_e32 v6, v0, v13
	v_or_b32_sdwa v9, v11, v14 dst_sel:DWORD dst_unused:UNUSED_PAD src0_sel:WORD_0 src1_sel:DWORD
	v_cndmask_b32_e32 v1, 0, v12, vcc_lo
	s_mov_b32 s9, 0
	s_mov_b32 s8, exec_lo
	; wave barrier
	ds_write_b64 v10, v[8:9]
	; wave barrier
	v_cmpx_lt_i32_e64 v1, v6
	s_cbranch_execz .LBB58_58
; %bb.55:
	v_add_nc_u32_e32 v8, v2, v19
	v_add3_u32 v9, v2, v3, v0
	.p2align	6
.LBB58_56:                              ; =>This Inner Loop Header: Depth=1
	v_sub_nc_u32_e32 v10, v6, v1
	v_lshrrev_b32_e32 v10, 1, v10
	v_add_nc_u32_e32 v10, v10, v1
	v_add_nc_u32_e32 v11, v8, v10
	v_xad_u32 v12, v10, -1, v9
	v_add_nc_u32_e32 v13, 1, v10
	ds_read_i8 v11, v11
	ds_read_i8 v12, v12
	s_waitcnt lgkmcnt(0)
	v_cmp_lt_i16_e32 vcc_lo, v12, v11
	v_cndmask_b32_e32 v6, v6, v10, vcc_lo
	v_cndmask_b32_e32 v1, v13, v1, vcc_lo
	v_cmp_ge_i32_e32 vcc_lo, v1, v6
	s_or_b32 s9, vcc_lo, s9
	s_andn2_b32 exec_lo, exec_lo, s9
	s_cbranch_execnz .LBB58_56
; %bb.57:
	s_or_b32 exec_lo, exec_lo, s9
.LBB58_58:
	s_or_b32 exec_lo, exec_lo, s8
	v_add_nc_u32_e32 v6, v3, v0
	v_add_nc_u32_e32 v0, v1, v19
                                        ; implicit-def: $vgpr9
	v_sub_nc_u32_e32 v1, v6, v1
	v_add_nc_u32_e32 v10, v2, v0
	v_cmp_le_i32_e32 vcc_lo, v3, v0
	v_add_nc_u32_e32 v11, v2, v1
	v_cmp_gt_i32_e64 s9, v7, v1
	ds_read_u8 v6, v10
	ds_read_u8 v8, v11
	s_waitcnt lgkmcnt(1)
	v_bfe_i32 v6, v6, 0, 8
	s_waitcnt lgkmcnt(0)
	v_bfe_i32 v8, v8, 0, 8
	v_cmp_lt_i16_e64 s8, v8, v6
	s_or_b32 s8, vcc_lo, s8
	s_and_b32 vcc_lo, s9, s8
	s_xor_b32 s8, vcc_lo, -1
	s_and_saveexec_b32 s9, s8
	s_xor_b32 s8, exec_lo, s9
; %bb.59:
	ds_read_u8 v9, v10 offset:1
                                        ; implicit-def: $vgpr11
; %bb.60:
	s_or_saveexec_b32 s8, s8
	v_mov_b32_e32 v10, v8
	s_xor_b32 exec_lo, exec_lo, s8
	s_cbranch_execz .LBB58_62
; %bb.61:
	ds_read_u8 v10, v11 offset:1
	s_waitcnt lgkmcnt(1)
	v_mov_b32_e32 v9, v6
.LBB58_62:
	s_or_b32 exec_lo, exec_lo, s8
	v_add_nc_u32_e32 v11, 1, v0
	v_add_nc_u32_e32 v12, 1, v1
	s_waitcnt lgkmcnt(0)
	v_cmp_lt_i16_sdwa s10, sext(v10), sext(v9) src0_sel:BYTE_0 src1_sel:BYTE_0
	v_cndmask_b32_e32 v13, v11, v0, vcc_lo
	v_cndmask_b32_e32 v0, v1, v12, vcc_lo
                                        ; implicit-def: $vgpr11
	v_cmp_ge_i32_e64 s8, v13, v3
	v_cmp_lt_i32_e64 s9, v0, v7
	s_or_b32 s8, s8, s10
	s_and_b32 s8, s9, s8
	s_xor_b32 s9, s8, -1
	s_and_saveexec_b32 s10, s9
	s_xor_b32 s9, exec_lo, s10
; %bb.63:
	v_add_nc_u32_e32 v1, v2, v13
	ds_read_u8 v11, v1 offset:1
; %bb.64:
	s_or_saveexec_b32 s9, s9
	v_mov_b32_e32 v12, v10
	s_xor_b32 exec_lo, exec_lo, s9
	s_cbranch_execz .LBB58_66
; %bb.65:
	v_add_nc_u32_e32 v1, v2, v0
	s_waitcnt lgkmcnt(0)
	v_mov_b32_e32 v11, v9
	ds_read_u8 v12, v1 offset:1
.LBB58_66:
	s_or_b32 exec_lo, exec_lo, s9
	v_add_nc_u32_e32 v1, 1, v13
	v_add_nc_u32_e32 v14, 1, v0
	s_waitcnt lgkmcnt(0)
	v_cmp_lt_i16_sdwa s11, sext(v12), sext(v11) src0_sel:BYTE_0 src1_sel:BYTE_0
	v_cndmask_b32_e64 v1, v1, v13, s8
	v_cndmask_b32_e64 v0, v0, v14, s8
                                        ; implicit-def: $vgpr13
	v_cmp_ge_i32_e64 s9, v1, v3
	v_cmp_lt_i32_e64 s10, v0, v7
	s_or_b32 s9, s9, s11
	s_and_b32 s9, s10, s9
	s_xor_b32 s10, s9, -1
	s_and_saveexec_b32 s11, s10
	s_xor_b32 s10, exec_lo, s11
; %bb.67:
	v_add_nc_u32_e32 v13, v2, v1
	ds_read_u8 v13, v13 offset:1
; %bb.68:
	s_or_saveexec_b32 s10, s10
	v_mov_b32_e32 v14, v12
	s_xor_b32 exec_lo, exec_lo, s10
	s_cbranch_execz .LBB58_70
; %bb.69:
	s_waitcnt lgkmcnt(0)
	v_add_nc_u32_e32 v13, v2, v0
	ds_read_u8 v14, v13 offset:1
	v_mov_b32_e32 v13, v11
.LBB58_70:
	s_or_b32 exec_lo, exec_lo, s10
	v_add_nc_u32_e32 v15, 1, v1
	v_add_nc_u32_e32 v16, 1, v0
	s_waitcnt lgkmcnt(0)
	v_cmp_lt_i16_sdwa s12, sext(v14), sext(v13) src0_sel:BYTE_0 src1_sel:BYTE_0
	v_cndmask_b32_e64 v1, v15, v1, s9
	v_cndmask_b32_e64 v0, v0, v16, s9
                                        ; implicit-def: $vgpr15
	v_cmp_ge_i32_e64 s10, v1, v3
	v_cmp_lt_i32_e64 s11, v0, v7
	s_or_b32 s10, s10, s12
	s_and_b32 s10, s11, s10
	s_xor_b32 s11, s10, -1
	s_and_saveexec_b32 s12, s11
	s_xor_b32 s11, exec_lo, s12
; %bb.71:
	v_add_nc_u32_e32 v15, v2, v1
	ds_read_u8 v15, v15 offset:1
; %bb.72:
	s_or_saveexec_b32 s11, s11
	v_mov_b32_e32 v16, v14
	s_xor_b32 exec_lo, exec_lo, s11
	s_cbranch_execz .LBB58_74
; %bb.73:
	s_waitcnt lgkmcnt(0)
	v_add_nc_u32_e32 v15, v2, v0
	ds_read_u8 v16, v15 offset:1
	v_mov_b32_e32 v15, v13
.LBB58_74:
	s_or_b32 exec_lo, exec_lo, s11
	v_add_nc_u32_e32 v17, 1, v1
	v_add_nc_u32_e32 v18, 1, v0
	s_waitcnt lgkmcnt(0)
	v_cmp_lt_i16_sdwa s13, sext(v16), sext(v15) src0_sel:BYTE_0 src1_sel:BYTE_0
	v_cndmask_b32_e64 v1, v17, v1, s10
	v_cndmask_b32_e64 v0, v0, v18, s10
                                        ; implicit-def: $vgpr17
	v_cmp_ge_i32_e64 s11, v1, v3
	v_cmp_lt_i32_e64 s12, v0, v7
	s_or_b32 s11, s11, s13
	s_and_b32 s11, s12, s11
	s_xor_b32 s12, s11, -1
	s_and_saveexec_b32 s13, s12
	s_xor_b32 s12, exec_lo, s13
; %bb.75:
	v_add_nc_u32_e32 v17, v2, v1
	ds_read_u8 v17, v17 offset:1
; %bb.76:
	s_or_saveexec_b32 s12, s12
	v_mov_b32_e32 v18, v16
	s_xor_b32 exec_lo, exec_lo, s12
	s_cbranch_execz .LBB58_78
; %bb.77:
	s_waitcnt lgkmcnt(0)
	v_add_nc_u32_e32 v17, v2, v0
	ds_read_u8 v18, v17 offset:1
	v_mov_b32_e32 v17, v15
.LBB58_78:
	s_or_b32 exec_lo, exec_lo, s12
	v_add_nc_u32_e32 v19, 1, v1
	v_add_nc_u32_e32 v20, 1, v0
	s_waitcnt lgkmcnt(0)
	v_cmp_lt_i16_sdwa s14, sext(v18), sext(v17) src0_sel:BYTE_0 src1_sel:BYTE_0
	v_cndmask_b32_e64 v21, v19, v1, s11
	v_cndmask_b32_e64 v1, v0, v20, s11
                                        ; implicit-def: $vgpr19
	v_cmp_ge_i32_e64 s12, v21, v3
	v_cmp_lt_i32_e64 s13, v1, v7
	s_or_b32 s12, s12, s14
	s_and_b32 s12, s13, s12
	s_xor_b32 s13, s12, -1
	s_and_saveexec_b32 s14, s13
	s_xor_b32 s13, exec_lo, s14
; %bb.79:
	v_add_nc_u32_e32 v0, v2, v21
	ds_read_u8 v19, v0 offset:1
; %bb.80:
	s_or_saveexec_b32 s13, s13
	v_mov_b32_e32 v20, v18
	s_xor_b32 exec_lo, exec_lo, s13
	s_cbranch_execz .LBB58_82
; %bb.81:
	v_add_nc_u32_e32 v0, v2, v1
	s_waitcnt lgkmcnt(0)
	v_mov_b32_e32 v19, v17
	ds_read_u8 v20, v0 offset:1
.LBB58_82:
	s_or_b32 exec_lo, exec_lo, s13
	v_add_nc_u32_e32 v0, 1, v21
	v_add_nc_u32_e32 v22, 1, v1
	s_waitcnt lgkmcnt(0)
	v_cmp_lt_i16_sdwa s15, sext(v20), sext(v19) src0_sel:BYTE_0 src1_sel:BYTE_0
                                        ; implicit-def: $vgpr23
	v_cndmask_b32_e64 v0, v0, v21, s12
	v_cndmask_b32_e64 v21, v1, v22, s12
                                        ; implicit-def: $vgpr22
	v_cmp_ge_i32_e64 s13, v0, v3
	v_cmp_lt_i32_e64 s14, v21, v7
	s_or_b32 s13, s13, s15
	s_and_b32 s13, s14, s13
	s_xor_b32 s14, s13, -1
	s_and_saveexec_b32 s15, s14
	s_xor_b32 s14, exec_lo, s15
; %bb.83:
	v_add_nc_u32_e32 v1, v2, v0
	v_add_nc_u32_e32 v23, 1, v0
                                        ; implicit-def: $vgpr2
                                        ; implicit-def: $vgpr0
	ds_read_u8 v22, v1 offset:1
; %bb.84:
	s_or_saveexec_b32 s14, s14
	v_mov_b32_e32 v24, v20
	s_xor_b32 exec_lo, exec_lo, s14
	s_cbranch_execz .LBB58_86
; %bb.85:
	v_add_nc_u32_e32 v1, v2, v21
	v_add_nc_u32_e32 v21, 1, v21
	v_mov_b32_e32 v23, v0
	s_waitcnt lgkmcnt(0)
	v_mov_b32_e32 v22, v19
	ds_read_u8 v24, v1 offset:1
.LBB58_86:
	s_or_b32 exec_lo, exec_lo, s14
	v_add_co_u32 v0, s14, s18, v4
	v_add_co_ci_u32_e64 v1, null, s19, 0, s14
	v_add_co_u32 v0, s14, v0, v5
	v_add_co_ci_u32_e64 v1, null, 0, v1, s14
	s_and_saveexec_b32 s14, s0
	s_cbranch_execnz .LBB58_95
; %bb.87:
	s_or_b32 exec_lo, exec_lo, s14
	s_and_saveexec_b32 s0, s1
	s_cbranch_execnz .LBB58_96
.LBB58_88:
	s_or_b32 exec_lo, exec_lo, s0
	s_and_saveexec_b32 s0, s2
	s_cbranch_execnz .LBB58_97
.LBB58_89:
	s_or_b32 exec_lo, exec_lo, s0
	s_and_saveexec_b32 s0, s3
	s_cbranch_execnz .LBB58_98
.LBB58_90:
	s_or_b32 exec_lo, exec_lo, s0
	s_and_saveexec_b32 s0, s4
	s_cbranch_execnz .LBB58_99
.LBB58_91:
	s_or_b32 exec_lo, exec_lo, s0
	s_and_saveexec_b32 s0, s5
	s_cbranch_execnz .LBB58_100
.LBB58_92:
	s_or_b32 exec_lo, exec_lo, s0
	s_and_saveexec_b32 s0, s6
	s_cbranch_execnz .LBB58_101
.LBB58_93:
	s_or_b32 exec_lo, exec_lo, s0
	s_and_saveexec_b32 s0, s7
	s_cbranch_execnz .LBB58_102
.LBB58_94:
	s_endpgm
.LBB58_95:
	v_cndmask_b32_e32 v2, v6, v8, vcc_lo
	global_store_byte v[0:1], v2, off
	s_or_b32 exec_lo, exec_lo, s14
	s_and_saveexec_b32 s0, s1
	s_cbranch_execz .LBB58_88
.LBB58_96:
	v_cndmask_b32_e64 v2, v9, v10, s8
	global_store_byte v[0:1], v2, off offset:1
	s_or_b32 exec_lo, exec_lo, s0
	s_and_saveexec_b32 s0, s2
	s_cbranch_execz .LBB58_89
.LBB58_97:
	v_cndmask_b32_e64 v2, v11, v12, s9
	global_store_byte v[0:1], v2, off offset:2
	s_or_b32 exec_lo, exec_lo, s0
	s_and_saveexec_b32 s0, s3
	s_cbranch_execz .LBB58_90
.LBB58_98:
	v_cndmask_b32_e64 v2, v13, v14, s10
	global_store_byte v[0:1], v2, off offset:3
	s_or_b32 exec_lo, exec_lo, s0
	s_and_saveexec_b32 s0, s4
	s_cbranch_execz .LBB58_91
.LBB58_99:
	v_cndmask_b32_e64 v2, v15, v16, s11
	global_store_byte v[0:1], v2, off offset:4
	s_or_b32 exec_lo, exec_lo, s0
	s_and_saveexec_b32 s0, s5
	s_cbranch_execz .LBB58_92
.LBB58_100:
	v_cndmask_b32_e64 v2, v17, v18, s12
	global_store_byte v[0:1], v2, off offset:5
	s_or_b32 exec_lo, exec_lo, s0
	s_and_saveexec_b32 s0, s6
	s_cbranch_execz .LBB58_93
.LBB58_101:
	v_cndmask_b32_e64 v2, v19, v20, s13
	global_store_byte v[0:1], v2, off offset:6
	s_or_b32 exec_lo, exec_lo, s0
	s_and_saveexec_b32 s0, s7
	s_cbranch_execz .LBB58_94
.LBB58_102:
	v_cmp_ge_i32_e32 vcc_lo, v23, v3
	s_waitcnt lgkmcnt(0)
	v_cmp_lt_i16_sdwa s1, sext(v24), sext(v22) src0_sel:BYTE_0 src1_sel:BYTE_0
	v_cmp_lt_i32_e64 s0, v21, v7
	s_or_b32 s1, vcc_lo, s1
	s_and_b32 vcc_lo, s0, s1
	v_cndmask_b32_e32 v2, v22, v24, vcc_lo
	global_store_byte v[0:1], v2, off offset:7
	s_endpgm
	.section	.rodata,"a",@progbits
	.p2align	6, 0x0
	.amdhsa_kernel _Z19sort_keys_segmentedILj256ELj4ELj8EaN10test_utils4lessEEvPKT2_PS2_PKjT3_
		.amdhsa_group_segment_fixed_size 2112
		.amdhsa_private_segment_fixed_size 0
		.amdhsa_kernarg_size 28
		.amdhsa_user_sgpr_count 6
		.amdhsa_user_sgpr_private_segment_buffer 1
		.amdhsa_user_sgpr_dispatch_ptr 0
		.amdhsa_user_sgpr_queue_ptr 0
		.amdhsa_user_sgpr_kernarg_segment_ptr 1
		.amdhsa_user_sgpr_dispatch_id 0
		.amdhsa_user_sgpr_flat_scratch_init 0
		.amdhsa_user_sgpr_private_segment_size 0
		.amdhsa_wavefront_size32 1
		.amdhsa_uses_dynamic_stack 0
		.amdhsa_system_sgpr_private_segment_wavefront_offset 0
		.amdhsa_system_sgpr_workgroup_id_x 1
		.amdhsa_system_sgpr_workgroup_id_y 0
		.amdhsa_system_sgpr_workgroup_id_z 0
		.amdhsa_system_sgpr_workgroup_info 0
		.amdhsa_system_vgpr_workitem_id 0
		.amdhsa_next_free_vgpr 29
		.amdhsa_next_free_sgpr 20
		.amdhsa_reserve_vcc 1
		.amdhsa_reserve_flat_scratch 0
		.amdhsa_float_round_mode_32 0
		.amdhsa_float_round_mode_16_64 0
		.amdhsa_float_denorm_mode_32 3
		.amdhsa_float_denorm_mode_16_64 3
		.amdhsa_dx10_clamp 1
		.amdhsa_ieee_mode 1
		.amdhsa_fp16_overflow 0
		.amdhsa_workgroup_processor_mode 1
		.amdhsa_memory_ordered 1
		.amdhsa_forward_progress 1
		.amdhsa_shared_vgpr_count 0
		.amdhsa_exception_fp_ieee_invalid_op 0
		.amdhsa_exception_fp_denorm_src 0
		.amdhsa_exception_fp_ieee_div_zero 0
		.amdhsa_exception_fp_ieee_overflow 0
		.amdhsa_exception_fp_ieee_underflow 0
		.amdhsa_exception_fp_ieee_inexact 0
		.amdhsa_exception_int_div_zero 0
	.end_amdhsa_kernel
	.section	.text._Z19sort_keys_segmentedILj256ELj4ELj8EaN10test_utils4lessEEvPKT2_PS2_PKjT3_,"axG",@progbits,_Z19sort_keys_segmentedILj256ELj4ELj8EaN10test_utils4lessEEvPKT2_PS2_PKjT3_,comdat
.Lfunc_end58:
	.size	_Z19sort_keys_segmentedILj256ELj4ELj8EaN10test_utils4lessEEvPKT2_PS2_PKjT3_, .Lfunc_end58-_Z19sort_keys_segmentedILj256ELj4ELj8EaN10test_utils4lessEEvPKT2_PS2_PKjT3_
                                        ; -- End function
	.set _Z19sort_keys_segmentedILj256ELj4ELj8EaN10test_utils4lessEEvPKT2_PS2_PKjT3_.num_vgpr, 29
	.set _Z19sort_keys_segmentedILj256ELj4ELj8EaN10test_utils4lessEEvPKT2_PS2_PKjT3_.num_agpr, 0
	.set _Z19sort_keys_segmentedILj256ELj4ELj8EaN10test_utils4lessEEvPKT2_PS2_PKjT3_.numbered_sgpr, 20
	.set _Z19sort_keys_segmentedILj256ELj4ELj8EaN10test_utils4lessEEvPKT2_PS2_PKjT3_.num_named_barrier, 0
	.set _Z19sort_keys_segmentedILj256ELj4ELj8EaN10test_utils4lessEEvPKT2_PS2_PKjT3_.private_seg_size, 0
	.set _Z19sort_keys_segmentedILj256ELj4ELj8EaN10test_utils4lessEEvPKT2_PS2_PKjT3_.uses_vcc, 1
	.set _Z19sort_keys_segmentedILj256ELj4ELj8EaN10test_utils4lessEEvPKT2_PS2_PKjT3_.uses_flat_scratch, 0
	.set _Z19sort_keys_segmentedILj256ELj4ELj8EaN10test_utils4lessEEvPKT2_PS2_PKjT3_.has_dyn_sized_stack, 0
	.set _Z19sort_keys_segmentedILj256ELj4ELj8EaN10test_utils4lessEEvPKT2_PS2_PKjT3_.has_recursion, 0
	.set _Z19sort_keys_segmentedILj256ELj4ELj8EaN10test_utils4lessEEvPKT2_PS2_PKjT3_.has_indirect_call, 0
	.section	.AMDGPU.csdata,"",@progbits
; Kernel info:
; codeLenInByte = 5376
; TotalNumSgprs: 22
; NumVgprs: 29
; ScratchSize: 0
; MemoryBound: 0
; FloatMode: 240
; IeeeMode: 1
; LDSByteSize: 2112 bytes/workgroup (compile time only)
; SGPRBlocks: 0
; VGPRBlocks: 3
; NumSGPRsForWavesPerEU: 22
; NumVGPRsForWavesPerEU: 29
; Occupancy: 16
; WaveLimiterHint : 0
; COMPUTE_PGM_RSRC2:SCRATCH_EN: 0
; COMPUTE_PGM_RSRC2:USER_SGPR: 6
; COMPUTE_PGM_RSRC2:TRAP_HANDLER: 0
; COMPUTE_PGM_RSRC2:TGID_X_EN: 1
; COMPUTE_PGM_RSRC2:TGID_Y_EN: 0
; COMPUTE_PGM_RSRC2:TGID_Z_EN: 0
; COMPUTE_PGM_RSRC2:TIDIG_COMP_CNT: 0
	.section	.text._Z20sort_pairs_segmentedILj256ELj4ELj8EaN10test_utils4lessEEvPKT2_PS2_PKjT3_,"axG",@progbits,_Z20sort_pairs_segmentedILj256ELj4ELj8EaN10test_utils4lessEEvPKT2_PS2_PKjT3_,comdat
	.protected	_Z20sort_pairs_segmentedILj256ELj4ELj8EaN10test_utils4lessEEvPKT2_PS2_PKjT3_ ; -- Begin function _Z20sort_pairs_segmentedILj256ELj4ELj8EaN10test_utils4lessEEvPKT2_PS2_PKjT3_
	.globl	_Z20sort_pairs_segmentedILj256ELj4ELj8EaN10test_utils4lessEEvPKT2_PS2_PKjT3_
	.p2align	8
	.type	_Z20sort_pairs_segmentedILj256ELj4ELj8EaN10test_utils4lessEEvPKT2_PS2_PKjT3_,@function
_Z20sort_pairs_segmentedILj256ELj4ELj8EaN10test_utils4lessEEvPKT2_PS2_PKjT3_: ; @_Z20sort_pairs_segmentedILj256ELj4ELj8EaN10test_utils4lessEEvPKT2_PS2_PKjT3_
; %bb.0:
	s_clause 0x1
	s_load_dwordx2 s[0:1], s[4:5], 0x10
	s_load_dwordx4 s[16:19], s[4:5], 0x0
	v_lshrrev_b32_e32 v11, 2, v0
	v_mov_b32_e32 v1, 0
	v_mov_b32_e32 v6, 0
	;; [unrolled: 1-line block ×4, first 2 shown]
	v_lshl_or_b32 v0, s6, 6, v11
	v_mov_b32_e32 v13, 0
	v_mov_b32_e32 v5, 0
	v_lshlrev_b64 v[2:3], 2, v[0:1]
	v_lshlrev_b32_e32 v9, 5, v0
	s_waitcnt lgkmcnt(0)
	v_add_co_u32 v2, vcc_lo, s0, v2
	v_add_co_ci_u32_e64 v3, null, s1, v3, vcc_lo
	v_add_co_u32 v0, s0, s16, v9
	global_load_dword v10, v[2:3], off
	v_mbcnt_lo_u32_b32 v2, -1, 0
	v_add_co_ci_u32_e64 v3, null, s17, 0, s0
	v_lshlrev_b32_e32 v12, 3, v2
	v_and_b32_e32 v8, 24, v12
	v_add_co_u32 v2, vcc_lo, v0, v8
	v_add_co_ci_u32_e64 v3, null, 0, v3, vcc_lo
	v_mov_b32_e32 v0, 0
	s_waitcnt vmcnt(0)
	v_cmp_lt_u32_e64 s0, v8, v10
	s_and_saveexec_b32 s1, s0
	s_cbranch_execz .LBB59_2
; %bb.1:
	global_load_ubyte v6, v[2:3], off
	v_mov_b32_e32 v4, 0
	v_mov_b32_e32 v15, 0
	;; [unrolled: 1-line block ×5, first 2 shown]
.LBB59_2:
	s_or_b32 exec_lo, exec_lo, s1
	v_or_b32_e32 v7, 1, v8
	v_mov_b32_e32 v17, v1
	v_cmp_lt_u32_e64 s1, v7, v10
	s_and_saveexec_b32 s2, s1
	s_cbranch_execz .LBB59_4
; %bb.3:
	global_load_ubyte v17, v[2:3], off offset:1
.LBB59_4:
	s_or_b32 exec_lo, exec_lo, s2
	v_or_b32_e32 v14, 2, v8
	v_cmp_lt_u32_e64 s2, v14, v10
	s_and_saveexec_b32 s3, s2
	s_cbranch_execz .LBB59_6
; %bb.5:
	global_load_ubyte v1, v[2:3], off offset:2
.LBB59_6:
	s_or_b32 exec_lo, exec_lo, s3
	v_or_b32_e32 v16, 3, v8
	;; [unrolled: 8-line block ×6, first 2 shown]
	v_cmp_lt_u32_e64 s7, v21, v10
	s_and_saveexec_b32 s8, s7
	s_cbranch_execz .LBB59_16
; %bb.15:
	global_load_ubyte v0, v[2:3], off offset:7
.LBB59_16:
	s_or_b32 exec_lo, exec_lo, s8
	s_waitcnt vmcnt(0)
	v_add_nc_u16 v2, v6, 1
	v_mov_b32_e32 v3, 0xffff
	v_perm_b32 v22, v15, v13, 0xc0c0004
	v_add_nc_u16 v15, v15, 1
	v_perm_b32 v23, v5, v0, 0xc0c0004
	v_perm_b32 v24, v1, v4, 0xc0c0004
	v_and_b32_sdwa v2, v3, v2 dst_sel:DWORD dst_unused:UNUSED_PAD src0_sel:DWORD src1_sel:BYTE_0
	v_perm_b32 v3, v6, v17, 0xc0c0004
	v_perm_b32 v15, v15, 0, 0x3020104
	v_lshlrev_b16 v17, 8, v17
	v_lshlrev_b16 v13, 8, v13
	v_cndmask_b32_e64 v25, 0, v2, s0
	v_mov_b32_e32 v2, 0x7f00
	v_cndmask_b32_e64 v15, 0, v15, s4
	v_lshl_or_b32 v23, v23, 16, v22
	v_and_b32_e32 v22, 0xffffff00, v22
	v_or_b32_e32 v17, v17, v25
	v_lshlrev_b32_e32 v24, 16, v24
	v_or_b32_sdwa v6, v6, v2 dst_sel:DWORD dst_unused:UNUSED_PAD src0_sel:BYTE_0 src1_sel:DWORD
	v_or_b32_sdwa v13, v13, v15 dst_sel:DWORD dst_unused:UNUSED_PAD src0_sel:DWORD src1_sel:BYTE_0
	v_or_b32_e32 v22, 0x7f, v22
	v_add_nc_u16 v17, 0x100, v17
	v_or_b32_e32 v3, v3, v24
	v_or_b32_sdwa v6, v6, v24 dst_sel:DWORD dst_unused:UNUSED_PAD src0_sel:WORD_0 src1_sel:DWORD
	v_add_nc_u16 v13, 0x100, v13
	v_cmp_lt_i32_e32 vcc_lo, v7, v10
	v_mov_b32_e32 v26, 0xffffff00
	v_and_b32_e32 v17, 0xffff, v17
	v_and_b32_e32 v22, 0xffff, v22
	;; [unrolled: 1-line block ×3, first 2 shown]
	v_cndmask_b32_e32 v6, v6, v3, vcc_lo
	v_add_nc_u16 v1, v1, 1
	v_cndmask_b32_e64 v17, v25, v17, s1
	v_mov_b32_e32 v13, 0x7f
	v_and_or_b32 v22, 0xffff0000, v23, v22
	v_and_b32_sdwa v24, v6, v26 dst_sel:DWORD dst_unused:UNUSED_PAD src0_sel:WORD_1 src1_sel:DWORD
	v_and_or_b32 v7, 0xffff0000, v15, v7
	v_cmp_lt_i32_e32 vcc_lo, v18, v10
	v_perm_b32 v1, v1, v17, 0xc0c0304
	v_add_nc_u16 v5, v5, 1
	v_cmp_lt_i32_e64 s8, v14, v10
	v_cndmask_b32_e64 v7, v15, v7, s5
	v_cndmask_b32_e32 v18, v22, v23, vcc_lo
	v_or_b32_sdwa v15, v24, v13 dst_sel:WORD_1 dst_unused:UNUSED_PAD src0_sel:DWORD src1_sel:DWORD
	v_lshl_or_b32 v1, v1, 16, v17
	v_lshlrev_b16 v4, 8, v4
	v_perm_b32 v5, v7, v5, 0x7000504
	v_or_b32_sdwa v22, v18, v2 dst_sel:DWORD dst_unused:UNUSED_PAD src0_sel:BYTE_0 src1_sel:DWORD
	v_and_or_b32 v6, 0xffff, v6, v15
	v_cndmask_b32_e64 v1, v17, v1, s2
	v_mov_b32_e32 v17, 0xff
	v_cndmask_b32_e64 v7, v7, v5, s6
	v_and_b32_e32 v15, 0xffff, v22
	v_cndmask_b32_e64 v5, v6, v3, s8
	v_cmp_lt_i32_e64 s8, v19, v10
	v_and_b32_sdwa v22, v1, v17 dst_sel:DWORD dst_unused:UNUSED_PAD src0_sel:WORD_1 src1_sel:DWORD
	v_and_b32_sdwa v14, v7, v17 dst_sel:DWORD dst_unused:UNUSED_PAD src0_sel:WORD_1 src1_sel:DWORD
	v_and_or_b32 v6, 0xffff0000, v18, v15
	v_and_b32_sdwa v15, v5, v17 dst_sel:DWORD dst_unused:UNUSED_PAD src0_sel:WORD_1 src1_sel:DWORD
	v_lshlrev_b16 v0, 8, v0
	v_or_b32_e32 v4, v4, v22
	v_cmp_lt_i32_e64 s9, v16, v10
	v_cndmask_b32_e64 v6, v6, v23, s8
	v_or_b32_sdwa v15, v15, v2 dst_sel:WORD_1 dst_unused:UNUSED_PAD src0_sel:DWORD src1_sel:DWORD
	v_or_b32_e32 v0, v0, v14
	v_add_nc_u16 v4, 0x100, v4
	v_and_b32_sdwa v14, v6, v26 dst_sel:DWORD dst_unused:UNUSED_PAD src0_sel:WORD_1 src1_sel:DWORD
	v_and_or_b32 v5, 0xffff, v5, v15
	v_add_nc_u16 v0, 0x100, v0
	v_lshlrev_b32_e32 v4, 16, v4
	v_or_b32_sdwa v13, v14, v13 dst_sel:WORD_1 dst_unused:UNUSED_PAD src0_sel:DWORD src1_sel:DWORD
	v_cndmask_b32_e64 v5, v5, v3, s9
	v_cmp_lt_i32_e64 s9, v20, v10
	v_lshlrev_b32_e32 v0, 16, v0
	v_and_or_b32 v4, 0xffff, v1, v4
	v_and_or_b32 v6, 0xffff, v6, v13
	v_cndmask_b32_e32 v13, v5, v3, vcc_lo
	s_or_b32 vcc_lo, s9, s8
	v_and_or_b32 v14, 0xffff, v7, v0
	v_cndmask_b32_e64 v0, v1, v4, s3
	v_cndmask_b32_e64 v5, v6, v23, s9
	v_cndmask_b32_e32 v4, v13, v3, vcc_lo
	v_cmp_lt_i32_e64 s8, v21, v10
	v_cndmask_b32_e64 v1, v7, v14, s7
	s_mov_b32 s9, exec_lo
	v_lshrrev_b32_e32 v15, 24, v5
	v_lshrrev_b64 v[6:7], 24, v[4:5]
	v_lshrrev_b32_e32 v13, 16, v5
	v_lshrrev_b32_e32 v14, 8, v5
	;; [unrolled: 1-line block ×4, first 2 shown]
                                        ; implicit-def: $vgpr3
	v_cmpx_ge_i32_e64 v21, v10
	s_cbranch_execz .LBB59_18
; %bb.17:
	v_lshrrev_b32_e32 v14, 8, v5
	v_lshrrev_b32_e32 v13, 16, v5
	;; [unrolled: 1-line block ×3, first 2 shown]
	v_cmp_lt_i32_e32 vcc_lo, v8, v10
	v_lshrrev_b32_e32 v7, 8, v4
	v_lshlrev_b16 v3, 8, v14
	v_or_b32_sdwa v15, v13, v2 dst_sel:WORD_1 dst_unused:UNUSED_PAD src0_sel:BYTE_0 src1_sel:DWORD
	v_perm_b32 v2, v4, v16, 0x7000504
	s_andn2_b32 s8, s8, exec_lo
	s_and_b32 s10, vcc_lo, exec_lo
	v_or_b32_sdwa v3, v5, v3 dst_sel:DWORD dst_unused:UNUSED_PAD src0_sel:BYTE_0 src1_sel:DWORD
	s_or_b32 s8, s8, s10
	v_or_b32_sdwa v3, v3, v15 dst_sel:DWORD dst_unused:UNUSED_PAD src0_sel:WORD_0 src1_sel:DWORD
	v_mov_b32_e32 v15, 0x7f
.LBB59_18:
	s_or_b32 exec_lo, exec_lo, s9
	s_and_saveexec_b32 s9, s8
	s_cbranch_execz .LBB59_22
; %bb.19:
	v_perm_b32 v2, v16, v6, 0xc0c0004
	v_perm_b32 v3, 0, v0, 0xc0c0001
	;; [unrolled: 1-line block ×4, first 2 shown]
	v_cmp_lt_i16_sdwa vcc_lo, sext(v7), sext(v4) src0_sel:BYTE_0 src1_sel:BYTE_0
	v_lshlrev_b32_e32 v2, 16, v2
	v_and_or_b32 v3, 0xffff0000, v0, v3
	v_perm_b32 v4, v13, v15, 0xc0c0004
	v_perm_b32 v7, v1, v1, 0x7060405
	v_or_b32_e32 v6, v6, v2
	v_or_b32_e32 v2, v16, v2
	v_cndmask_b32_e32 v0, v0, v3, vcc_lo
	v_perm_b32 v3, v5, v14, 0xc0c0004
	v_cndmask_b32_e32 v2, v2, v6, vcc_lo
	v_lshrrev_b32_e32 v5, 16, v0
	v_lshl_or_b32 v3, v4, 16, v3
	v_lshrrev_b32_e32 v6, 16, v2
	v_perm_b32 v4, 0, v5, 0xc0c0001
	v_lshrrev_b32_e32 v13, 8, v3
	v_lshrrev_b32_e32 v14, 24, v2
	v_perm_b32 v15, v3, v3, 0x7060405
	v_perm_b32 v5, 0, v6, 0xc0c0001
	v_lshlrev_b32_e32 v4, 16, v4
	v_cmp_lt_i16_sdwa vcc_lo, sext(v13), sext(v3) src0_sel:BYTE_0 src1_sel:BYTE_0
	v_cmp_lt_i16_sdwa s8, sext(v14), sext(v6) src0_sel:BYTE_0 src1_sel:BYTE_0
	v_lshlrev_b32_e32 v5, 16, v5
	v_and_or_b32 v4, 0xffff, v0, v4
	v_cndmask_b32_e32 v3, v3, v15, vcc_lo
	v_cndmask_b32_e32 v1, v1, v7, vcc_lo
	v_and_or_b32 v5, 0xffff, v2, v5
	v_cndmask_b32_e64 v0, v0, v4, s8
	v_lshrrev_b32_e32 v4, 24, v3
	v_perm_b32 v6, v1, v1, 0x6070504
	v_perm_b32 v14, v3, v3, 0x6070504
	v_cndmask_b32_e64 v2, v2, v5, s8
	v_lshrrev_b32_e32 v5, 16, v3
	v_lshrrev_b32_e32 v7, 16, v2
	;; [unrolled: 1-line block ×3, first 2 shown]
	v_cmp_lt_i16_sdwa vcc_lo, sext(v4), sext(v5) src0_sel:BYTE_0 src1_sel:BYTE_0
	v_perm_b32 v4, v0, v0, 0x7050604
	v_perm_b32 v5, v2, v2, 0x7050604
	v_cmp_lt_i16_sdwa s8, sext(v7), sext(v13) src0_sel:BYTE_0 src1_sel:BYTE_0
	v_mov_b32_e32 v7, 0xff
	v_cndmask_b32_e32 v1, v1, v6, vcc_lo
	v_cndmask_b32_e32 v3, v3, v14, vcc_lo
	v_cndmask_b32_e64 v0, v0, v4, s8
	v_cndmask_b32_e64 v2, v2, v5, s8
	v_lshlrev_b16 v4, 8, v1
	v_lshlrev_b16 v5, 8, v3
	v_and_b32_sdwa v6, v0, v7 dst_sel:DWORD dst_unused:UNUSED_PAD src0_sel:WORD_1 src1_sel:DWORD
	v_and_b32_sdwa v13, v2, v7 dst_sel:DWORD dst_unused:UNUSED_PAD src0_sel:WORD_1 src1_sel:DWORD
	v_or_b32_sdwa v4, v6, v4 dst_sel:WORD_1 dst_unused:UNUSED_PAD src0_sel:DWORD src1_sel:DWORD
	v_or_b32_sdwa v5, v13, v5 dst_sel:WORD_1 dst_unused:UNUSED_PAD src0_sel:DWORD src1_sel:DWORD
	v_lshrrev_b32_e32 v6, 24, v2
	v_and_or_b32 v4, 0xffff, v0, v4
	v_and_or_b32 v5, 0xffff, v2, v5
	v_cmp_lt_i16_sdwa vcc_lo, sext(v3), sext(v6) src0_sel:BYTE_0 src1_sel:BYTE_0
	v_cndmask_b32_e32 v5, v2, v5, vcc_lo
	v_cndmask_b32_e32 v4, v0, v4, vcc_lo
	v_perm_b32 v2, v2, v3, 0x3020107
	v_perm_b32 v0, v0, v1, 0x3020107
	;; [unrolled: 1-line block ×3, first 2 shown]
	v_lshrrev_b32_e32 v14, 8, v5
	v_perm_b32 v6, 0, v4, 0xc0c0001
	v_cndmask_b32_e32 v2, v3, v2, vcc_lo
	v_cndmask_b32_e32 v0, v1, v0, vcc_lo
	v_and_or_b32 v3, 0xffff0000, v5, v13
	v_cmp_lt_i16_sdwa vcc_lo, sext(v14), sext(v5) src0_sel:BYTE_0 src1_sel:BYTE_0
	v_and_or_b32 v1, 0xffff0000, v4, v6
	v_lshrrev_b32_e32 v6, 16, v2
	v_lshrrev_b32_e32 v13, 8, v2
	v_cndmask_b32_e32 v3, v5, v3, vcc_lo
	v_cndmask_b32_e32 v1, v4, v1, vcc_lo
	v_perm_b32 v4, v2, v2, 0x7050604
	v_perm_b32 v5, v0, v0, 0x7050604
	v_cmp_lt_i16_sdwa vcc_lo, sext(v6), sext(v13) src0_sel:BYTE_0 src1_sel:BYTE_0
	v_lshrrev_b32_e32 v13, 16, v3
	v_lshrrev_b32_e32 v6, 16, v1
	;; [unrolled: 1-line block ×3, first 2 shown]
	v_cndmask_b32_e32 v0, v0, v5, vcc_lo
	v_cndmask_b32_e32 v2, v2, v4, vcc_lo
	v_perm_b32 v5, 0, v13, 0xc0c0001
	v_perm_b32 v4, 0, v6, 0xc0c0001
	v_cmp_lt_i16_sdwa s8, sext(v15), sext(v13) src0_sel:BYTE_0 src1_sel:BYTE_0
	v_perm_b32 v6, v0, v0, 0x7060405
	v_lshrrev_b32_e32 v14, 8, v2
	v_lshlrev_b32_e32 v5, 16, v5
	v_lshlrev_b32_e32 v4, 16, v4
	v_perm_b32 v16, v2, v2, 0x7060405
	v_cmp_lt_i16_sdwa vcc_lo, sext(v14), sext(v2) src0_sel:BYTE_0 src1_sel:BYTE_0
	v_and_or_b32 v5, 0xffff, v3, v5
	v_and_or_b32 v4, 0xffff, v1, v4
	v_cndmask_b32_e32 v2, v2, v16, vcc_lo
	v_cndmask_b32_e64 v3, v3, v5, s8
	v_cndmask_b32_e32 v0, v0, v6, vcc_lo
	v_cndmask_b32_e64 v1, v1, v4, s8
	v_lshrrev_b32_e32 v4, 24, v2
	v_lshrrev_b32_e32 v5, 16, v2
	;; [unrolled: 1-line block ×4, first 2 shown]
	v_perm_b32 v6, v0, v0, 0x6070504
	v_perm_b32 v15, v2, v2, 0x6070504
	v_cmp_lt_i16_sdwa vcc_lo, sext(v4), sext(v5) src0_sel:BYTE_0 src1_sel:BYTE_0
	v_perm_b32 v4, v1, v1, 0x7050604
	v_perm_b32 v5, v3, v3, 0x7050604
	v_cmp_lt_i16_sdwa s8, sext(v13), sext(v14) src0_sel:BYTE_0 src1_sel:BYTE_0
	v_cndmask_b32_e32 v0, v0, v6, vcc_lo
	v_cndmask_b32_e32 v2, v2, v15, vcc_lo
	v_cndmask_b32_e64 v1, v1, v4, s8
	v_cndmask_b32_e64 v3, v3, v5, s8
	v_lshlrev_b16 v4, 8, v0
	v_lshlrev_b16 v5, 8, v2
	v_and_b32_sdwa v6, v1, v7 dst_sel:DWORD dst_unused:UNUSED_PAD src0_sel:WORD_1 src1_sel:DWORD
	v_and_b32_sdwa v13, v3, v7 dst_sel:DWORD dst_unused:UNUSED_PAD src0_sel:WORD_1 src1_sel:DWORD
	v_or_b32_sdwa v4, v6, v4 dst_sel:WORD_1 dst_unused:UNUSED_PAD src0_sel:DWORD src1_sel:DWORD
	v_or_b32_sdwa v5, v13, v5 dst_sel:WORD_1 dst_unused:UNUSED_PAD src0_sel:DWORD src1_sel:DWORD
	v_lshrrev_b32_e32 v6, 24, v3
	v_and_or_b32 v4, 0xffff, v1, v4
	v_and_or_b32 v5, 0xffff, v3, v5
	v_cmp_lt_i16_sdwa vcc_lo, sext(v2), sext(v6) src0_sel:BYTE_0 src1_sel:BYTE_0
	v_cndmask_b32_e32 v5, v3, v5, vcc_lo
	v_cndmask_b32_e32 v4, v1, v4, vcc_lo
	v_perm_b32 v3, v3, v2, 0x3020107
	v_perm_b32 v1, v1, v0, 0x3020107
	v_perm_b32 v13, 0, v5, 0xc0c0001
	v_lshrrev_b32_e32 v14, 8, v5
	v_perm_b32 v6, 0, v4, 0xc0c0001
	v_cndmask_b32_e32 v2, v2, v3, vcc_lo
	v_cndmask_b32_e32 v0, v0, v1, vcc_lo
	v_and_or_b32 v3, 0xffff0000, v5, v13
	v_cmp_lt_i16_sdwa vcc_lo, sext(v14), sext(v5) src0_sel:BYTE_0 src1_sel:BYTE_0
	v_and_or_b32 v1, 0xffff0000, v4, v6
	v_lshrrev_b32_e32 v6, 16, v2
	v_lshrrev_b32_e32 v13, 8, v2
	v_cndmask_b32_e32 v3, v5, v3, vcc_lo
	v_cndmask_b32_e32 v1, v4, v1, vcc_lo
	v_perm_b32 v4, v2, v2, 0x7050604
	v_perm_b32 v5, v0, v0, 0x7050604
	v_cmp_lt_i16_sdwa vcc_lo, sext(v6), sext(v13) src0_sel:BYTE_0 src1_sel:BYTE_0
	v_lshrrev_b32_e32 v13, 16, v3
	v_lshrrev_b32_e32 v6, 16, v1
	;; [unrolled: 1-line block ×3, first 2 shown]
	v_cndmask_b32_e32 v0, v0, v5, vcc_lo
	v_cndmask_b32_e32 v2, v2, v4, vcc_lo
	v_perm_b32 v5, 0, v13, 0xc0c0001
	v_perm_b32 v4, 0, v6, 0xc0c0001
	v_cmp_lt_i16_sdwa s8, sext(v15), sext(v13) src0_sel:BYTE_0 src1_sel:BYTE_0
	v_perm_b32 v6, v0, v0, 0x7060405
	v_lshrrev_b32_e32 v14, 8, v2
	v_lshlrev_b32_e32 v5, 16, v5
	v_lshlrev_b32_e32 v4, 16, v4
	v_perm_b32 v16, v2, v2, 0x7060405
	v_cmp_lt_i16_sdwa vcc_lo, sext(v14), sext(v2) src0_sel:BYTE_0 src1_sel:BYTE_0
	v_and_or_b32 v5, 0xffff, v3, v5
	v_and_or_b32 v4, 0xffff, v1, v4
	v_cndmask_b32_e32 v2, v2, v16, vcc_lo
	v_cndmask_b32_e64 v3, v3, v5, s8
	v_cndmask_b32_e32 v0, v0, v6, vcc_lo
	v_cndmask_b32_e64 v1, v1, v4, s8
	v_lshrrev_b32_e32 v4, 24, v2
	v_lshrrev_b32_e32 v5, 16, v2
	;; [unrolled: 1-line block ×4, first 2 shown]
	v_perm_b32 v6, v0, v0, 0x6070504
	v_perm_b32 v15, v2, v2, 0x6070504
	v_cmp_lt_i16_sdwa vcc_lo, sext(v4), sext(v5) src0_sel:BYTE_0 src1_sel:BYTE_0
	v_perm_b32 v4, v1, v1, 0x7050604
	v_perm_b32 v5, v3, v3, 0x7050604
	v_cmp_lt_i16_sdwa s8, sext(v13), sext(v14) src0_sel:BYTE_0 src1_sel:BYTE_0
	v_cndmask_b32_e32 v0, v0, v6, vcc_lo
	v_cndmask_b32_e32 v2, v2, v15, vcc_lo
	v_cndmask_b32_e64 v1, v1, v4, s8
	v_cndmask_b32_e64 v3, v3, v5, s8
	v_lshlrev_b16 v4, 8, v0
	v_lshlrev_b16 v5, 8, v2
	v_and_b32_sdwa v6, v1, v7 dst_sel:DWORD dst_unused:UNUSED_PAD src0_sel:WORD_1 src1_sel:DWORD
	v_and_b32_sdwa v13, v3, v7 dst_sel:DWORD dst_unused:UNUSED_PAD src0_sel:WORD_1 src1_sel:DWORD
	v_or_b32_sdwa v4, v6, v4 dst_sel:WORD_1 dst_unused:UNUSED_PAD src0_sel:DWORD src1_sel:DWORD
	v_or_b32_sdwa v5, v13, v5 dst_sel:WORD_1 dst_unused:UNUSED_PAD src0_sel:DWORD src1_sel:DWORD
	v_lshrrev_b32_e32 v6, 24, v3
	v_and_or_b32 v4, 0xffff, v1, v4
	v_and_or_b32 v5, 0xffff, v3, v5
	v_cmp_lt_i16_sdwa vcc_lo, sext(v2), sext(v6) src0_sel:BYTE_0 src1_sel:BYTE_0
	v_cndmask_b32_e32 v5, v3, v5, vcc_lo
	v_cndmask_b32_e32 v4, v1, v4, vcc_lo
	v_perm_b32 v3, v3, v2, 0x3020107
	v_perm_b32 v1, v1, v0, 0x3020107
	;; [unrolled: 1-line block ×3, first 2 shown]
	v_lshrrev_b32_e32 v14, 8, v5
	v_perm_b32 v6, 0, v4, 0xc0c0001
	v_cndmask_b32_e32 v2, v2, v3, vcc_lo
	v_cndmask_b32_e32 v0, v0, v1, vcc_lo
	v_and_or_b32 v3, 0xffff0000, v5, v13
	v_cmp_lt_i16_sdwa vcc_lo, sext(v14), sext(v5) src0_sel:BYTE_0 src1_sel:BYTE_0
	v_and_or_b32 v1, 0xffff0000, v4, v6
	v_lshrrev_b32_e32 v6, 16, v2
	v_lshrrev_b32_e32 v13, 8, v2
	v_cndmask_b32_e32 v3, v5, v3, vcc_lo
	v_cndmask_b32_e32 v1, v4, v1, vcc_lo
	v_perm_b32 v4, v2, v2, 0x7050604
	v_perm_b32 v5, v0, v0, 0x7050604
	v_cmp_lt_i16_sdwa vcc_lo, sext(v6), sext(v13) src0_sel:BYTE_0 src1_sel:BYTE_0
	v_lshrrev_b32_e32 v13, 16, v3
	v_lshrrev_b32_e32 v6, 16, v1
	;; [unrolled: 1-line block ×3, first 2 shown]
	v_cndmask_b32_e32 v0, v0, v5, vcc_lo
	v_cndmask_b32_e32 v2, v2, v4, vcc_lo
	v_perm_b32 v5, 0, v13, 0xc0c0001
	v_perm_b32 v4, 0, v6, 0xc0c0001
	v_cmp_lt_i16_sdwa s8, sext(v15), sext(v13) src0_sel:BYTE_0 src1_sel:BYTE_0
	v_perm_b32 v6, v0, v0, 0x7060405
	v_lshrrev_b32_e32 v14, 8, v2
	v_lshlrev_b32_e32 v5, 16, v5
	v_lshlrev_b32_e32 v4, 16, v4
	v_perm_b32 v16, v2, v2, 0x7060405
	v_cmp_lt_i16_sdwa vcc_lo, sext(v14), sext(v2) src0_sel:BYTE_0 src1_sel:BYTE_0
	v_and_or_b32 v5, 0xffff, v3, v5
	v_and_or_b32 v4, 0xffff, v1, v4
	v_cndmask_b32_e32 v2, v2, v16, vcc_lo
	v_cndmask_b32_e64 v3, v3, v5, s8
	v_cndmask_b32_e32 v0, v0, v6, vcc_lo
	v_cndmask_b32_e64 v1, v1, v4, s8
	v_lshrrev_b32_e32 v5, 24, v2
	v_lshrrev_b32_e32 v6, 16, v2
	;; [unrolled: 1-line block ×4, first 2 shown]
	v_perm_b32 v4, v0, v0, 0x6070504
	v_perm_b32 v15, v1, v1, 0x7050604
	v_cmp_lt_i16_sdwa vcc_lo, sext(v5), sext(v6) src0_sel:BYTE_0 src1_sel:BYTE_0
	v_perm_b32 v5, v2, v2, 0x6070504
	v_cmp_lt_i16_sdwa s8, sext(v13), sext(v14) src0_sel:BYTE_0 src1_sel:BYTE_0
	v_cndmask_b32_e32 v0, v0, v4, vcc_lo
	v_perm_b32 v4, v3, v3, 0x7050604
	v_cndmask_b32_e64 v1, v1, v15, s8
	v_cndmask_b32_e32 v2, v2, v5, vcc_lo
	v_lshlrev_b16 v6, 8, v0
	v_cndmask_b32_e64 v14, v3, v4, s8
	v_and_b32_sdwa v13, v1, v7 dst_sel:DWORD dst_unused:UNUSED_PAD src0_sel:WORD_1 src1_sel:DWORD
	v_lshlrev_b16 v5, 8, v2
	v_lshrrev_b32_e32 v4, 24, v14
	v_or_b32_sdwa v3, v13, v6 dst_sel:WORD_1 dst_unused:UNUSED_PAD src0_sel:DWORD src1_sel:DWORD
	v_and_b32_sdwa v6, v14, v7 dst_sel:DWORD dst_unused:UNUSED_PAD src0_sel:WORD_1 src1_sel:DWORD
	v_perm_b32 v7, v14, v2, 0x3020107
	v_cmp_lt_i16_sdwa vcc_lo, sext(v2), sext(v4) src0_sel:BYTE_0 src1_sel:BYTE_0
	v_and_or_b32 v3, 0xffff, v1, v3
	v_or_b32_sdwa v5, v6, v5 dst_sel:WORD_1 dst_unused:UNUSED_PAD src0_sel:DWORD src1_sel:DWORD
	v_cndmask_b32_e32 v4, v1, v3, vcc_lo
	v_cndmask_b32_e32 v3, v2, v7, vcc_lo
	v_and_or_b32 v2, 0xffff, v14, v5
	v_perm_b32 v1, v1, v0, 0x3020107
	v_lshrrev_b32_e32 v6, 16, v3
	v_lshrrev_b32_e32 v7, 8, v3
	v_cndmask_b32_e32 v5, v14, v2, vcc_lo
	v_cndmask_b32_e32 v1, v0, v1, vcc_lo
	v_perm_b32 v0, v4, v4, 0x3020104
	v_cmp_lt_i16_sdwa s10, sext(v6), sext(v7) src0_sel:BYTE_0 src1_sel:BYTE_0
	v_perm_b32 v2, v5, v5, 0x3020104
	s_and_saveexec_b32 s8, s10
; %bb.20:
	v_perm_b32 v1, v1, v1, 0x7050604
	v_perm_b32 v3, v3, v3, 0x7050604
	;; [unrolled: 1-line block ×4, first 2 shown]
; %bb.21:
	s_or_b32 exec_lo, exec_lo, s8
.LBB59_22:
	s_or_b32 exec_lo, exec_lo, s9
	v_and_b32_e32 v4, 16, v12
	v_and_b32_e32 v12, 8, v12
	v_mad_u32_u24 v15, v11, 33, v8
	s_mov_b32 s9, 0
	s_mov_b32 s8, exec_lo
	v_min_i32_e32 v7, v10, v4
	v_min_i32_e32 v12, v10, v12
	; wave barrier
	ds_write_b64 v15, v[2:3]
	v_add_nc_u32_e32 v4, 8, v7
	; wave barrier
	v_min_i32_e32 v5, v10, v4
	v_add_nc_u32_e32 v4, 8, v5
	v_sub_nc_u32_e32 v14, v5, v7
	v_min_i32_e32 v6, v10, v4
	v_min_i32_e32 v14, v12, v14
	v_sub_nc_u32_e32 v4, v6, v5
	v_sub_nc_u32_e32 v13, v12, v4
	v_cmp_ge_i32_e32 vcc_lo, v12, v4
	v_mul_u32_u24_e32 v4, 33, v11
	v_cndmask_b32_e32 v13, 0, v13, vcc_lo
	v_cmpx_lt_i32_e64 v13, v14
	s_cbranch_execz .LBB59_26
; %bb.23:
	v_add_nc_u32_e32 v2, v4, v7
	v_add3_u32 v3, v4, v5, v12
	.p2align	6
.LBB59_24:                              ; =>This Inner Loop Header: Depth=1
	v_sub_nc_u32_e32 v11, v14, v13
	v_lshrrev_b32_e32 v11, 1, v11
	v_add_nc_u32_e32 v11, v11, v13
	v_add_nc_u32_e32 v15, v2, v11
	v_xad_u32 v16, v11, -1, v3
	v_add_nc_u32_e32 v17, 1, v11
	ds_read_i8 v15, v15
	ds_read_i8 v16, v16
	s_waitcnt lgkmcnt(0)
	v_cmp_lt_i16_e32 vcc_lo, v16, v15
	v_cndmask_b32_e32 v14, v14, v11, vcc_lo
	v_cndmask_b32_e32 v13, v17, v13, vcc_lo
	v_cmp_ge_i32_e32 vcc_lo, v13, v14
	s_or_b32 s9, vcc_lo, s9
	s_andn2_b32 exec_lo, exec_lo, s9
	s_cbranch_execnz .LBB59_24
; %bb.25:
	s_or_b32 exec_lo, exec_lo, s9
.LBB59_26:
	s_or_b32 exec_lo, exec_lo, s8
	v_add_nc_u32_e32 v3, v5, v12
	v_add_nc_u32_e32 v2, v13, v7
                                        ; implicit-def: $vgpr12
	v_sub_nc_u32_e32 v3, v3, v13
	v_add_nc_u32_e32 v13, v4, v2
	v_cmp_le_i32_e32 vcc_lo, v5, v2
	v_add_nc_u32_e32 v14, v4, v3
	v_cmp_gt_i32_e64 s9, v6, v3
	ds_read_u8 v7, v13
	ds_read_u8 v11, v14
	s_waitcnt lgkmcnt(1)
	v_bfe_i32 v7, v7, 0, 8
	s_waitcnt lgkmcnt(0)
	v_bfe_i32 v11, v11, 0, 8
	v_cmp_lt_i16_e64 s8, v11, v7
	s_or_b32 s8, vcc_lo, s8
	s_and_b32 s8, s9, s8
	s_xor_b32 s9, s8, -1
	s_and_saveexec_b32 s10, s9
	s_xor_b32 s9, exec_lo, s10
; %bb.27:
	ds_read_u8 v12, v13 offset:1
                                        ; implicit-def: $vgpr14
; %bb.28:
	s_or_saveexec_b32 s9, s9
	v_mov_b32_e32 v13, v11
	s_xor_b32 exec_lo, exec_lo, s9
	s_cbranch_execz .LBB59_30
; %bb.29:
	ds_read_u8 v13, v14 offset:1
	s_waitcnt lgkmcnt(1)
	v_mov_b32_e32 v12, v7
.LBB59_30:
	s_or_b32 exec_lo, exec_lo, s9
	v_add_nc_u32_e32 v14, 1, v2
	v_add_nc_u32_e32 v15, 1, v3
	s_waitcnt lgkmcnt(0)
	v_cmp_lt_i16_sdwa s10, sext(v13), sext(v12) src0_sel:BYTE_0 src1_sel:BYTE_0
                                        ; implicit-def: $vgpr16
	v_cndmask_b32_e64 v14, v14, v2, s8
	v_cndmask_b32_e64 v15, v3, v15, s8
	v_cmp_ge_i32_e32 vcc_lo, v14, v5
	v_cmp_lt_i32_e64 s9, v15, v6
	s_or_b32 s10, vcc_lo, s10
	s_and_b32 s9, s9, s10
	s_xor_b32 s10, s9, -1
	s_and_saveexec_b32 s11, s10
	s_xor_b32 s10, exec_lo, s11
; %bb.31:
	v_add_nc_u32_e32 v16, v4, v14
	ds_read_u8 v16, v16 offset:1
; %bb.32:
	s_or_saveexec_b32 s10, s10
	v_mov_b32_e32 v17, v13
	s_xor_b32 exec_lo, exec_lo, s10
	s_cbranch_execz .LBB59_34
; %bb.33:
	s_waitcnt lgkmcnt(0)
	v_add_nc_u32_e32 v16, v4, v15
	ds_read_u8 v17, v16 offset:1
	v_mov_b32_e32 v16, v12
.LBB59_34:
	s_or_b32 exec_lo, exec_lo, s10
	v_add_nc_u32_e32 v18, 1, v14
	v_add_nc_u32_e32 v19, 1, v15
	s_waitcnt lgkmcnt(0)
	v_cmp_lt_i16_sdwa s11, sext(v17), sext(v16) src0_sel:BYTE_0 src1_sel:BYTE_0
                                        ; implicit-def: $vgpr20
	v_cndmask_b32_e64 v18, v18, v14, s9
	v_cndmask_b32_e64 v19, v15, v19, s9
	v_cmp_ge_i32_e32 vcc_lo, v18, v5
	v_cmp_lt_i32_e64 s10, v19, v6
	s_or_b32 s11, vcc_lo, s11
	s_and_b32 s10, s10, s11
	s_xor_b32 s11, s10, -1
	s_and_saveexec_b32 s12, s11
	s_xor_b32 s11, exec_lo, s12
; %bb.35:
	v_add_nc_u32_e32 v20, v4, v18
	ds_read_u8 v20, v20 offset:1
; %bb.36:
	s_or_saveexec_b32 s11, s11
	v_mov_b32_e32 v21, v17
	s_xor_b32 exec_lo, exec_lo, s11
	s_cbranch_execz .LBB59_38
; %bb.37:
	s_waitcnt lgkmcnt(0)
	v_add_nc_u32_e32 v20, v4, v19
	ds_read_u8 v21, v20 offset:1
	v_mov_b32_e32 v20, v16
.LBB59_38:
	s_or_b32 exec_lo, exec_lo, s11
	v_add_nc_u32_e32 v22, 1, v18
	v_add_nc_u32_e32 v23, 1, v19
	s_waitcnt lgkmcnt(0)
	v_cmp_lt_i16_sdwa s12, sext(v21), sext(v20) src0_sel:BYTE_0 src1_sel:BYTE_0
                                        ; implicit-def: $vgpr24
	v_cndmask_b32_e64 v22, v22, v18, s10
	v_cndmask_b32_e64 v23, v19, v23, s10
	v_cmp_ge_i32_e32 vcc_lo, v22, v5
	v_cmp_lt_i32_e64 s11, v23, v6
	s_or_b32 s12, vcc_lo, s12
	s_and_b32 s11, s11, s12
	s_xor_b32 s12, s11, -1
	s_and_saveexec_b32 s13, s12
	s_xor_b32 s12, exec_lo, s13
; %bb.39:
	v_add_nc_u32_e32 v24, v4, v22
	ds_read_u8 v24, v24 offset:1
; %bb.40:
	s_or_saveexec_b32 s12, s12
	v_mov_b32_e32 v25, v21
	s_xor_b32 exec_lo, exec_lo, s12
	s_cbranch_execz .LBB59_42
; %bb.41:
	s_waitcnt lgkmcnt(0)
	v_add_nc_u32_e32 v24, v4, v23
	ds_read_u8 v25, v24 offset:1
	v_mov_b32_e32 v24, v20
.LBB59_42:
	s_or_b32 exec_lo, exec_lo, s12
	v_add_nc_u32_e32 v26, 1, v22
	v_add_nc_u32_e32 v27, 1, v23
	s_waitcnt lgkmcnt(0)
	v_cmp_lt_i16_sdwa s13, sext(v25), sext(v24) src0_sel:BYTE_0 src1_sel:BYTE_0
                                        ; implicit-def: $vgpr28
	v_cndmask_b32_e64 v26, v26, v22, s11
	v_cndmask_b32_e64 v27, v23, v27, s11
	v_cmp_ge_i32_e32 vcc_lo, v26, v5
	v_cmp_lt_i32_e64 s12, v27, v6
	s_or_b32 s13, vcc_lo, s13
	s_and_b32 s12, s12, s13
	s_xor_b32 s13, s12, -1
	s_and_saveexec_b32 s14, s13
	s_xor_b32 s13, exec_lo, s14
; %bb.43:
	v_add_nc_u32_e32 v28, v4, v26
	ds_read_u8 v28, v28 offset:1
; %bb.44:
	s_or_saveexec_b32 s13, s13
	v_mov_b32_e32 v29, v25
	s_xor_b32 exec_lo, exec_lo, s13
	s_cbranch_execz .LBB59_46
; %bb.45:
	s_waitcnt lgkmcnt(0)
	v_add_nc_u32_e32 v28, v4, v27
	ds_read_u8 v29, v28 offset:1
	v_mov_b32_e32 v28, v24
.LBB59_46:
	s_or_b32 exec_lo, exec_lo, s13
	v_add_nc_u32_e32 v30, 1, v26
	v_add_nc_u32_e32 v31, 1, v27
	s_waitcnt lgkmcnt(0)
	v_cmp_lt_i16_sdwa s14, sext(v29), sext(v28) src0_sel:BYTE_0 src1_sel:BYTE_0
                                        ; implicit-def: $vgpr32
	v_cndmask_b32_e64 v30, v30, v26, s12
	v_cndmask_b32_e64 v31, v27, v31, s12
	v_cmp_ge_i32_e32 vcc_lo, v30, v5
	v_cmp_lt_i32_e64 s13, v31, v6
	s_or_b32 s14, vcc_lo, s14
	s_and_b32 vcc_lo, s13, s14
	s_xor_b32 s13, vcc_lo, -1
	s_and_saveexec_b32 s14, s13
	s_xor_b32 s13, exec_lo, s14
; %bb.47:
	v_add_nc_u32_e32 v32, v4, v30
	ds_read_u8 v32, v32 offset:1
; %bb.48:
	s_or_saveexec_b32 s13, s13
	v_mov_b32_e32 v33, v29
	s_xor_b32 exec_lo, exec_lo, s13
	s_cbranch_execz .LBB59_50
; %bb.49:
	s_waitcnt lgkmcnt(0)
	v_add_nc_u32_e32 v32, v4, v31
	ds_read_u8 v33, v32 offset:1
	v_mov_b32_e32 v32, v28
.LBB59_50:
	s_or_b32 exec_lo, exec_lo, s13
	v_add_nc_u32_e32 v34, 1, v30
	v_add_nc_u32_e32 v36, 1, v31
	s_waitcnt lgkmcnt(0)
	v_cmp_lt_i16_sdwa s15, sext(v33), sext(v32) src0_sel:BYTE_0 src1_sel:BYTE_0
	v_cndmask_b32_e32 v35, v34, v30, vcc_lo
	v_cndmask_b32_e32 v36, v31, v36, vcc_lo
                                        ; implicit-def: $vgpr34
	v_cmp_ge_i32_e64 s13, v35, v5
	v_cmp_lt_i32_e64 s14, v36, v6
	s_or_b32 s13, s13, s15
	s_and_b32 s13, s14, s13
	s_xor_b32 s14, s13, -1
	s_and_saveexec_b32 s15, s14
	s_xor_b32 s14, exec_lo, s15
; %bb.51:
	v_add_nc_u32_e32 v34, v4, v35
	ds_read_u8 v34, v34 offset:1
; %bb.52:
	s_or_saveexec_b32 s14, s14
	v_mov_b32_e32 v37, v33
	s_xor_b32 exec_lo, exec_lo, s14
	s_cbranch_execz .LBB59_54
; %bb.53:
	s_waitcnt lgkmcnt(0)
	v_add_nc_u32_e32 v34, v4, v36
	ds_read_u8 v37, v34 offset:1
	v_mov_b32_e32 v34, v32
.LBB59_54:
	s_or_b32 exec_lo, exec_lo, s14
	v_add_nc_u32_e32 v38, 1, v36
	v_add_nc_u32_e32 v39, 1, v35
	v_cndmask_b32_e64 v32, v32, v33, s13
	v_cndmask_b32_sdwa v28, v28, v29, vcc_lo dst_sel:BYTE_1 dst_unused:UNUSED_PAD src0_sel:DWORD src1_sel:DWORD
	v_cndmask_b32_e32 v29, v30, v31, vcc_lo
	v_cndmask_b32_e64 v33, v36, v38, s13
	v_cndmask_b32_e64 v38, v39, v35, s13
	;; [unrolled: 1-line block ×6, first 2 shown]
	v_cmp_ge_i32_e32 vcc_lo, v38, v5
	s_waitcnt lgkmcnt(0)
	v_cmp_lt_i16_sdwa s11, sext(v37), sext(v34) src0_sel:BYTE_0 src1_sel:BYTE_0
	v_cmp_lt_i32_e64 s10, v33, v6
	v_cndmask_b32_e64 v6, v14, v15, s9
	v_min_i32_e32 v15, 0, v10
	v_cndmask_b32_e64 v3, v2, v3, s8
	v_add_nc_u32_e32 v2, v4, v8
	v_cndmask_b32_e64 v5, v12, v13, s9
	v_cndmask_b32_e64 v18, v7, v11, s8
	s_or_b32 s9, vcc_lo, s11
	v_add_nc_u32_e32 v11, 16, v15
	s_and_b32 vcc_lo, s10, s9
	v_cndmask_b32_e64 v24, v24, v25, s12
	v_cndmask_b32_e64 v25, v26, v27, s12
	v_cndmask_b32_e64 v35, v35, v36, s13
	v_cndmask_b32_e32 v7, v38, v33, vcc_lo
	; wave barrier
	ds_write_b64 v2, v[0:1]
	v_add_nc_u32_e32 v1, v4, v3
	v_min_i32_e32 v14, v10, v11
	v_add_nc_u32_e32 v3, v4, v6
	v_add_nc_u32_e32 v6, v4, v17
	;; [unrolled: 1-line block ×5, first 2 shown]
	; wave barrier
	v_add_nc_u32_e32 v17, v4, v35
	v_add_nc_u32_e32 v21, v4, v7
	v_lshlrev_b16 v22, 8, v5
	ds_read_u8 v1, v1
	ds_read_u8 v3, v3
	;; [unrolled: 1-line block ×8, first 2 shown]
	v_add_nc_u32_e32 v0, 16, v14
	v_cndmask_b32_e32 v19, v34, v37, vcc_lo
	v_lshlrev_b16 v17, 8, v20
	v_or_b32_sdwa v18, v18, v22 dst_sel:DWORD dst_unused:UNUSED_PAD src0_sel:BYTE_0 src1_sel:DWORD
	v_or_b32_sdwa v21, v24, v28 dst_sel:DWORD dst_unused:UNUSED_PAD src0_sel:BYTE_0 src1_sel:DWORD
	v_min_i32_e32 v0, v10, v0
	v_min_i32_e32 v10, v10, v8
	v_lshlrev_b16 v19, 8, v19
	v_or_b32_sdwa v16, v16, v17 dst_sel:WORD_1 dst_unused:UNUSED_PAD src0_sel:BYTE_0 src1_sel:DWORD
	v_sub_nc_u32_e32 v22, v14, v15
	v_sub_nc_u32_e32 v20, v0, v14
	s_mov_b32 s9, 0
	v_or_b32_sdwa v19, v32, v19 dst_sel:WORD_1 dst_unused:UNUSED_PAD src0_sel:BYTE_0 src1_sel:DWORD
	v_or_b32_sdwa v18, v18, v16 dst_sel:DWORD dst_unused:UNUSED_PAD src0_sel:WORD_0 src1_sel:DWORD
	s_mov_b32 s8, exec_lo
	v_sub_nc_u32_e32 v17, v10, v20
	v_cmp_ge_i32_e32 vcc_lo, v10, v20
	v_or_b32_sdwa v19, v21, v19 dst_sel:DWORD dst_unused:UNUSED_PAD src0_sel:WORD_0 src1_sel:DWORD
	; wave barrier
	v_cndmask_b32_e32 v16, 0, v17, vcc_lo
	v_min_i32_e32 v17, v10, v22
	ds_write_b64 v2, v[18:19]
	; wave barrier
	v_cmpx_lt_i32_e64 v16, v17
	s_cbranch_execz .LBB59_58
; %bb.55:
	v_add_nc_u32_e32 v18, v4, v15
	v_add3_u32 v19, v4, v14, v10
	.p2align	6
.LBB59_56:                              ; =>This Inner Loop Header: Depth=1
	v_sub_nc_u32_e32 v20, v17, v16
	v_lshrrev_b32_e32 v20, 1, v20
	v_add_nc_u32_e32 v20, v20, v16
	v_add_nc_u32_e32 v21, v18, v20
	v_xad_u32 v22, v20, -1, v19
	v_add_nc_u32_e32 v23, 1, v20
	ds_read_i8 v21, v21
	ds_read_i8 v22, v22
	s_waitcnt lgkmcnt(0)
	v_cmp_lt_i16_e32 vcc_lo, v22, v21
	v_cndmask_b32_e32 v17, v17, v20, vcc_lo
	v_cndmask_b32_e32 v16, v23, v16, vcc_lo
	v_cmp_ge_i32_e32 vcc_lo, v16, v17
	s_or_b32 s9, vcc_lo, s9
	s_andn2_b32 exec_lo, exec_lo, s9
	s_cbranch_execnz .LBB59_56
; %bb.57:
	s_or_b32 exec_lo, exec_lo, s9
.LBB59_58:
	s_or_b32 exec_lo, exec_lo, s8
	v_add_nc_u32_e32 v17, v14, v10
	v_add_nc_u32_e32 v10, v16, v15
                                        ; implicit-def: $vgpr20
	v_sub_nc_u32_e32 v15, v17, v16
	v_add_nc_u32_e32 v17, v4, v10
	v_cmp_le_i32_e32 vcc_lo, v14, v10
	v_add_nc_u32_e32 v16, v4, v15
	v_cmp_gt_i32_e64 s9, v0, v15
	ds_read_u8 v18, v17
	ds_read_u8 v19, v16
	s_waitcnt lgkmcnt(1)
	v_bfe_i32 v18, v18, 0, 8
	s_waitcnt lgkmcnt(0)
	v_bfe_i32 v19, v19, 0, 8
	v_cmp_lt_i16_e64 s8, v19, v18
	s_or_b32 s8, vcc_lo, s8
	s_and_b32 s8, s9, s8
	s_xor_b32 s9, s8, -1
	s_and_saveexec_b32 s10, s9
	s_xor_b32 s9, exec_lo, s10
; %bb.59:
	ds_read_u8 v20, v17 offset:1
                                        ; implicit-def: $vgpr16
; %bb.60:
	s_or_saveexec_b32 s9, s9
	v_mov_b32_e32 v21, v19
	s_xor_b32 exec_lo, exec_lo, s9
	s_cbranch_execz .LBB59_62
; %bb.61:
	ds_read_u8 v21, v16 offset:1
	s_waitcnt lgkmcnt(1)
	v_mov_b32_e32 v20, v18
.LBB59_62:
	s_or_b32 exec_lo, exec_lo, s9
	v_add_nc_u32_e32 v16, 1, v10
	v_add_nc_u32_e32 v17, 1, v15
	s_waitcnt lgkmcnt(0)
	v_cmp_lt_i16_sdwa s10, sext(v21), sext(v20) src0_sel:BYTE_0 src1_sel:BYTE_0
                                        ; implicit-def: $vgpr22
	v_cndmask_b32_e64 v16, v16, v10, s8
	v_cndmask_b32_e64 v17, v15, v17, s8
	v_cmp_ge_i32_e32 vcc_lo, v16, v14
	v_cmp_lt_i32_e64 s9, v17, v0
	s_or_b32 s10, vcc_lo, s10
	s_and_b32 vcc_lo, s9, s10
	s_xor_b32 s9, vcc_lo, -1
	s_and_saveexec_b32 s10, s9
	s_xor_b32 s9, exec_lo, s10
; %bb.63:
	v_add_nc_u32_e32 v22, v4, v16
	ds_read_u8 v22, v22 offset:1
; %bb.64:
	s_or_saveexec_b32 s9, s9
	v_mov_b32_e32 v23, v21
	s_xor_b32 exec_lo, exec_lo, s9
	s_cbranch_execz .LBB59_66
; %bb.65:
	s_waitcnt lgkmcnt(0)
	v_add_nc_u32_e32 v22, v4, v17
	ds_read_u8 v23, v22 offset:1
	v_mov_b32_e32 v22, v20
.LBB59_66:
	s_or_b32 exec_lo, exec_lo, s9
	v_add_nc_u32_e32 v24, 1, v16
	v_add_nc_u32_e32 v25, 1, v17
	s_waitcnt lgkmcnt(0)
	v_cmp_lt_i16_sdwa s11, sext(v23), sext(v22) src0_sel:BYTE_0 src1_sel:BYTE_0
                                        ; implicit-def: $vgpr26
	v_cndmask_b32_e32 v24, v24, v16, vcc_lo
	v_cndmask_b32_e32 v25, v17, v25, vcc_lo
	v_cmp_ge_i32_e64 s9, v24, v14
	v_cmp_lt_i32_e64 s10, v25, v0
	s_or_b32 s9, s9, s11
	s_and_b32 s9, s10, s9
	s_xor_b32 s10, s9, -1
	s_and_saveexec_b32 s11, s10
	s_xor_b32 s10, exec_lo, s11
; %bb.67:
	v_add_nc_u32_e32 v26, v4, v24
	ds_read_u8 v26, v26 offset:1
; %bb.68:
	s_or_saveexec_b32 s10, s10
	v_mov_b32_e32 v27, v23
	s_xor_b32 exec_lo, exec_lo, s10
	s_cbranch_execz .LBB59_70
; %bb.69:
	s_waitcnt lgkmcnt(0)
	v_add_nc_u32_e32 v26, v4, v25
	ds_read_u8 v27, v26 offset:1
	v_mov_b32_e32 v26, v22
.LBB59_70:
	s_or_b32 exec_lo, exec_lo, s10
	v_add_nc_u32_e32 v28, 1, v24
	v_add_nc_u32_e32 v29, 1, v25
	s_waitcnt lgkmcnt(0)
	v_cmp_lt_i16_sdwa s12, sext(v27), sext(v26) src0_sel:BYTE_0 src1_sel:BYTE_0
                                        ; implicit-def: $vgpr30
	v_cndmask_b32_e64 v28, v28, v24, s9
	v_cndmask_b32_e64 v29, v25, v29, s9
	v_cmp_ge_i32_e64 s10, v28, v14
	v_cmp_lt_i32_e64 s11, v29, v0
	s_or_b32 s10, s10, s12
	s_and_b32 s10, s11, s10
	s_xor_b32 s11, s10, -1
	s_and_saveexec_b32 s12, s11
	s_xor_b32 s11, exec_lo, s12
; %bb.71:
	v_add_nc_u32_e32 v30, v4, v28
	ds_read_u8 v30, v30 offset:1
; %bb.72:
	s_or_saveexec_b32 s11, s11
	v_mov_b32_e32 v31, v27
	s_xor_b32 exec_lo, exec_lo, s11
	s_cbranch_execz .LBB59_74
; %bb.73:
	s_waitcnt lgkmcnt(0)
	v_add_nc_u32_e32 v30, v4, v29
	ds_read_u8 v31, v30 offset:1
	v_mov_b32_e32 v30, v26
.LBB59_74:
	s_or_b32 exec_lo, exec_lo, s11
	v_add_nc_u32_e32 v32, 1, v28
	v_add_nc_u32_e32 v33, 1, v29
	s_waitcnt lgkmcnt(0)
	v_cmp_lt_i16_sdwa s13, sext(v31), sext(v30) src0_sel:BYTE_0 src1_sel:BYTE_0
                                        ; implicit-def: $vgpr34
	v_cndmask_b32_e64 v32, v32, v28, s10
	v_cndmask_b32_e64 v33, v29, v33, s10
	v_cmp_ge_i32_e64 s11, v32, v14
	v_cmp_lt_i32_e64 s12, v33, v0
	s_or_b32 s11, s11, s13
	s_and_b32 s11, s12, s11
	s_xor_b32 s12, s11, -1
	s_and_saveexec_b32 s13, s12
	s_xor_b32 s12, exec_lo, s13
; %bb.75:
	v_add_nc_u32_e32 v34, v4, v32
	ds_read_u8 v34, v34 offset:1
; %bb.76:
	s_or_saveexec_b32 s12, s12
	v_mov_b32_e32 v35, v31
	s_xor_b32 exec_lo, exec_lo, s12
	s_cbranch_execz .LBB59_78
; %bb.77:
	s_waitcnt lgkmcnt(0)
	v_add_nc_u32_e32 v34, v4, v33
	ds_read_u8 v35, v34 offset:1
	v_mov_b32_e32 v34, v30
.LBB59_78:
	s_or_b32 exec_lo, exec_lo, s12
	v_add_nc_u32_e32 v36, 1, v32
	v_add_nc_u32_e32 v38, 1, v33
	s_waitcnt lgkmcnt(0)
	v_cmp_lt_i16_sdwa s14, sext(v35), sext(v34) src0_sel:BYTE_0 src1_sel:BYTE_0
                                        ; implicit-def: $vgpr42
	v_cndmask_b32_e64 v37, v36, v32, s11
	v_cndmask_b32_e64 v38, v33, v38, s11
	v_cmp_ge_i32_e64 s12, v37, v14
	v_cmp_lt_i32_e64 s13, v38, v0
	s_or_b32 s12, s12, s14
	s_and_b32 s12, s13, s12
	s_xor_b32 s13, s12, -1
	s_and_saveexec_b32 s14, s13
	s_xor_b32 s13, exec_lo, s14
; %bb.79:
	v_add_nc_u32_e32 v36, v4, v37
	ds_read_u8 v42, v36 offset:1
; %bb.80:
	s_or_saveexec_b32 s13, s13
	v_mov_b32_e32 v44, v35
	s_xor_b32 exec_lo, exec_lo, s13
	s_cbranch_execz .LBB59_82
; %bb.81:
	v_add_nc_u32_e32 v36, v4, v38
	s_waitcnt lgkmcnt(0)
	v_mov_b32_e32 v42, v34
	ds_read_u8 v44, v36 offset:1
.LBB59_82:
	s_or_b32 exec_lo, exec_lo, s13
	v_add_nc_u32_e32 v36, 1, v37
	v_add_nc_u32_e32 v39, 1, v38
	s_waitcnt lgkmcnt(0)
	v_cmp_lt_i16_sdwa s15, sext(v44), sext(v42) src0_sel:BYTE_0 src1_sel:BYTE_0
                                        ; implicit-def: $vgpr41
	v_cndmask_b32_e64 v45, v36, v37, s12
	v_cndmask_b32_e64 v36, v38, v39, s12
                                        ; implicit-def: $vgpr39
	v_cmp_ge_i32_e64 s13, v45, v14
	v_cmp_lt_i32_e64 s14, v36, v0
	s_or_b32 s13, s13, s15
	s_and_b32 s13, s14, s13
	s_xor_b32 s14, s13, -1
	s_and_saveexec_b32 s15, s14
	s_xor_b32 s14, exec_lo, s15
; %bb.83:
	v_add_nc_u32_e32 v39, v4, v45
	ds_read_u8 v41, v39 offset:1
	v_add_nc_u32_e32 v39, 1, v45
; %bb.84:
	s_or_saveexec_b32 s14, s14
	v_mov_b32_e32 v40, v45
	v_mov_b32_e32 v43, v44
	s_xor_b32 exec_lo, exec_lo, s14
	s_cbranch_execz .LBB59_86
; %bb.85:
	v_add_nc_u32_e32 v39, v4, v36
	s_waitcnt lgkmcnt(0)
	v_add_nc_u32_e32 v41, 1, v36
	v_mov_b32_e32 v40, v36
	ds_read_u8 v43, v39 offset:1
	v_mov_b32_e32 v39, v45
	v_mov_b32_e32 v36, v41
	;; [unrolled: 1-line block ×3, first 2 shown]
.LBB59_86:
	s_or_b32 exec_lo, exec_lo, s14
	v_perm_b32 v7, v7, v11, 0xc0c0004
	v_perm_b32 v11, v12, v13, 0xc0c0004
	;; [unrolled: 1-line block ×4, first 2 shown]
	v_cndmask_b32_e64 v6, v10, v15, s8
	v_cndmask_b32_e64 v18, v18, v19, s8
	v_cmp_lt_i32_e64 s8, v36, v0
	v_lshl_or_b32 v1, v11, 16, v7
	v_lshl_or_b32 v0, v5, 16, v3
	v_add_nc_u32_e32 v3, v4, v6
	; wave barrier
	v_cndmask_b32_sdwa v19, v20, v21, vcc_lo dst_sel:BYTE_1 dst_unused:UNUSED_PAD src0_sel:DWORD src1_sel:DWORD
	ds_write_b64 v2, v[0:1]
	; wave barrier
	ds_read_u8 v0, v3
	v_cndmask_b32_e64 v20, v22, v23, s9
	v_cndmask_b32_e64 v21, v26, v27, s10
	;; [unrolled: 1-line block ×4, first 2 shown]
	v_cmp_ge_i32_e64 s9, v39, v14
	s_waitcnt lgkmcnt(2)
	v_cmp_lt_i16_sdwa s10, sext(v43), sext(v41) src0_sel:BYTE_0 src1_sel:BYTE_0
	v_cndmask_b32_e64 v22, v30, v31, s11
	v_cndmask_b32_e64 v30, v32, v33, s11
	v_cndmask_b32_e32 v1, v16, v17, vcc_lo
	v_cndmask_b32_e64 v27, v37, v38, s12
	s_or_b32 s9, s9, s10
	v_add_nc_u32_e32 v6, v4, v24
	s_and_b32 vcc_lo, s8, s9
	v_add_nc_u32_e32 v7, v4, v30
	v_cndmask_b32_e32 v5, v39, v36, vcc_lo
	v_add_nc_u32_e32 v1, v4, v1
	v_add_nc_u32_e32 v10, v4, v28
	v_cndmask_b32_e64 v23, v34, v35, s12
	v_cndmask_b32_e32 v2, v41, v43, vcc_lo
	v_lshlrev_b16 v3, 8, v21
	v_add_nc_u32_e32 v11, v4, v27
	v_add_nc_u32_e32 v12, v4, v40
	;; [unrolled: 1-line block ×3, first 2 shown]
	s_waitcnt lgkmcnt(0)
	v_add_nc_u16 v0, v0, v18
	ds_read_u8 v5, v7
	ds_read_u8 v1, v1
	;; [unrolled: 1-line block ×7, first 2 shown]
	v_cndmask_b32_e64 v26, v42, v44, s13
	v_lshlrev_b16 v12, 8, v23
	v_lshlrev_b16 v2, 8, v2
	v_or_b32_sdwa v13, v18, v19 dst_sel:DWORD dst_unused:UNUSED_PAD src0_sel:BYTE_0 src1_sel:DWORD
	v_or_b32_sdwa v3, v20, v3 dst_sel:WORD_1 dst_unused:UNUSED_PAD src0_sel:BYTE_0 src1_sel:DWORD
	v_or_b32_sdwa v0, v0, v19 dst_sel:DWORD dst_unused:UNUSED_PAD src0_sel:BYTE_0 src1_sel:DWORD
	v_or_b32_sdwa v12, v22, v12 dst_sel:DWORD dst_unused:UNUSED_PAD src0_sel:BYTE_0 src1_sel:DWORD
	v_or_b32_sdwa v2, v26, v2 dst_sel:WORD_1 dst_unused:UNUSED_PAD src0_sel:BYTE_0 src1_sel:DWORD
	v_or_b32_sdwa v13, v13, v3 dst_sel:DWORD dst_unused:UNUSED_PAD src0_sel:WORD_0 src1_sel:DWORD
	v_or_b32_sdwa v0, v0, v3 dst_sel:DWORD dst_unused:UNUSED_PAD src0_sel:WORD_0 src1_sel:DWORD
	;; [unrolled: 1-line block ×3, first 2 shown]
	s_waitcnt lgkmcnt(6)
	v_add_nc_u16 v3, v12, v5
	v_cndmask_b32_e64 v0, v13, v0, s0
	v_perm_b32 v3, v3, v2, 0x3020104
	v_lshrrev_b32_e32 v5, 8, v0
	v_cndmask_b32_e64 v2, v2, v3, s4
	s_waitcnt lgkmcnt(5)
	v_add_nc_u16 v1, v5, v1
	v_mov_b32_e32 v5, 0xff
	v_lshrrev_b32_e32 v3, 8, v2
	v_lshlrev_b16 v1, 8, v1
	s_waitcnt lgkmcnt(2)
	v_add_nc_u16 v3, v3, v10
	v_or_b32_sdwa v1, v0, v1 dst_sel:DWORD dst_unused:UNUSED_PAD src0_sel:BYTE_0 src1_sel:DWORD
	v_lshlrev_b16 v3, 8, v3
	v_and_b32_e32 v1, 0xffff, v1
	v_or_b32_sdwa v3, v2, v3 dst_sel:DWORD dst_unused:UNUSED_PAD src0_sel:BYTE_0 src1_sel:DWORD
	v_and_or_b32 v1, 0xffff0000, v0, v1
	v_and_b32_e32 v3, 0xffff, v3
	v_cndmask_b32_e64 v0, v0, v1, s1
	v_and_or_b32 v1, 0xffff0000, v2, v3
	v_lshrrev_b32_e32 v3, 16, v0
	v_cndmask_b32_e64 v1, v2, v1, s5
	v_add_nc_u16 v2, v3, v6
	v_lshrrev_b32_e32 v3, 16, v1
	v_perm_b32 v2, v2, v0, 0xc0c0304
	s_waitcnt lgkmcnt(1)
	v_add_nc_u16 v3, v3, v11
	v_lshlrev_b32_e32 v2, 16, v2
	v_perm_b32 v3, v1, v3, 0x7000504
	v_and_or_b32 v2, 0xffff, v0, v2
	v_cndmask_b32_e64 v1, v1, v3, s6
	v_cndmask_b32_e64 v0, v0, v2, s2
	v_lshrrev_b32_e32 v2, 24, v1
	v_lshrrev_b32_e32 v3, 24, v0
	s_waitcnt lgkmcnt(0)
	v_add_nc_u16 v2, v2, v4
	v_and_b32_sdwa v4, v1, v5 dst_sel:DWORD dst_unused:UNUSED_PAD src0_sel:WORD_1 src1_sel:DWORD
	v_add_nc_u16 v3, v3, v7
	v_and_b32_sdwa v5, v0, v5 dst_sel:DWORD dst_unused:UNUSED_PAD src0_sel:WORD_1 src1_sel:DWORD
	v_lshlrev_b16 v2, 8, v2
	v_lshlrev_b16 v3, 8, v3
	v_or_b32_sdwa v2, v4, v2 dst_sel:WORD_1 dst_unused:UNUSED_PAD src0_sel:DWORD src1_sel:DWORD
	v_add_co_u32 v4, s8, s18, v9
	v_or_b32_sdwa v3, v5, v3 dst_sel:WORD_1 dst_unused:UNUSED_PAD src0_sel:DWORD src1_sel:DWORD
	v_add_co_ci_u32_e64 v5, null, s19, 0, s8
	v_and_or_b32 v2, 0xffff, v1, v2
	v_and_or_b32 v3, 0xffff, v0, v3
	v_cndmask_b32_e64 v2, v1, v2, s7
	v_cndmask_b32_e64 v3, v0, v3, s3
	v_add_co_u32 v0, vcc_lo, v4, v8
	v_add_co_ci_u32_e64 v1, null, 0, v5, vcc_lo
	s_and_saveexec_b32 s8, s0
	s_cbranch_execnz .LBB59_95
; %bb.87:
	s_or_b32 exec_lo, exec_lo, s8
	s_and_saveexec_b32 s0, s1
	s_cbranch_execnz .LBB59_96
.LBB59_88:
	s_or_b32 exec_lo, exec_lo, s0
	s_and_saveexec_b32 s0, s2
	s_cbranch_execnz .LBB59_97
.LBB59_89:
	s_or_b32 exec_lo, exec_lo, s0
	s_and_saveexec_b32 s0, s3
	s_cbranch_execnz .LBB59_98
.LBB59_90:
	s_or_b32 exec_lo, exec_lo, s0
	s_and_saveexec_b32 s0, s4
	s_cbranch_execnz .LBB59_99
.LBB59_91:
	s_or_b32 exec_lo, exec_lo, s0
	s_and_saveexec_b32 s0, s5
	s_cbranch_execnz .LBB59_100
.LBB59_92:
	s_or_b32 exec_lo, exec_lo, s0
	s_and_saveexec_b32 s0, s6
	s_cbranch_execnz .LBB59_101
.LBB59_93:
	s_or_b32 exec_lo, exec_lo, s0
	s_and_saveexec_b32 s0, s7
	s_cbranch_execnz .LBB59_102
.LBB59_94:
	s_endpgm
.LBB59_95:
	global_store_byte v[0:1], v3, off
	s_or_b32 exec_lo, exec_lo, s8
	s_and_saveexec_b32 s0, s1
	s_cbranch_execz .LBB59_88
.LBB59_96:
	v_lshrrev_b32_e32 v4, 8, v3
	global_store_byte v[0:1], v4, off offset:1
	s_or_b32 exec_lo, exec_lo, s0
	s_and_saveexec_b32 s0, s2
	s_cbranch_execz .LBB59_89
.LBB59_97:
	global_store_byte_d16_hi v[0:1], v3, off offset:2
	s_or_b32 exec_lo, exec_lo, s0
	s_and_saveexec_b32 s0, s3
	s_cbranch_execz .LBB59_90
.LBB59_98:
	v_lshrrev_b32_e32 v3, 24, v3
	global_store_byte v[0:1], v3, off offset:3
	s_or_b32 exec_lo, exec_lo, s0
	s_and_saveexec_b32 s0, s4
	s_cbranch_execz .LBB59_91
.LBB59_99:
	global_store_byte v[0:1], v2, off offset:4
	s_or_b32 exec_lo, exec_lo, s0
	s_and_saveexec_b32 s0, s5
	s_cbranch_execz .LBB59_92
.LBB59_100:
	v_lshrrev_b32_e32 v3, 8, v2
	global_store_byte v[0:1], v3, off offset:5
	s_or_b32 exec_lo, exec_lo, s0
	s_and_saveexec_b32 s0, s6
	s_cbranch_execz .LBB59_93
.LBB59_101:
	global_store_byte_d16_hi v[0:1], v2, off offset:6
	s_or_b32 exec_lo, exec_lo, s0
	s_and_saveexec_b32 s0, s7
	s_cbranch_execz .LBB59_94
.LBB59_102:
	v_lshrrev_b32_e32 v2, 24, v2
	global_store_byte v[0:1], v2, off offset:7
	s_endpgm
	.section	.rodata,"a",@progbits
	.p2align	6, 0x0
	.amdhsa_kernel _Z20sort_pairs_segmentedILj256ELj4ELj8EaN10test_utils4lessEEvPKT2_PS2_PKjT3_
		.amdhsa_group_segment_fixed_size 2112
		.amdhsa_private_segment_fixed_size 0
		.amdhsa_kernarg_size 28
		.amdhsa_user_sgpr_count 6
		.amdhsa_user_sgpr_private_segment_buffer 1
		.amdhsa_user_sgpr_dispatch_ptr 0
		.amdhsa_user_sgpr_queue_ptr 0
		.amdhsa_user_sgpr_kernarg_segment_ptr 1
		.amdhsa_user_sgpr_dispatch_id 0
		.amdhsa_user_sgpr_flat_scratch_init 0
		.amdhsa_user_sgpr_private_segment_size 0
		.amdhsa_wavefront_size32 1
		.amdhsa_uses_dynamic_stack 0
		.amdhsa_system_sgpr_private_segment_wavefront_offset 0
		.amdhsa_system_sgpr_workgroup_id_x 1
		.amdhsa_system_sgpr_workgroup_id_y 0
		.amdhsa_system_sgpr_workgroup_id_z 0
		.amdhsa_system_sgpr_workgroup_info 0
		.amdhsa_system_vgpr_workitem_id 0
		.amdhsa_next_free_vgpr 46
		.amdhsa_next_free_sgpr 20
		.amdhsa_reserve_vcc 1
		.amdhsa_reserve_flat_scratch 0
		.amdhsa_float_round_mode_32 0
		.amdhsa_float_round_mode_16_64 0
		.amdhsa_float_denorm_mode_32 3
		.amdhsa_float_denorm_mode_16_64 3
		.amdhsa_dx10_clamp 1
		.amdhsa_ieee_mode 1
		.amdhsa_fp16_overflow 0
		.amdhsa_workgroup_processor_mode 1
		.amdhsa_memory_ordered 1
		.amdhsa_forward_progress 1
		.amdhsa_shared_vgpr_count 0
		.amdhsa_exception_fp_ieee_invalid_op 0
		.amdhsa_exception_fp_denorm_src 0
		.amdhsa_exception_fp_ieee_div_zero 0
		.amdhsa_exception_fp_ieee_overflow 0
		.amdhsa_exception_fp_ieee_underflow 0
		.amdhsa_exception_fp_ieee_inexact 0
		.amdhsa_exception_int_div_zero 0
	.end_amdhsa_kernel
	.section	.text._Z20sort_pairs_segmentedILj256ELj4ELj8EaN10test_utils4lessEEvPKT2_PS2_PKjT3_,"axG",@progbits,_Z20sort_pairs_segmentedILj256ELj4ELj8EaN10test_utils4lessEEvPKT2_PS2_PKjT3_,comdat
.Lfunc_end59:
	.size	_Z20sort_pairs_segmentedILj256ELj4ELj8EaN10test_utils4lessEEvPKT2_PS2_PKjT3_, .Lfunc_end59-_Z20sort_pairs_segmentedILj256ELj4ELj8EaN10test_utils4lessEEvPKT2_PS2_PKjT3_
                                        ; -- End function
	.set _Z20sort_pairs_segmentedILj256ELj4ELj8EaN10test_utils4lessEEvPKT2_PS2_PKjT3_.num_vgpr, 46
	.set _Z20sort_pairs_segmentedILj256ELj4ELj8EaN10test_utils4lessEEvPKT2_PS2_PKjT3_.num_agpr, 0
	.set _Z20sort_pairs_segmentedILj256ELj4ELj8EaN10test_utils4lessEEvPKT2_PS2_PKjT3_.numbered_sgpr, 20
	.set _Z20sort_pairs_segmentedILj256ELj4ELj8EaN10test_utils4lessEEvPKT2_PS2_PKjT3_.num_named_barrier, 0
	.set _Z20sort_pairs_segmentedILj256ELj4ELj8EaN10test_utils4lessEEvPKT2_PS2_PKjT3_.private_seg_size, 0
	.set _Z20sort_pairs_segmentedILj256ELj4ELj8EaN10test_utils4lessEEvPKT2_PS2_PKjT3_.uses_vcc, 1
	.set _Z20sort_pairs_segmentedILj256ELj4ELj8EaN10test_utils4lessEEvPKT2_PS2_PKjT3_.uses_flat_scratch, 0
	.set _Z20sort_pairs_segmentedILj256ELj4ELj8EaN10test_utils4lessEEvPKT2_PS2_PKjT3_.has_dyn_sized_stack, 0
	.set _Z20sort_pairs_segmentedILj256ELj4ELj8EaN10test_utils4lessEEvPKT2_PS2_PKjT3_.has_recursion, 0
	.set _Z20sort_pairs_segmentedILj256ELj4ELj8EaN10test_utils4lessEEvPKT2_PS2_PKjT3_.has_indirect_call, 0
	.section	.AMDGPU.csdata,"",@progbits
; Kernel info:
; codeLenInByte = 6924
; TotalNumSgprs: 22
; NumVgprs: 46
; ScratchSize: 0
; MemoryBound: 0
; FloatMode: 240
; IeeeMode: 1
; LDSByteSize: 2112 bytes/workgroup (compile time only)
; SGPRBlocks: 0
; VGPRBlocks: 5
; NumSGPRsForWavesPerEU: 22
; NumVGPRsForWavesPerEU: 46
; Occupancy: 16
; WaveLimiterHint : 0
; COMPUTE_PGM_RSRC2:SCRATCH_EN: 0
; COMPUTE_PGM_RSRC2:USER_SGPR: 6
; COMPUTE_PGM_RSRC2:TRAP_HANDLER: 0
; COMPUTE_PGM_RSRC2:TGID_X_EN: 1
; COMPUTE_PGM_RSRC2:TGID_Y_EN: 0
; COMPUTE_PGM_RSRC2:TGID_Z_EN: 0
; COMPUTE_PGM_RSRC2:TIDIG_COMP_CNT: 0
	.section	.text._Z9sort_keysILj256ELj16ELj1EaN10test_utils4lessEEvPKT2_PS2_T3_,"axG",@progbits,_Z9sort_keysILj256ELj16ELj1EaN10test_utils4lessEEvPKT2_PS2_T3_,comdat
	.protected	_Z9sort_keysILj256ELj16ELj1EaN10test_utils4lessEEvPKT2_PS2_T3_ ; -- Begin function _Z9sort_keysILj256ELj16ELj1EaN10test_utils4lessEEvPKT2_PS2_T3_
	.globl	_Z9sort_keysILj256ELj16ELj1EaN10test_utils4lessEEvPKT2_PS2_T3_
	.p2align	8
	.type	_Z9sort_keysILj256ELj16ELj1EaN10test_utils4lessEEvPKT2_PS2_T3_,@function
_Z9sort_keysILj256ELj16ELj1EaN10test_utils4lessEEvPKT2_PS2_T3_: ; @_Z9sort_keysILj256ELj16ELj1EaN10test_utils4lessEEvPKT2_PS2_T3_
; %bb.0:
	s_load_dwordx4 s[0:3], s[4:5], 0x0
	s_lshl_b32 s4, s6, 8
	v_mbcnt_lo_u32_b32 v4, -1, 0
	v_lshrrev_b32_e32 v10, 4, v0
	v_mov_b32_e32 v8, 0
	v_and_b32_e32 v6, 14, v4
	v_and_b32_e32 v7, 1, v4
	;; [unrolled: 1-line block ×3, first 2 shown]
	v_or_b32_e32 v5, 1, v6
	v_mad_u32_u24 v3, v10, 17, v1
	v_sub_nc_u32_e32 v2, v5, v6
	s_waitcnt lgkmcnt(0)
	s_add_u32 s0, s0, s4
	s_addc_u32 s1, s1, 0
	v_min_i32_e32 v11, v7, v2
	global_load_ubyte v9, v0, s[0:1]
	v_mul_u32_u24_e32 v2, 17, v10
	s_mov_b32 s0, 0
	s_mov_b32 s1, exec_lo
	; wave barrier
	s_waitcnt vmcnt(0)
	ds_write_b8 v3, v9
	; wave barrier
	v_cmpx_lt_i32_e32 0, v11
	s_cbranch_execz .LBB60_4
; %bb.1:
	v_add_nc_u32_e32 v9, v2, v6
	v_mov_b32_e32 v10, 1
	v_mov_b32_e32 v8, 0
	v_add_nc_u32_e32 v11, v9, v7
	.p2align	6
.LBB60_2:                               ; =>This Inner Loop Header: Depth=1
	v_sub_nc_u32_e32 v12, v10, v8
	v_lshrrev_b32_e32 v12, 1, v12
	v_add_nc_u32_e32 v12, v12, v8
	v_add_nc_u32_e32 v13, v9, v12
	v_sub_nc_u32_e32 v14, v11, v12
	v_add_nc_u32_e32 v15, 1, v12
	ds_read_i8 v13, v13
	ds_read_i8 v14, v14
	s_waitcnt lgkmcnt(0)
	v_cmp_lt_i16_e32 vcc_lo, v14, v13
	v_cndmask_b32_e32 v10, v10, v12, vcc_lo
	v_cndmask_b32_e32 v8, v15, v8, vcc_lo
	v_cmp_ge_i32_e32 vcc_lo, v8, v10
	s_or_b32 s0, vcc_lo, s0
	s_andn2_b32 exec_lo, exec_lo, s0
	s_cbranch_execnz .LBB60_2
; %bb.3:
	s_or_b32 exec_lo, exec_lo, s0
.LBB60_4:
	s_or_b32 exec_lo, exec_lo, s1
	v_add_nc_u32_e32 v9, v6, v7
	v_add3_u32 v6, v2, v8, v6
	v_cmp_lt_i32_e32 vcc_lo, 0, v8
	v_sub_nc_u32_e32 v9, v9, v8
	v_add_nc_u32_e32 v9, v2, v9
	ds_read_u8 v10, v6
	ds_read_u8 v11, v9 offset:1
	v_add_nc_u32_e32 v9, v5, v7
	v_and_b32_e32 v6, 12, v4
	; wave barrier
	v_sub_nc_u32_e32 v9, v9, v8
	v_or_b32_e32 v7, 2, v6
	v_and_b32_e32 v8, 3, v4
	v_cmp_ge_i32_e64 s0, v5, v9
	v_sub_nc_u32_e32 v12, v7, v6
	v_sub_nc_u32_e64 v5, v8, 2 clamp
	v_min_i32_e32 v9, v8, v12
	s_waitcnt lgkmcnt(0)
	v_cmp_lt_i16_sdwa s1, sext(v11), sext(v10) src0_sel:BYTE_0 src1_sel:BYTE_0
	s_or_b32 s1, vcc_lo, s1
	s_and_b32 vcc_lo, s0, s1
	s_mov_b32 s0, 0
	v_cndmask_b32_e32 v10, v10, v11, vcc_lo
	s_mov_b32 s1, exec_lo
	ds_write_b8 v3, v10
	; wave barrier
	v_cmpx_lt_i32_e64 v5, v9
	s_cbranch_execz .LBB60_8
; %bb.5:
	v_add_nc_u32_e32 v10, v2, v6
	v_add_nc_u32_e32 v11, v10, v8
	.p2align	6
.LBB60_6:                               ; =>This Inner Loop Header: Depth=1
	v_sub_nc_u32_e32 v12, v9, v5
	v_lshrrev_b32_e32 v12, 1, v12
	v_add_nc_u32_e32 v12, v12, v5
	v_add_nc_u32_e32 v13, v10, v12
	v_xad_u32 v14, v12, -1, v11
	v_add_nc_u32_e32 v15, 1, v12
	ds_read_i8 v13, v13
	ds_read_i8 v14, v14 offset:2
	s_waitcnt lgkmcnt(0)
	v_cmp_lt_i16_e32 vcc_lo, v14, v13
	v_cndmask_b32_e32 v9, v9, v12, vcc_lo
	v_cndmask_b32_e32 v5, v15, v5, vcc_lo
	v_cmp_ge_i32_e32 vcc_lo, v5, v9
	s_or_b32 s0, vcc_lo, s0
	s_andn2_b32 exec_lo, exec_lo, s0
	s_cbranch_execnz .LBB60_6
; %bb.7:
	s_or_b32 exec_lo, exec_lo, s0
.LBB60_8:
	s_or_b32 exec_lo, exec_lo, s1
	v_add_nc_u32_e32 v9, v6, v8
	v_add3_u32 v10, v2, v5, v6
	v_add_nc_u32_e32 v7, v7, v8
	v_add_nc_u32_e32 v8, 4, v6
	v_cmp_lt_i32_e32 vcc_lo, 1, v5
	v_sub_nc_u32_e32 v9, v9, v5
	v_sub_nc_u32_e32 v7, v7, v5
	v_add_nc_u32_e32 v9, v2, v9
	ds_read_u8 v10, v10
	ds_read_u8 v11, v9 offset:2
	v_and_b32_e32 v9, 8, v4
	v_cmp_gt_i32_e64 s0, v8, v7
	v_and_b32_e32 v4, 7, v4
	; wave barrier
	v_or_b32_e32 v6, 4, v9
	v_sub_nc_u32_e64 v5, v4, 4 clamp
	v_sub_nc_u32_e32 v12, v6, v9
	v_min_i32_e32 v7, v4, v12
	s_waitcnt lgkmcnt(0)
	v_cmp_lt_i16_sdwa s1, sext(v11), sext(v10) src0_sel:BYTE_0 src1_sel:BYTE_0
	s_or_b32 s1, vcc_lo, s1
	s_and_b32 vcc_lo, s0, s1
	s_mov_b32 s0, exec_lo
	v_cndmask_b32_e32 v8, v10, v11, vcc_lo
	ds_write_b8 v3, v8
	; wave barrier
	v_cmpx_lt_i32_e64 v5, v7
	s_cbranch_execz .LBB60_12
; %bb.9:
	v_add_nc_u32_e32 v8, v2, v9
	s_mov_b32 s1, 0
	v_add_nc_u32_e32 v10, v8, v4
	.p2align	6
.LBB60_10:                              ; =>This Inner Loop Header: Depth=1
	v_sub_nc_u32_e32 v11, v7, v5
	v_lshrrev_b32_e32 v11, 1, v11
	v_add_nc_u32_e32 v11, v11, v5
	v_add_nc_u32_e32 v12, v8, v11
	v_xad_u32 v13, v11, -1, v10
	v_add_nc_u32_e32 v14, 1, v11
	ds_read_i8 v12, v12
	ds_read_i8 v13, v13 offset:4
	s_waitcnt lgkmcnt(0)
	v_cmp_lt_i16_e32 vcc_lo, v13, v12
	v_cndmask_b32_e32 v7, v7, v11, vcc_lo
	v_cndmask_b32_e32 v5, v14, v5, vcc_lo
	v_cmp_ge_i32_e32 vcc_lo, v5, v7
	s_or_b32 s1, vcc_lo, s1
	s_andn2_b32 exec_lo, exec_lo, s1
	s_cbranch_execnz .LBB60_10
; %bb.11:
	s_or_b32 exec_lo, exec_lo, s1
.LBB60_12:
	s_or_b32 exec_lo, exec_lo, s0
	v_add_nc_u32_e32 v7, v9, v4
	v_add3_u32 v8, v2, v5, v9
	v_add_nc_u32_e32 v4, v6, v4
	v_add_nc_u32_e32 v6, 8, v9
	v_cmp_lt_i32_e32 vcc_lo, 3, v5
	v_sub_nc_u32_e32 v7, v7, v5
	v_sub_nc_u32_e32 v4, v4, v5
	v_min_u32_e32 v5, 8, v1
	v_add_nc_u32_e32 v7, v2, v7
	ds_read_u8 v8, v8
	ds_read_u8 v7, v7 offset:4
	v_cmp_gt_i32_e64 s0, v6, v4
	v_sub_nc_u32_e64 v4, v1, 8 clamp
	v_add_nc_u32_e32 v6, v2, v1
	; wave barrier
	s_waitcnt lgkmcnt(0)
	v_cmp_lt_i16_sdwa s1, sext(v7), sext(v8) src0_sel:BYTE_0 src1_sel:BYTE_0
	s_or_b32 s1, vcc_lo, s1
	s_and_b32 vcc_lo, s0, s1
	s_mov_b32 s0, exec_lo
	v_cndmask_b32_e32 v7, v8, v7, vcc_lo
	ds_write_b8 v6, v7
	; wave barrier
	v_cmpx_lt_u32_e64 v4, v5
	s_cbranch_execz .LBB60_16
; %bb.13:
	s_mov_b32 s1, 0
	.p2align	6
.LBB60_14:                              ; =>This Inner Loop Header: Depth=1
	v_sub_nc_u32_e32 v6, v5, v4
	v_lshrrev_b32_e32 v6, 1, v6
	v_add_nc_u32_e32 v6, v6, v4
	v_add_nc_u32_e32 v7, v2, v6
	v_xad_u32 v8, v6, -1, v3
	v_add_nc_u32_e32 v9, 1, v6
	ds_read_i8 v7, v7
	ds_read_i8 v8, v8 offset:8
	s_waitcnt lgkmcnt(0)
	v_cmp_lt_i16_e32 vcc_lo, v8, v7
	v_cndmask_b32_e32 v5, v5, v6, vcc_lo
	v_cndmask_b32_e32 v4, v9, v4, vcc_lo
	v_cmp_ge_i32_e32 vcc_lo, v4, v5
	s_or_b32 s1, vcc_lo, s1
	s_andn2_b32 exec_lo, exec_lo, s1
	s_cbranch_execnz .LBB60_14
; %bb.15:
	s_or_b32 exec_lo, exec_lo, s1
.LBB60_16:
	s_or_b32 exec_lo, exec_lo, s0
	v_sub_nc_u32_e32 v1, v1, v4
	v_add_nc_u32_e32 v3, v2, v4
	v_cmp_lt_i32_e32 vcc_lo, 7, v4
	v_add_nc_u32_e32 v2, v2, v1
	v_add_nc_u32_e32 v1, 8, v1
	ds_read_u8 v3, v3
	ds_read_u8 v2, v2 offset:8
	v_cmp_gt_i32_e64 s0, 16, v1
	s_waitcnt lgkmcnt(0)
	v_cmp_lt_i16_sdwa s1, sext(v2), sext(v3) src0_sel:BYTE_0 src1_sel:BYTE_0
	s_or_b32 s1, vcc_lo, s1
	s_and_b32 vcc_lo, s0, s1
	s_add_u32 s0, s2, s4
	s_addc_u32 s1, s3, 0
	v_add_co_u32 v0, s0, s0, v0
	v_cndmask_b32_e32 v2, v3, v2, vcc_lo
	v_add_co_ci_u32_e64 v1, null, s1, 0, s0
	global_store_byte v[0:1], v2, off
	s_endpgm
	.section	.rodata,"a",@progbits
	.p2align	6, 0x0
	.amdhsa_kernel _Z9sort_keysILj256ELj16ELj1EaN10test_utils4lessEEvPKT2_PS2_T3_
		.amdhsa_group_segment_fixed_size 272
		.amdhsa_private_segment_fixed_size 0
		.amdhsa_kernarg_size 20
		.amdhsa_user_sgpr_count 6
		.amdhsa_user_sgpr_private_segment_buffer 1
		.amdhsa_user_sgpr_dispatch_ptr 0
		.amdhsa_user_sgpr_queue_ptr 0
		.amdhsa_user_sgpr_kernarg_segment_ptr 1
		.amdhsa_user_sgpr_dispatch_id 0
		.amdhsa_user_sgpr_flat_scratch_init 0
		.amdhsa_user_sgpr_private_segment_size 0
		.amdhsa_wavefront_size32 1
		.amdhsa_uses_dynamic_stack 0
		.amdhsa_system_sgpr_private_segment_wavefront_offset 0
		.amdhsa_system_sgpr_workgroup_id_x 1
		.amdhsa_system_sgpr_workgroup_id_y 0
		.amdhsa_system_sgpr_workgroup_id_z 0
		.amdhsa_system_sgpr_workgroup_info 0
		.amdhsa_system_vgpr_workitem_id 0
		.amdhsa_next_free_vgpr 16
		.amdhsa_next_free_sgpr 7
		.amdhsa_reserve_vcc 1
		.amdhsa_reserve_flat_scratch 0
		.amdhsa_float_round_mode_32 0
		.amdhsa_float_round_mode_16_64 0
		.amdhsa_float_denorm_mode_32 3
		.amdhsa_float_denorm_mode_16_64 3
		.amdhsa_dx10_clamp 1
		.amdhsa_ieee_mode 1
		.amdhsa_fp16_overflow 0
		.amdhsa_workgroup_processor_mode 1
		.amdhsa_memory_ordered 1
		.amdhsa_forward_progress 1
		.amdhsa_shared_vgpr_count 0
		.amdhsa_exception_fp_ieee_invalid_op 0
		.amdhsa_exception_fp_denorm_src 0
		.amdhsa_exception_fp_ieee_div_zero 0
		.amdhsa_exception_fp_ieee_overflow 0
		.amdhsa_exception_fp_ieee_underflow 0
		.amdhsa_exception_fp_ieee_inexact 0
		.amdhsa_exception_int_div_zero 0
	.end_amdhsa_kernel
	.section	.text._Z9sort_keysILj256ELj16ELj1EaN10test_utils4lessEEvPKT2_PS2_T3_,"axG",@progbits,_Z9sort_keysILj256ELj16ELj1EaN10test_utils4lessEEvPKT2_PS2_T3_,comdat
.Lfunc_end60:
	.size	_Z9sort_keysILj256ELj16ELj1EaN10test_utils4lessEEvPKT2_PS2_T3_, .Lfunc_end60-_Z9sort_keysILj256ELj16ELj1EaN10test_utils4lessEEvPKT2_PS2_T3_
                                        ; -- End function
	.set _Z9sort_keysILj256ELj16ELj1EaN10test_utils4lessEEvPKT2_PS2_T3_.num_vgpr, 16
	.set _Z9sort_keysILj256ELj16ELj1EaN10test_utils4lessEEvPKT2_PS2_T3_.num_agpr, 0
	.set _Z9sort_keysILj256ELj16ELj1EaN10test_utils4lessEEvPKT2_PS2_T3_.numbered_sgpr, 7
	.set _Z9sort_keysILj256ELj16ELj1EaN10test_utils4lessEEvPKT2_PS2_T3_.num_named_barrier, 0
	.set _Z9sort_keysILj256ELj16ELj1EaN10test_utils4lessEEvPKT2_PS2_T3_.private_seg_size, 0
	.set _Z9sort_keysILj256ELj16ELj1EaN10test_utils4lessEEvPKT2_PS2_T3_.uses_vcc, 1
	.set _Z9sort_keysILj256ELj16ELj1EaN10test_utils4lessEEvPKT2_PS2_T3_.uses_flat_scratch, 0
	.set _Z9sort_keysILj256ELj16ELj1EaN10test_utils4lessEEvPKT2_PS2_T3_.has_dyn_sized_stack, 0
	.set _Z9sort_keysILj256ELj16ELj1EaN10test_utils4lessEEvPKT2_PS2_T3_.has_recursion, 0
	.set _Z9sort_keysILj256ELj16ELj1EaN10test_utils4lessEEvPKT2_PS2_T3_.has_indirect_call, 0
	.section	.AMDGPU.csdata,"",@progbits
; Kernel info:
; codeLenInByte = 1084
; TotalNumSgprs: 9
; NumVgprs: 16
; ScratchSize: 0
; MemoryBound: 0
; FloatMode: 240
; IeeeMode: 1
; LDSByteSize: 272 bytes/workgroup (compile time only)
; SGPRBlocks: 0
; VGPRBlocks: 1
; NumSGPRsForWavesPerEU: 9
; NumVGPRsForWavesPerEU: 16
; Occupancy: 16
; WaveLimiterHint : 0
; COMPUTE_PGM_RSRC2:SCRATCH_EN: 0
; COMPUTE_PGM_RSRC2:USER_SGPR: 6
; COMPUTE_PGM_RSRC2:TRAP_HANDLER: 0
; COMPUTE_PGM_RSRC2:TGID_X_EN: 1
; COMPUTE_PGM_RSRC2:TGID_Y_EN: 0
; COMPUTE_PGM_RSRC2:TGID_Z_EN: 0
; COMPUTE_PGM_RSRC2:TIDIG_COMP_CNT: 0
	.section	.text._Z10sort_pairsILj256ELj16ELj1EaN10test_utils4lessEEvPKT2_PS2_T3_,"axG",@progbits,_Z10sort_pairsILj256ELj16ELj1EaN10test_utils4lessEEvPKT2_PS2_T3_,comdat
	.protected	_Z10sort_pairsILj256ELj16ELj1EaN10test_utils4lessEEvPKT2_PS2_T3_ ; -- Begin function _Z10sort_pairsILj256ELj16ELj1EaN10test_utils4lessEEvPKT2_PS2_T3_
	.globl	_Z10sort_pairsILj256ELj16ELj1EaN10test_utils4lessEEvPKT2_PS2_T3_
	.p2align	8
	.type	_Z10sort_pairsILj256ELj16ELj1EaN10test_utils4lessEEvPKT2_PS2_T3_,@function
_Z10sort_pairsILj256ELj16ELj1EaN10test_utils4lessEEvPKT2_PS2_T3_: ; @_Z10sort_pairsILj256ELj16ELj1EaN10test_utils4lessEEvPKT2_PS2_T3_
; %bb.0:
	s_load_dwordx4 s[0:3], s[4:5], 0x0
	s_lshl_b32 s4, s6, 8
	v_mbcnt_lo_u32_b32 v4, -1, 0
	v_lshrrev_b32_e32 v10, 4, v0
	v_mov_b32_e32 v9, 0
	v_and_b32_e32 v8, 14, v4
	v_and_b32_e32 v7, 1, v4
	;; [unrolled: 1-line block ×3, first 2 shown]
	v_or_b32_e32 v6, 1, v8
	v_mad_u32_u24 v3, v10, 17, v2
	v_sub_nc_u32_e32 v1, v6, v8
	s_waitcnt lgkmcnt(0)
	s_add_u32 s0, s0, s4
	s_addc_u32 s1, s1, 0
	v_min_i32_e32 v11, v7, v1
	global_load_ubyte v5, v0, s[0:1]
	v_mul_u32_u24_e32 v1, 17, v10
	s_mov_b32 s0, 0
	s_mov_b32 s1, exec_lo
	; wave barrier
	s_waitcnt vmcnt(0)
	ds_write_b8 v3, v5
	; wave barrier
	v_cmpx_lt_i32_e32 0, v11
	s_cbranch_execz .LBB61_4
; %bb.1:
	v_add_nc_u32_e32 v10, v1, v8
	v_mov_b32_e32 v11, 1
	v_mov_b32_e32 v9, 0
	v_add_nc_u32_e32 v12, v10, v7
	.p2align	6
.LBB61_2:                               ; =>This Inner Loop Header: Depth=1
	v_sub_nc_u32_e32 v13, v11, v9
	v_lshrrev_b32_e32 v13, 1, v13
	v_add_nc_u32_e32 v13, v13, v9
	v_add_nc_u32_e32 v14, v10, v13
	v_sub_nc_u32_e32 v15, v12, v13
	v_add_nc_u32_e32 v16, 1, v13
	ds_read_i8 v14, v14
	ds_read_i8 v15, v15
	s_waitcnt lgkmcnt(0)
	v_cmp_lt_i16_e32 vcc_lo, v15, v14
	v_cndmask_b32_e32 v11, v11, v13, vcc_lo
	v_cndmask_b32_e32 v9, v16, v9, vcc_lo
	v_cmp_ge_i32_e32 vcc_lo, v9, v11
	s_or_b32 s0, vcc_lo, s0
	s_andn2_b32 exec_lo, exec_lo, s0
	s_cbranch_execnz .LBB61_2
; %bb.3:
	s_or_b32 exec_lo, exec_lo, s0
.LBB61_4:
	s_or_b32 exec_lo, exec_lo, s1
	v_add_nc_u32_e32 v10, v8, v7
	v_add_nc_u32_e32 v8, v9, v8
	;; [unrolled: 1-line block ×3, first 2 shown]
	v_cmp_lt_i32_e32 vcc_lo, 0, v9
	v_add_nc_u16 v5, v5, 1
	v_sub_nc_u32_e32 v10, v10, v9
	v_add_nc_u32_e32 v11, v1, v8
	v_sub_nc_u32_e32 v7, v7, v9
	v_and_b32_e32 v9, 3, v4
	v_add_nc_u32_e32 v10, v1, v10
	ds_read_u8 v11, v11
	ds_read_u8 v10, v10 offset:1
	v_cmp_ge_i32_e64 s0, v6, v7
	v_and_b32_e32 v6, 12, v4
	; wave barrier
	ds_write_b8 v3, v5
	; wave barrier
	s_waitcnt lgkmcnt(1)
	v_cmp_lt_i16_sdwa s1, sext(v10), sext(v11) src0_sel:BYTE_0 src1_sel:BYTE_0
	s_or_b32 s1, vcc_lo, s1
	s_and_b32 vcc_lo, s0, s1
	s_mov_b32 s0, 0
	v_cndmask_b32_e32 v7, v8, v7, vcc_lo
	v_or_b32_e32 v8, 2, v6
	v_cndmask_b32_e32 v11, v11, v10, vcc_lo
	s_mov_b32 s1, exec_lo
	v_add_nc_u32_e32 v7, v1, v7
	v_sub_nc_u32_e32 v10, v8, v6
	ds_read_u8 v5, v7
	v_sub_nc_u32_e64 v7, v9, 2 clamp
	v_min_i32_e32 v10, v9, v10
	; wave barrier
	ds_write_b8 v3, v11
	; wave barrier
	v_cmpx_lt_i32_e64 v7, v10
	s_cbranch_execz .LBB61_8
; %bb.5:
	v_add_nc_u32_e32 v11, v1, v6
	v_add_nc_u32_e32 v12, v11, v9
	.p2align	6
.LBB61_6:                               ; =>This Inner Loop Header: Depth=1
	v_sub_nc_u32_e32 v13, v10, v7
	v_lshrrev_b32_e32 v13, 1, v13
	v_add_nc_u32_e32 v13, v13, v7
	v_add_nc_u32_e32 v14, v11, v13
	v_xad_u32 v15, v13, -1, v12
	v_add_nc_u32_e32 v16, 1, v13
	ds_read_i8 v14, v14
	ds_read_i8 v15, v15 offset:2
	s_waitcnt lgkmcnt(0)
	v_cmp_lt_i16_e32 vcc_lo, v15, v14
	v_cndmask_b32_e32 v10, v10, v13, vcc_lo
	v_cndmask_b32_e32 v7, v16, v7, vcc_lo
	v_cmp_ge_i32_e32 vcc_lo, v7, v10
	s_or_b32 s0, vcc_lo, s0
	s_andn2_b32 exec_lo, exec_lo, s0
	s_cbranch_execnz .LBB61_6
; %bb.7:
	s_or_b32 exec_lo, exec_lo, s0
.LBB61_8:
	s_or_b32 exec_lo, exec_lo, s1
	v_add_nc_u32_e32 v10, v6, v9
	v_add_nc_u32_e32 v11, v7, v6
	;; [unrolled: 1-line block ×4, first 2 shown]
	v_cmp_lt_i32_e32 vcc_lo, 1, v7
	v_sub_nc_u32_e32 v10, v10, v7
	v_add_nc_u32_e32 v12, v1, v11
	v_sub_nc_u32_e32 v8, v8, v7
	v_add_nc_u32_e32 v10, v1, v10
	ds_read_u8 v12, v12
	ds_read_u8 v10, v10 offset:2
	v_cmp_gt_i32_e64 s0, v6, v8
	v_and_b32_e32 v6, 8, v4
	; wave barrier
	s_waitcnt lgkmcnt(3)
	ds_write_b8 v3, v5
	; wave barrier
	s_waitcnt lgkmcnt(1)
	v_cmp_lt_i16_sdwa s1, sext(v10), sext(v12) src0_sel:BYTE_0 src1_sel:BYTE_0
	s_or_b32 s1, vcc_lo, s1
	s_and_b32 vcc_lo, s0, s1
	s_mov_b32 s0, exec_lo
	v_cndmask_b32_e32 v7, v11, v8, vcc_lo
	v_and_b32_e32 v8, 7, v4
	v_cndmask_b32_e32 v10, v12, v10, vcc_lo
	v_add_nc_u32_e32 v7, v1, v7
	v_sub_nc_u32_e64 v4, v8, 4 clamp
	ds_read_u8 v5, v7
	v_or_b32_e32 v7, 4, v6
	; wave barrier
	ds_write_b8 v3, v10
	v_sub_nc_u32_e32 v9, v7, v6
	; wave barrier
	v_min_i32_e32 v9, v8, v9
	v_cmpx_lt_i32_e64 v4, v9
	s_cbranch_execz .LBB61_12
; %bb.9:
	v_add_nc_u32_e32 v10, v1, v6
	s_mov_b32 s1, 0
	v_add_nc_u32_e32 v11, v10, v8
	.p2align	6
.LBB61_10:                              ; =>This Inner Loop Header: Depth=1
	v_sub_nc_u32_e32 v12, v9, v4
	v_lshrrev_b32_e32 v12, 1, v12
	v_add_nc_u32_e32 v12, v12, v4
	v_add_nc_u32_e32 v13, v10, v12
	v_xad_u32 v14, v12, -1, v11
	v_add_nc_u32_e32 v15, 1, v12
	ds_read_i8 v13, v13
	ds_read_i8 v14, v14 offset:4
	s_waitcnt lgkmcnt(0)
	v_cmp_lt_i16_e32 vcc_lo, v14, v13
	v_cndmask_b32_e32 v9, v9, v12, vcc_lo
	v_cndmask_b32_e32 v4, v15, v4, vcc_lo
	v_cmp_ge_i32_e32 vcc_lo, v4, v9
	s_or_b32 s1, vcc_lo, s1
	s_andn2_b32 exec_lo, exec_lo, s1
	s_cbranch_execnz .LBB61_10
; %bb.11:
	s_or_b32 exec_lo, exec_lo, s1
.LBB61_12:
	s_or_b32 exec_lo, exec_lo, s0
	v_add_nc_u32_e32 v9, v6, v8
	v_add_nc_u32_e32 v10, v4, v6
	;; [unrolled: 1-line block ×4, first 2 shown]
	v_cmp_lt_i32_e32 vcc_lo, 3, v4
	v_sub_nc_u32_e32 v9, v9, v4
	v_add_nc_u32_e32 v11, v1, v10
	v_sub_nc_u32_e32 v7, v7, v4
	v_add_nc_u32_e32 v4, v1, v2
	v_add_nc_u32_e32 v9, v1, v9
	ds_read_u8 v11, v11
	ds_read_u8 v9, v9 offset:4
	v_cmp_gt_i32_e64 s0, v6, v7
	; wave barrier
	s_waitcnt lgkmcnt(3)
	ds_write_b8 v4, v5
	; wave barrier
	s_waitcnt lgkmcnt(1)
	v_cmp_lt_i16_sdwa s1, sext(v9), sext(v11) src0_sel:BYTE_0 src1_sel:BYTE_0
	s_or_b32 s1, vcc_lo, s1
	s_and_b32 vcc_lo, s0, s1
	s_mov_b32 s0, exec_lo
	v_cndmask_b32_e32 v6, v10, v7, vcc_lo
	v_cndmask_b32_e32 v8, v11, v9, vcc_lo
	v_min_u32_e32 v7, 8, v2
	v_add_nc_u32_e32 v6, v1, v6
	ds_read_u8 v5, v6
	v_sub_nc_u32_e64 v6, v2, 8 clamp
	; wave barrier
	ds_write_b8 v4, v8
	; wave barrier
	v_cmpx_lt_u32_e64 v6, v7
	s_cbranch_execz .LBB61_16
; %bb.13:
	s_mov_b32 s1, 0
	.p2align	6
.LBB61_14:                              ; =>This Inner Loop Header: Depth=1
	v_sub_nc_u32_e32 v8, v7, v6
	v_lshrrev_b32_e32 v8, 1, v8
	v_add_nc_u32_e32 v8, v8, v6
	v_add_nc_u32_e32 v9, v1, v8
	v_xad_u32 v10, v8, -1, v3
	v_add_nc_u32_e32 v11, 1, v8
	ds_read_i8 v9, v9
	ds_read_i8 v10, v10 offset:8
	s_waitcnt lgkmcnt(0)
	v_cmp_lt_i16_e32 vcc_lo, v10, v9
	v_cndmask_b32_e32 v7, v7, v8, vcc_lo
	v_cndmask_b32_e32 v6, v11, v6, vcc_lo
	v_cmp_ge_i32_e32 vcc_lo, v6, v7
	s_or_b32 s1, vcc_lo, s1
	s_andn2_b32 exec_lo, exec_lo, s1
	s_cbranch_execnz .LBB61_14
; %bb.15:
	s_or_b32 exec_lo, exec_lo, s1
.LBB61_16:
	s_or_b32 exec_lo, exec_lo, s0
	v_sub_nc_u32_e32 v2, v2, v6
	v_add_nc_u32_e32 v3, v1, v6
	v_cmp_lt_i32_e32 vcc_lo, 7, v6
	v_add_nc_u32_e32 v7, v1, v2
	v_add_nc_u32_e32 v2, 8, v2
	ds_read_u8 v3, v3
	ds_read_u8 v7, v7 offset:8
	v_cmp_gt_i32_e64 s0, 16, v2
	; wave barrier
	s_waitcnt lgkmcnt(3)
	ds_write_b8 v4, v5
	; wave barrier
	s_waitcnt lgkmcnt(1)
	v_cmp_lt_i16_sdwa s1, sext(v7), sext(v3) src0_sel:BYTE_0 src1_sel:BYTE_0
	s_or_b32 s1, vcc_lo, s1
	s_and_b32 vcc_lo, s0, s1
	s_add_u32 s0, s2, s4
	v_cndmask_b32_e32 v2, v6, v2, vcc_lo
	v_cndmask_b32_e32 v3, v3, v7, vcc_lo
	s_addc_u32 s1, s3, 0
	v_add_co_u32 v0, s0, s0, v0
	v_add_nc_u32_e32 v1, v1, v2
	ds_read_u8 v1, v1
	s_waitcnt lgkmcnt(0)
	v_add_nc_u16 v2, v1, v3
	v_add_co_ci_u32_e64 v1, null, s1, 0, s0
	global_store_byte v[0:1], v2, off
	s_endpgm
	.section	.rodata,"a",@progbits
	.p2align	6, 0x0
	.amdhsa_kernel _Z10sort_pairsILj256ELj16ELj1EaN10test_utils4lessEEvPKT2_PS2_T3_
		.amdhsa_group_segment_fixed_size 272
		.amdhsa_private_segment_fixed_size 0
		.amdhsa_kernarg_size 20
		.amdhsa_user_sgpr_count 6
		.amdhsa_user_sgpr_private_segment_buffer 1
		.amdhsa_user_sgpr_dispatch_ptr 0
		.amdhsa_user_sgpr_queue_ptr 0
		.amdhsa_user_sgpr_kernarg_segment_ptr 1
		.amdhsa_user_sgpr_dispatch_id 0
		.amdhsa_user_sgpr_flat_scratch_init 0
		.amdhsa_user_sgpr_private_segment_size 0
		.amdhsa_wavefront_size32 1
		.amdhsa_uses_dynamic_stack 0
		.amdhsa_system_sgpr_private_segment_wavefront_offset 0
		.amdhsa_system_sgpr_workgroup_id_x 1
		.amdhsa_system_sgpr_workgroup_id_y 0
		.amdhsa_system_sgpr_workgroup_id_z 0
		.amdhsa_system_sgpr_workgroup_info 0
		.amdhsa_system_vgpr_workitem_id 0
		.amdhsa_next_free_vgpr 17
		.amdhsa_next_free_sgpr 7
		.amdhsa_reserve_vcc 1
		.amdhsa_reserve_flat_scratch 0
		.amdhsa_float_round_mode_32 0
		.amdhsa_float_round_mode_16_64 0
		.amdhsa_float_denorm_mode_32 3
		.amdhsa_float_denorm_mode_16_64 3
		.amdhsa_dx10_clamp 1
		.amdhsa_ieee_mode 1
		.amdhsa_fp16_overflow 0
		.amdhsa_workgroup_processor_mode 1
		.amdhsa_memory_ordered 1
		.amdhsa_forward_progress 1
		.amdhsa_shared_vgpr_count 0
		.amdhsa_exception_fp_ieee_invalid_op 0
		.amdhsa_exception_fp_denorm_src 0
		.amdhsa_exception_fp_ieee_div_zero 0
		.amdhsa_exception_fp_ieee_overflow 0
		.amdhsa_exception_fp_ieee_underflow 0
		.amdhsa_exception_fp_ieee_inexact 0
		.amdhsa_exception_int_div_zero 0
	.end_amdhsa_kernel
	.section	.text._Z10sort_pairsILj256ELj16ELj1EaN10test_utils4lessEEvPKT2_PS2_T3_,"axG",@progbits,_Z10sort_pairsILj256ELj16ELj1EaN10test_utils4lessEEvPKT2_PS2_T3_,comdat
.Lfunc_end61:
	.size	_Z10sort_pairsILj256ELj16ELj1EaN10test_utils4lessEEvPKT2_PS2_T3_, .Lfunc_end61-_Z10sort_pairsILj256ELj16ELj1EaN10test_utils4lessEEvPKT2_PS2_T3_
                                        ; -- End function
	.set _Z10sort_pairsILj256ELj16ELj1EaN10test_utils4lessEEvPKT2_PS2_T3_.num_vgpr, 17
	.set _Z10sort_pairsILj256ELj16ELj1EaN10test_utils4lessEEvPKT2_PS2_T3_.num_agpr, 0
	.set _Z10sort_pairsILj256ELj16ELj1EaN10test_utils4lessEEvPKT2_PS2_T3_.numbered_sgpr, 7
	.set _Z10sort_pairsILj256ELj16ELj1EaN10test_utils4lessEEvPKT2_PS2_T3_.num_named_barrier, 0
	.set _Z10sort_pairsILj256ELj16ELj1EaN10test_utils4lessEEvPKT2_PS2_T3_.private_seg_size, 0
	.set _Z10sort_pairsILj256ELj16ELj1EaN10test_utils4lessEEvPKT2_PS2_T3_.uses_vcc, 1
	.set _Z10sort_pairsILj256ELj16ELj1EaN10test_utils4lessEEvPKT2_PS2_T3_.uses_flat_scratch, 0
	.set _Z10sort_pairsILj256ELj16ELj1EaN10test_utils4lessEEvPKT2_PS2_T3_.has_dyn_sized_stack, 0
	.set _Z10sort_pairsILj256ELj16ELj1EaN10test_utils4lessEEvPKT2_PS2_T3_.has_recursion, 0
	.set _Z10sort_pairsILj256ELj16ELj1EaN10test_utils4lessEEvPKT2_PS2_T3_.has_indirect_call, 0
	.section	.AMDGPU.csdata,"",@progbits
; Kernel info:
; codeLenInByte = 1188
; TotalNumSgprs: 9
; NumVgprs: 17
; ScratchSize: 0
; MemoryBound: 0
; FloatMode: 240
; IeeeMode: 1
; LDSByteSize: 272 bytes/workgroup (compile time only)
; SGPRBlocks: 0
; VGPRBlocks: 2
; NumSGPRsForWavesPerEU: 9
; NumVGPRsForWavesPerEU: 17
; Occupancy: 16
; WaveLimiterHint : 0
; COMPUTE_PGM_RSRC2:SCRATCH_EN: 0
; COMPUTE_PGM_RSRC2:USER_SGPR: 6
; COMPUTE_PGM_RSRC2:TRAP_HANDLER: 0
; COMPUTE_PGM_RSRC2:TGID_X_EN: 1
; COMPUTE_PGM_RSRC2:TGID_Y_EN: 0
; COMPUTE_PGM_RSRC2:TGID_Z_EN: 0
; COMPUTE_PGM_RSRC2:TIDIG_COMP_CNT: 0
	.section	.text._Z19sort_keys_segmentedILj256ELj16ELj1EaN10test_utils4lessEEvPKT2_PS2_PKjT3_,"axG",@progbits,_Z19sort_keys_segmentedILj256ELj16ELj1EaN10test_utils4lessEEvPKT2_PS2_PKjT3_,comdat
	.protected	_Z19sort_keys_segmentedILj256ELj16ELj1EaN10test_utils4lessEEvPKT2_PS2_PKjT3_ ; -- Begin function _Z19sort_keys_segmentedILj256ELj16ELj1EaN10test_utils4lessEEvPKT2_PS2_PKjT3_
	.globl	_Z19sort_keys_segmentedILj256ELj16ELj1EaN10test_utils4lessEEvPKT2_PS2_PKjT3_
	.p2align	8
	.type	_Z19sort_keys_segmentedILj256ELj16ELj1EaN10test_utils4lessEEvPKT2_PS2_PKjT3_,@function
_Z19sort_keys_segmentedILj256ELj16ELj1EaN10test_utils4lessEEvPKT2_PS2_PKjT3_: ; @_Z19sort_keys_segmentedILj256ELj16ELj1EaN10test_utils4lessEEvPKT2_PS2_PKjT3_
; %bb.0:
	s_load_dwordx2 s[0:1], s[4:5], 0x10
	v_lshrrev_b32_e32 v3, 4, v0
	v_mov_b32_e32 v7, 0
	v_mbcnt_lo_u32_b32 v5, -1, 0
	v_lshl_or_b32 v6, s6, 4, v3
	s_load_dwordx4 s[4:7], s[4:5], 0x0
	v_lshlrev_b64 v[0:1], 2, v[6:7]
	v_lshlrev_b32_e32 v2, 4, v6
	s_waitcnt lgkmcnt(0)
	v_add_co_u32 v0, vcc_lo, s0, v0
	v_add_co_ci_u32_e64 v1, null, s1, v1, vcc_lo
	global_load_dword v4, v[0:1], off
	v_and_b32_e32 v0, 15, v5
	v_mov_b32_e32 v1, v7
	s_waitcnt vmcnt(0)
	v_cmp_ge_u32_e64 s0, v0, v4
	v_cmp_lt_u32_e32 vcc_lo, v0, v4
	s_and_saveexec_b32 s1, s0
	s_xor_b32 s0, exec_lo, s1
	s_or_saveexec_b32 s1, s0
                                        ; implicit-def: $vgpr12
	s_xor_b32 exec_lo, exec_lo, s1
	s_cbranch_execz .LBB62_2
; %bb.1:
	v_add_co_u32 v6, s0, s4, v2
	v_add_co_ci_u32_e64 v7, null, s5, 0, s0
	v_add_co_u32 v6, s0, v6, v0
	v_add_co_ci_u32_e64 v7, null, 0, v7, s0
	global_load_ubyte v12, v[6:7], off
.LBB62_2:
	s_or_b32 exec_lo, exec_lo, s1
	v_and_b32_e32 v6, 14, v5
	v_and_b32_e32 v10, 1, v5
	s_mov_b32 s2, 0
	s_mov_b32 s1, exec_lo
	v_min_i32_e32 v7, v4, v6
	v_min_i32_e32 v10, v4, v10
	; wave barrier
	v_add_nc_u32_e32 v6, 1, v7
	v_min_i32_e32 v6, v4, v6
	v_add_nc_u32_e32 v8, 1, v6
	v_sub_nc_u32_e32 v13, v6, v7
	v_min_i32_e32 v9, v4, v8
	v_sub_nc_u32_e32 v8, v9, v6
	v_sub_nc_u32_e32 v11, v10, v8
	v_cmp_ge_i32_e64 s0, v10, v8
	v_cndmask_b32_e64 v8, 0, v11, s0
	v_min_i32_e32 v11, v10, v13
	v_mad_u32_u24 v13, v3, 17, v0
	v_mul_u32_u24_e32 v3, 17, v3
	s_waitcnt vmcnt(0)
	ds_write_b8 v13, v12
	; wave barrier
	v_cmpx_lt_i32_e64 v8, v11
	s_cbranch_execz .LBB62_6
; %bb.3:
	v_add_nc_u32_e32 v12, v3, v7
	v_add3_u32 v13, v3, v6, v10
	.p2align	6
.LBB62_4:                               ; =>This Inner Loop Header: Depth=1
	v_sub_nc_u32_e32 v14, v11, v8
	v_lshrrev_b32_e32 v14, 1, v14
	v_add_nc_u32_e32 v14, v14, v8
	v_add_nc_u32_e32 v15, v12, v14
	v_xad_u32 v16, v14, -1, v13
	v_add_nc_u32_e32 v17, 1, v14
	ds_read_i8 v15, v15
	ds_read_i8 v16, v16
	s_waitcnt lgkmcnt(0)
	v_cmp_lt_i16_e64 s0, v16, v15
	v_cndmask_b32_e64 v11, v11, v14, s0
	v_cndmask_b32_e64 v8, v17, v8, s0
	v_cmp_ge_i32_e64 s0, v8, v11
	s_or_b32 s2, s0, s2
	s_andn2_b32 exec_lo, exec_lo, s2
	s_cbranch_execnz .LBB62_4
; %bb.5:
	s_or_b32 exec_lo, exec_lo, s2
.LBB62_6:
	s_or_b32 exec_lo, exec_lo, s1
	v_add_nc_u32_e32 v10, v6, v10
	v_and_b32_e32 v11, 12, v5
	v_add_nc_u32_e32 v12, v8, v7
	v_sub_nc_u32_e32 v13, v10, v8
	v_min_i32_e32 v10, v4, v11
	v_add_nc_u32_e32 v7, v3, v12
	v_cmp_le_i32_e64 s0, v6, v12
	v_add_nc_u32_e32 v6, v3, v0
	v_add_nc_u32_e32 v8, v3, v13
	;; [unrolled: 1-line block ×3, first 2 shown]
	v_cmp_gt_i32_e64 s1, v9, v13
	ds_read_u8 v14, v7
	ds_read_u8 v15, v8
	v_min_i32_e32 v8, v4, v11
	v_and_b32_e32 v11, 3, v5
	; wave barrier
	v_add_nc_u32_e32 v7, 2, v8
	v_min_i32_e32 v11, v4, v11
	v_sub_nc_u32_e32 v12, v8, v10
	v_min_i32_e32 v7, v4, v7
	v_min_i32_e32 v12, v11, v12
	v_sub_nc_u32_e32 v16, v7, v8
	s_waitcnt lgkmcnt(0)
	v_cmp_lt_i16_sdwa s2, sext(v15), sext(v14) src0_sel:BYTE_0 src1_sel:BYTE_0
	v_sub_nc_u32_e32 v17, v11, v16
	s_or_b32 s2, s0, s2
	v_cmp_ge_i32_e64 s0, v11, v16
	v_cndmask_b32_e64 v9, 0, v17, s0
	s_and_b32 s0, s1, s2
	s_mov_b32 s2, 0
	v_cndmask_b32_e64 v13, v14, v15, s0
	s_mov_b32 s1, exec_lo
	ds_write_b8 v6, v13
	; wave barrier
	v_cmpx_lt_i32_e64 v9, v12
	s_cbranch_execz .LBB62_10
; %bb.7:
	v_add_nc_u32_e32 v13, v3, v10
	v_add3_u32 v14, v3, v8, v11
	.p2align	6
.LBB62_8:                               ; =>This Inner Loop Header: Depth=1
	v_sub_nc_u32_e32 v15, v12, v9
	v_lshrrev_b32_e32 v15, 1, v15
	v_add_nc_u32_e32 v15, v15, v9
	v_add_nc_u32_e32 v16, v13, v15
	v_xad_u32 v17, v15, -1, v14
	v_add_nc_u32_e32 v18, 1, v15
	ds_read_i8 v16, v16
	ds_read_i8 v17, v17
	s_waitcnt lgkmcnt(0)
	v_cmp_lt_i16_e64 s0, v17, v16
	v_cndmask_b32_e64 v12, v12, v15, s0
	v_cndmask_b32_e64 v9, v18, v9, s0
	v_cmp_ge_i32_e64 s0, v9, v12
	s_or_b32 s2, s0, s2
	s_andn2_b32 exec_lo, exec_lo, s2
	s_cbranch_execnz .LBB62_8
; %bb.9:
	s_or_b32 exec_lo, exec_lo, s2
.LBB62_10:
	s_or_b32 exec_lo, exec_lo, s1
	v_add_nc_u32_e32 v11, v8, v11
	v_and_b32_e32 v12, 8, v5
	v_add_nc_u32_e32 v13, v9, v10
	v_sub_nc_u32_e32 v14, v11, v9
	v_min_i32_e32 v10, v4, v12
	v_add_nc_u32_e32 v9, v3, v13
	v_cmp_le_i32_e64 s0, v8, v13
	v_add_nc_u32_e32 v11, v3, v14
	v_add_nc_u32_e32 v12, 4, v10
	v_cmp_gt_i32_e64 s1, v7, v14
	ds_read_u8 v15, v9
	ds_read_u8 v16, v11
	v_min_i32_e32 v9, v4, v12
	v_and_b32_e32 v12, 7, v5
	; wave barrier
	v_add_nc_u32_e32 v11, 4, v9
	v_sub_nc_u32_e32 v8, v9, v10
	v_min_i32_e32 v5, v4, v11
	v_min_i32_e32 v11, v4, v12
	v_sub_nc_u32_e32 v12, v5, v9
	v_min_i32_e32 v8, v11, v8
	s_waitcnt lgkmcnt(0)
	v_cmp_lt_i16_sdwa s2, sext(v16), sext(v15) src0_sel:BYTE_0 src1_sel:BYTE_0
	v_sub_nc_u32_e32 v13, v11, v12
	s_or_b32 s2, s0, s2
	v_cmp_ge_i32_e64 s0, v11, v12
	v_cndmask_b32_e64 v7, 0, v13, s0
	s_and_b32 s0, s1, s2
	s_mov_b32 s2, 0
	v_cndmask_b32_e64 v12, v15, v16, s0
	s_mov_b32 s1, exec_lo
	ds_write_b8 v6, v12
	; wave barrier
	v_cmpx_lt_i32_e64 v7, v8
	s_cbranch_execz .LBB62_14
; %bb.11:
	v_add_nc_u32_e32 v12, v3, v10
	v_add3_u32 v13, v3, v9, v11
	.p2align	6
.LBB62_12:                              ; =>This Inner Loop Header: Depth=1
	v_sub_nc_u32_e32 v14, v8, v7
	v_lshrrev_b32_e32 v14, 1, v14
	v_add_nc_u32_e32 v14, v14, v7
	v_add_nc_u32_e32 v15, v12, v14
	v_xad_u32 v16, v14, -1, v13
	v_add_nc_u32_e32 v17, 1, v14
	ds_read_i8 v15, v15
	ds_read_i8 v16, v16
	s_waitcnt lgkmcnt(0)
	v_cmp_lt_i16_e64 s0, v16, v15
	v_cndmask_b32_e64 v8, v8, v14, s0
	v_cndmask_b32_e64 v7, v17, v7, s0
	v_cmp_ge_i32_e64 s0, v7, v8
	s_or_b32 s2, s0, s2
	s_andn2_b32 exec_lo, exec_lo, s2
	s_cbranch_execnz .LBB62_12
; %bb.13:
	s_or_b32 exec_lo, exec_lo, s2
.LBB62_14:
	s_or_b32 exec_lo, exec_lo, s1
	v_add_nc_u32_e32 v8, v9, v11
	v_add_nc_u32_e32 v11, v7, v10
	v_min_i32_e32 v10, 0, v4
	v_sub_nc_u32_e32 v12, v8, v7
	v_add_nc_u32_e32 v7, v3, v11
	v_add_nc_u32_e32 v13, 8, v10
	v_cmp_le_i32_e64 s0, v9, v11
	v_add_nc_u32_e32 v8, v3, v12
	v_cmp_gt_i32_e64 s1, v5, v12
	ds_read_u8 v14, v7
	ds_read_u8 v15, v8
	v_min_i32_e32 v8, v4, v13
	; wave barrier
	v_add_nc_u32_e32 v7, 8, v8
	v_sub_nc_u32_e32 v9, v8, v10
	v_min_i32_e32 v7, v4, v7
	v_min_i32_e32 v4, v4, v0
	v_sub_nc_u32_e32 v13, v7, v8
	v_min_i32_e32 v9, v4, v9
	s_waitcnt lgkmcnt(0)
	v_cmp_lt_i16_sdwa s2, sext(v15), sext(v14) src0_sel:BYTE_0 src1_sel:BYTE_0
	v_sub_nc_u32_e32 v11, v4, v13
	s_or_b32 s2, s0, s2
	v_cmp_ge_i32_e64 s0, v4, v13
	v_cndmask_b32_e64 v5, 0, v11, s0
	s_and_b32 s0, s1, s2
	s_mov_b32 s1, 0
	v_cndmask_b32_e64 v11, v14, v15, s0
	s_mov_b32 s2, exec_lo
	ds_write_b8 v6, v11
	; wave barrier
	v_cmpx_lt_i32_e64 v5, v9
	s_cbranch_execnz .LBB62_17
; %bb.15:
	s_or_b32 exec_lo, exec_lo, s2
	s_and_saveexec_b32 s0, vcc_lo
	s_cbranch_execnz .LBB62_20
.LBB62_16:
	s_endpgm
.LBB62_17:
	v_add_nc_u32_e32 v6, v3, v10
	v_add3_u32 v11, v3, v8, v4
	.p2align	6
.LBB62_18:                              ; =>This Inner Loop Header: Depth=1
	v_sub_nc_u32_e32 v12, v9, v5
	v_lshrrev_b32_e32 v12, 1, v12
	v_add_nc_u32_e32 v12, v12, v5
	v_add_nc_u32_e32 v13, v6, v12
	v_xad_u32 v14, v12, -1, v11
	v_add_nc_u32_e32 v15, 1, v12
	ds_read_i8 v13, v13
	ds_read_i8 v14, v14
	s_waitcnt lgkmcnt(0)
	v_cmp_lt_i16_e64 s0, v14, v13
	v_cndmask_b32_e64 v9, v9, v12, s0
	v_cndmask_b32_e64 v5, v15, v5, s0
	v_cmp_ge_i32_e64 s0, v5, v9
	s_or_b32 s1, s0, s1
	s_andn2_b32 exec_lo, exec_lo, s1
	s_cbranch_execnz .LBB62_18
; %bb.19:
	s_or_b32 exec_lo, exec_lo, s1
	s_or_b32 exec_lo, exec_lo, s2
	s_and_saveexec_b32 s0, vcc_lo
	s_cbranch_execz .LBB62_16
.LBB62_20:
	v_add_nc_u32_e32 v4, v8, v4
	v_add_co_u32 v2, s0, s6, v2
	v_sub_nc_u32_e32 v4, v4, v5
	v_add_nc_u32_e32 v5, v5, v10
	v_add_nc_u32_e32 v6, v3, v4
	;; [unrolled: 1-line block ×3, first 2 shown]
	v_cmp_le_i32_e32 vcc_lo, v8, v5
	v_add_co_ci_u32_e64 v5, null, s7, 0, s0
	ds_read_u8 v6, v6
	ds_read_u8 v3, v3
	v_cmp_gt_i32_e64 s0, v7, v4
	s_waitcnt lgkmcnt(0)
	v_cmp_lt_i16_sdwa s1, sext(v6), sext(v3) src0_sel:BYTE_0 src1_sel:BYTE_0
	s_or_b32 s1, vcc_lo, s1
	v_add_co_u32 v0, vcc_lo, v2, v0
	v_add_co_ci_u32_e64 v1, null, v5, v1, vcc_lo
	s_and_b32 vcc_lo, s0, s1
	v_cndmask_b32_e32 v2, v3, v6, vcc_lo
	global_store_byte v[0:1], v2, off
	s_endpgm
	.section	.rodata,"a",@progbits
	.p2align	6, 0x0
	.amdhsa_kernel _Z19sort_keys_segmentedILj256ELj16ELj1EaN10test_utils4lessEEvPKT2_PS2_PKjT3_
		.amdhsa_group_segment_fixed_size 272
		.amdhsa_private_segment_fixed_size 0
		.amdhsa_kernarg_size 28
		.amdhsa_user_sgpr_count 6
		.amdhsa_user_sgpr_private_segment_buffer 1
		.amdhsa_user_sgpr_dispatch_ptr 0
		.amdhsa_user_sgpr_queue_ptr 0
		.amdhsa_user_sgpr_kernarg_segment_ptr 1
		.amdhsa_user_sgpr_dispatch_id 0
		.amdhsa_user_sgpr_flat_scratch_init 0
		.amdhsa_user_sgpr_private_segment_size 0
		.amdhsa_wavefront_size32 1
		.amdhsa_uses_dynamic_stack 0
		.amdhsa_system_sgpr_private_segment_wavefront_offset 0
		.amdhsa_system_sgpr_workgroup_id_x 1
		.amdhsa_system_sgpr_workgroup_id_y 0
		.amdhsa_system_sgpr_workgroup_id_z 0
		.amdhsa_system_sgpr_workgroup_info 0
		.amdhsa_system_vgpr_workitem_id 0
		.amdhsa_next_free_vgpr 19
		.amdhsa_next_free_sgpr 8
		.amdhsa_reserve_vcc 1
		.amdhsa_reserve_flat_scratch 0
		.amdhsa_float_round_mode_32 0
		.amdhsa_float_round_mode_16_64 0
		.amdhsa_float_denorm_mode_32 3
		.amdhsa_float_denorm_mode_16_64 3
		.amdhsa_dx10_clamp 1
		.amdhsa_ieee_mode 1
		.amdhsa_fp16_overflow 0
		.amdhsa_workgroup_processor_mode 1
		.amdhsa_memory_ordered 1
		.amdhsa_forward_progress 1
		.amdhsa_shared_vgpr_count 0
		.amdhsa_exception_fp_ieee_invalid_op 0
		.amdhsa_exception_fp_denorm_src 0
		.amdhsa_exception_fp_ieee_div_zero 0
		.amdhsa_exception_fp_ieee_overflow 0
		.amdhsa_exception_fp_ieee_underflow 0
		.amdhsa_exception_fp_ieee_inexact 0
		.amdhsa_exception_int_div_zero 0
	.end_amdhsa_kernel
	.section	.text._Z19sort_keys_segmentedILj256ELj16ELj1EaN10test_utils4lessEEvPKT2_PS2_PKjT3_,"axG",@progbits,_Z19sort_keys_segmentedILj256ELj16ELj1EaN10test_utils4lessEEvPKT2_PS2_PKjT3_,comdat
.Lfunc_end62:
	.size	_Z19sort_keys_segmentedILj256ELj16ELj1EaN10test_utils4lessEEvPKT2_PS2_PKjT3_, .Lfunc_end62-_Z19sort_keys_segmentedILj256ELj16ELj1EaN10test_utils4lessEEvPKT2_PS2_PKjT3_
                                        ; -- End function
	.set _Z19sort_keys_segmentedILj256ELj16ELj1EaN10test_utils4lessEEvPKT2_PS2_PKjT3_.num_vgpr, 19
	.set _Z19sort_keys_segmentedILj256ELj16ELj1EaN10test_utils4lessEEvPKT2_PS2_PKjT3_.num_agpr, 0
	.set _Z19sort_keys_segmentedILj256ELj16ELj1EaN10test_utils4lessEEvPKT2_PS2_PKjT3_.numbered_sgpr, 8
	.set _Z19sort_keys_segmentedILj256ELj16ELj1EaN10test_utils4lessEEvPKT2_PS2_PKjT3_.num_named_barrier, 0
	.set _Z19sort_keys_segmentedILj256ELj16ELj1EaN10test_utils4lessEEvPKT2_PS2_PKjT3_.private_seg_size, 0
	.set _Z19sort_keys_segmentedILj256ELj16ELj1EaN10test_utils4lessEEvPKT2_PS2_PKjT3_.uses_vcc, 1
	.set _Z19sort_keys_segmentedILj256ELj16ELj1EaN10test_utils4lessEEvPKT2_PS2_PKjT3_.uses_flat_scratch, 0
	.set _Z19sort_keys_segmentedILj256ELj16ELj1EaN10test_utils4lessEEvPKT2_PS2_PKjT3_.has_dyn_sized_stack, 0
	.set _Z19sort_keys_segmentedILj256ELj16ELj1EaN10test_utils4lessEEvPKT2_PS2_PKjT3_.has_recursion, 0
	.set _Z19sort_keys_segmentedILj256ELj16ELj1EaN10test_utils4lessEEvPKT2_PS2_PKjT3_.has_indirect_call, 0
	.section	.AMDGPU.csdata,"",@progbits
; Kernel info:
; codeLenInByte = 1504
; TotalNumSgprs: 10
; NumVgprs: 19
; ScratchSize: 0
; MemoryBound: 0
; FloatMode: 240
; IeeeMode: 1
; LDSByteSize: 272 bytes/workgroup (compile time only)
; SGPRBlocks: 0
; VGPRBlocks: 2
; NumSGPRsForWavesPerEU: 10
; NumVGPRsForWavesPerEU: 19
; Occupancy: 16
; WaveLimiterHint : 0
; COMPUTE_PGM_RSRC2:SCRATCH_EN: 0
; COMPUTE_PGM_RSRC2:USER_SGPR: 6
; COMPUTE_PGM_RSRC2:TRAP_HANDLER: 0
; COMPUTE_PGM_RSRC2:TGID_X_EN: 1
; COMPUTE_PGM_RSRC2:TGID_Y_EN: 0
; COMPUTE_PGM_RSRC2:TGID_Z_EN: 0
; COMPUTE_PGM_RSRC2:TIDIG_COMP_CNT: 0
	.section	.text._Z20sort_pairs_segmentedILj256ELj16ELj1EaN10test_utils4lessEEvPKT2_PS2_PKjT3_,"axG",@progbits,_Z20sort_pairs_segmentedILj256ELj16ELj1EaN10test_utils4lessEEvPKT2_PS2_PKjT3_,comdat
	.protected	_Z20sort_pairs_segmentedILj256ELj16ELj1EaN10test_utils4lessEEvPKT2_PS2_PKjT3_ ; -- Begin function _Z20sort_pairs_segmentedILj256ELj16ELj1EaN10test_utils4lessEEvPKT2_PS2_PKjT3_
	.globl	_Z20sort_pairs_segmentedILj256ELj16ELj1EaN10test_utils4lessEEvPKT2_PS2_PKjT3_
	.p2align	8
	.type	_Z20sort_pairs_segmentedILj256ELj16ELj1EaN10test_utils4lessEEvPKT2_PS2_PKjT3_,@function
_Z20sort_pairs_segmentedILj256ELj16ELj1EaN10test_utils4lessEEvPKT2_PS2_PKjT3_: ; @_Z20sort_pairs_segmentedILj256ELj16ELj1EaN10test_utils4lessEEvPKT2_PS2_PKjT3_
; %bb.0:
	s_load_dwordx2 s[0:1], s[4:5], 0x10
	v_lshrrev_b32_e32 v3, 4, v0
	v_mov_b32_e32 v2, 0
	v_mbcnt_lo_u32_b32 v6, -1, 0
	v_lshl_or_b32 v1, s6, 4, v3
	s_load_dwordx4 s[4:7], s[4:5], 0x0
	v_and_b32_e32 v0, 15, v6
	v_lshlrev_b64 v[4:5], 2, v[1:2]
	v_lshlrev_b32_e32 v1, 4, v1
	s_waitcnt lgkmcnt(0)
	v_add_co_u32 v4, vcc_lo, s0, v4
	v_add_co_ci_u32_e64 v5, null, s1, v5, vcc_lo
	global_load_dword v4, v[4:5], off
	s_waitcnt vmcnt(0)
	v_cmp_ge_u32_e64 s0, v0, v4
	v_cmp_lt_u32_e32 vcc_lo, v0, v4
	s_and_saveexec_b32 s1, s0
	s_xor_b32 s0, exec_lo, s1
	s_or_saveexec_b32 s1, s0
                                        ; implicit-def: $vgpr5
	s_xor_b32 exec_lo, exec_lo, s1
	s_cbranch_execz .LBB63_2
; %bb.1:
	v_add_co_u32 v5, s0, s4, v1
	v_add_co_ci_u32_e64 v8, null, s5, 0, s0
	v_add_co_u32 v7, s0, v5, v0
	v_add_co_ci_u32_e64 v8, null, 0, v8, s0
	global_load_ubyte v5, v[7:8], off
.LBB63_2:
	s_or_b32 exec_lo, exec_lo, s1
	v_and_b32_e32 v7, 14, v6
	v_and_b32_e32 v10, 1, v6
	s_mov_b32 s2, 0
	s_mov_b32 s1, exec_lo
	v_min_i32_e32 v9, v4, v7
	v_min_i32_e32 v10, v4, v10
	; wave barrier
	v_add_nc_u32_e32 v7, 1, v9
	v_min_i32_e32 v7, v4, v7
	v_add_nc_u32_e32 v8, 1, v7
	v_sub_nc_u32_e32 v13, v7, v9
	v_min_i32_e32 v8, v4, v8
	v_sub_nc_u32_e32 v11, v8, v7
	v_sub_nc_u32_e32 v12, v10, v11
	v_cmp_ge_i32_e64 s0, v10, v11
	v_cndmask_b32_e64 v11, 0, v12, s0
	v_min_i32_e32 v12, v10, v13
	v_mad_u32_u24 v13, v3, 17, v0
	v_mul_u32_u24_e32 v3, 17, v3
	s_waitcnt vmcnt(0)
	ds_write_b8 v13, v5
	; wave barrier
	v_cmpx_lt_i32_e64 v11, v12
	s_cbranch_execz .LBB63_6
; %bb.3:
	v_add_nc_u32_e32 v13, v3, v9
	v_add3_u32 v14, v3, v7, v10
	.p2align	6
.LBB63_4:                               ; =>This Inner Loop Header: Depth=1
	v_sub_nc_u32_e32 v15, v12, v11
	v_lshrrev_b32_e32 v15, 1, v15
	v_add_nc_u32_e32 v15, v15, v11
	v_add_nc_u32_e32 v16, v13, v15
	v_xad_u32 v17, v15, -1, v14
	v_add_nc_u32_e32 v18, 1, v15
	ds_read_i8 v16, v16
	ds_read_i8 v17, v17
	s_waitcnt lgkmcnt(0)
	v_cmp_lt_i16_e64 s0, v17, v16
	v_cndmask_b32_e64 v12, v12, v15, s0
	v_cndmask_b32_e64 v11, v18, v11, s0
	v_cmp_ge_i32_e64 s0, v11, v12
	s_or_b32 s2, s0, s2
	s_andn2_b32 exec_lo, exec_lo, s2
	s_cbranch_execnz .LBB63_4
; %bb.5:
	s_or_b32 exec_lo, exec_lo, s2
.LBB63_6:
	s_or_b32 exec_lo, exec_lo, s1
	v_add_nc_u32_e32 v10, v7, v10
	v_add_nc_u32_e32 v9, v11, v9
	v_sub_nc_u32_e32 v11, v10, v11
	v_add_nc_u32_e32 v10, v3, v9
	v_cmp_le_i32_e64 s0, v7, v9
	v_add_nc_u32_e32 v12, v3, v11
	v_cmp_gt_i32_e64 s1, v8, v11
	v_add_nc_u16 v8, v5, 1
	v_add_nc_u32_e32 v5, v3, v0
	ds_read_u8 v13, v10
	ds_read_u8 v12, v12
	v_and_b32_e32 v10, 12, v6
	; wave barrier
	ds_write_b8 v5, v8
	v_and_b32_e32 v8, 3, v6
	v_min_i32_e32 v10, v4, v10
	; wave barrier
	v_add_nc_u32_e32 v14, 2, v10
	v_min_i32_e32 v7, v4, v14
	s_waitcnt lgkmcnt(1)
	v_cmp_lt_i16_sdwa s2, sext(v12), sext(v13) src0_sel:BYTE_0 src1_sel:BYTE_0
	v_add_nc_u32_e32 v14, 2, v7
	s_or_b32 s0, s0, s2
	s_mov_b32 s2, 0
	s_and_b32 s0, s1, s0
	s_mov_b32 s1, exec_lo
	v_cndmask_b32_e64 v11, v9, v11, s0
	v_cndmask_b32_e64 v15, v13, v12, s0
	v_min_i32_e32 v9, v4, v14
	v_sub_nc_u32_e32 v14, v7, v10
	v_add_nc_u32_e32 v12, v3, v11
	v_min_i32_e32 v11, v4, v8
	v_sub_nc_u32_e32 v13, v9, v7
	ds_read_u8 v8, v12
	v_sub_nc_u32_e32 v12, v11, v13
	v_cmp_ge_i32_e64 s0, v11, v13
	v_min_i32_e32 v13, v11, v14
	; wave barrier
	ds_write_b8 v5, v15
	v_cndmask_b32_e64 v12, 0, v12, s0
	; wave barrier
	v_cmpx_lt_i32_e64 v12, v13
	s_cbranch_execz .LBB63_10
; %bb.7:
	v_add_nc_u32_e32 v14, v3, v10
	v_add3_u32 v15, v3, v7, v11
	.p2align	6
.LBB63_8:                               ; =>This Inner Loop Header: Depth=1
	v_sub_nc_u32_e32 v16, v13, v12
	v_lshrrev_b32_e32 v16, 1, v16
	v_add_nc_u32_e32 v16, v16, v12
	v_add_nc_u32_e32 v17, v14, v16
	v_xad_u32 v18, v16, -1, v15
	v_add_nc_u32_e32 v19, 1, v16
	ds_read_i8 v17, v17
	ds_read_i8 v18, v18
	s_waitcnt lgkmcnt(0)
	v_cmp_lt_i16_e64 s0, v18, v17
	v_cndmask_b32_e64 v13, v13, v16, s0
	v_cndmask_b32_e64 v12, v19, v12, s0
	v_cmp_ge_i32_e64 s0, v12, v13
	s_or_b32 s2, s0, s2
	s_andn2_b32 exec_lo, exec_lo, s2
	s_cbranch_execnz .LBB63_8
; %bb.9:
	s_or_b32 exec_lo, exec_lo, s2
.LBB63_10:
	s_or_b32 exec_lo, exec_lo, s1
	v_add_nc_u32_e32 v11, v7, v11
	v_add_nc_u32_e32 v13, v12, v10
	v_sub_nc_u32_e32 v11, v11, v12
	v_add_nc_u32_e32 v10, v3, v13
	v_cmp_le_i32_e64 s0, v7, v13
	v_add_nc_u32_e32 v12, v3, v11
	v_cmp_gt_i32_e64 s1, v9, v11
	ds_read_u8 v14, v10
	ds_read_u8 v12, v12
	v_and_b32_e32 v10, 8, v6
	v_and_b32_e32 v6, 7, v6
	; wave barrier
	s_waitcnt lgkmcnt(3)
	ds_write_b8 v5, v8
	v_min_i32_e32 v10, v4, v10
	; wave barrier
	v_add_nc_u32_e32 v15, 4, v10
	v_min_i32_e32 v7, v4, v15
	s_waitcnt lgkmcnt(1)
	v_cmp_lt_i16_sdwa s2, sext(v12), sext(v14) src0_sel:BYTE_0 src1_sel:BYTE_0
	v_add_nc_u32_e32 v9, 4, v7
	s_or_b32 s0, s0, s2
	v_min_i32_e32 v8, v4, v9
	s_and_b32 s0, s1, s0
	v_min_i32_e32 v9, v4, v6
	v_cndmask_b32_e64 v11, v13, v11, s0
	v_cndmask_b32_e64 v14, v14, v12, s0
	v_sub_nc_u32_e32 v12, v8, v7
	v_sub_nc_u32_e32 v13, v7, v10
	s_mov_b32 s2, 0
	v_add_nc_u32_e32 v11, v3, v11
	s_mov_b32 s1, exec_lo
	v_cmp_ge_i32_e64 s0, v9, v12
	ds_read_u8 v6, v11
	v_sub_nc_u32_e32 v11, v9, v12
	v_min_i32_e32 v12, v9, v13
	; wave barrier
	ds_write_b8 v5, v14
	v_cndmask_b32_e64 v11, 0, v11, s0
	; wave barrier
	v_cmpx_lt_i32_e64 v11, v12
	s_cbranch_execz .LBB63_14
; %bb.11:
	v_add_nc_u32_e32 v13, v3, v10
	v_add3_u32 v14, v3, v7, v9
	.p2align	6
.LBB63_12:                              ; =>This Inner Loop Header: Depth=1
	v_sub_nc_u32_e32 v15, v12, v11
	v_lshrrev_b32_e32 v15, 1, v15
	v_add_nc_u32_e32 v15, v15, v11
	v_add_nc_u32_e32 v16, v13, v15
	v_xad_u32 v17, v15, -1, v14
	v_add_nc_u32_e32 v18, 1, v15
	ds_read_i8 v16, v16
	ds_read_i8 v17, v17
	s_waitcnt lgkmcnt(0)
	v_cmp_lt_i16_e64 s0, v17, v16
	v_cndmask_b32_e64 v12, v12, v15, s0
	v_cndmask_b32_e64 v11, v18, v11, s0
	v_cmp_ge_i32_e64 s0, v11, v12
	s_or_b32 s2, s0, s2
	s_andn2_b32 exec_lo, exec_lo, s2
	s_cbranch_execnz .LBB63_12
; %bb.13:
	s_or_b32 exec_lo, exec_lo, s2
.LBB63_14:
	s_or_b32 exec_lo, exec_lo, s1
	v_add_nc_u32_e32 v9, v7, v9
	v_add_nc_u32_e32 v10, v11, v10
	v_sub_nc_u32_e32 v11, v9, v11
	v_add_nc_u32_e32 v9, v3, v10
	v_cmp_le_i32_e64 s0, v7, v10
	v_add_nc_u32_e32 v12, v3, v11
	v_cmp_gt_i32_e64 s1, v8, v11
	ds_read_u8 v13, v9
	ds_read_u8 v12, v12
	v_min_i32_e32 v9, 0, v4
	; wave barrier
	s_waitcnt lgkmcnt(3)
	ds_write_b8 v5, v6
	v_add_nc_u32_e32 v7, 8, v9
	; wave barrier
	v_min_i32_e32 v7, v4, v7
	v_add_nc_u32_e32 v8, 8, v7
	s_waitcnt lgkmcnt(1)
	v_cmp_lt_i16_sdwa s2, sext(v12), sext(v13) src0_sel:BYTE_0 src1_sel:BYTE_0
	v_min_i32_e32 v6, v4, v8
	v_min_i32_e32 v8, v4, v0
	s_or_b32 s0, s0, s2
	s_mov_b32 s2, 0
	s_and_b32 s0, s1, s0
	s_mov_b32 s1, exec_lo
	v_cndmask_b32_e64 v10, v10, v11, s0
	v_sub_nc_u32_e32 v11, v6, v7
	v_cndmask_b32_e64 v12, v13, v12, s0
	v_sub_nc_u32_e32 v13, v7, v9
	v_add_nc_u32_e32 v10, v3, v10
	v_cmp_ge_i32_e64 s0, v8, v11
	ds_read_u8 v4, v10
	v_sub_nc_u32_e32 v10, v8, v11
	v_min_i32_e32 v11, v8, v13
	; wave barrier
	ds_write_b8 v5, v12
	v_cndmask_b32_e64 v10, 0, v10, s0
	; wave barrier
	v_cmpx_lt_i32_e64 v10, v11
	s_cbranch_execz .LBB63_18
; %bb.15:
	v_add_nc_u32_e32 v12, v3, v9
	v_add3_u32 v13, v3, v7, v8
	.p2align	6
.LBB63_16:                              ; =>This Inner Loop Header: Depth=1
	v_sub_nc_u32_e32 v14, v11, v10
	v_lshrrev_b32_e32 v14, 1, v14
	v_add_nc_u32_e32 v14, v14, v10
	v_add_nc_u32_e32 v15, v12, v14
	v_xad_u32 v16, v14, -1, v13
	v_add_nc_u32_e32 v17, 1, v14
	ds_read_i8 v15, v15
	ds_read_i8 v16, v16
	s_waitcnt lgkmcnt(0)
	v_cmp_lt_i16_e64 s0, v16, v15
	v_cndmask_b32_e64 v11, v11, v14, s0
	v_cndmask_b32_e64 v10, v17, v10, s0
	v_cmp_ge_i32_e64 s0, v10, v11
	s_or_b32 s2, s0, s2
	s_andn2_b32 exec_lo, exec_lo, s2
	s_cbranch_execnz .LBB63_16
; %bb.17:
	s_or_b32 exec_lo, exec_lo, s2
.LBB63_18:
	s_or_b32 exec_lo, exec_lo, s1
	v_add_nc_u32_e32 v11, v7, v8
	v_add_nc_u32_e32 v8, v10, v9
	v_sub_nc_u32_e32 v9, v11, v10
	v_add_nc_u32_e32 v10, v3, v8
	v_add_nc_u32_e32 v11, v3, v9
	ds_read_i8 v10, v10
	ds_read_i8 v11, v11
	; wave barrier
	s_waitcnt lgkmcnt(3)
	ds_write_b8 v5, v4
	; wave barrier
	s_and_saveexec_b32 s0, vcc_lo
	s_cbranch_execz .LBB63_20
; %bb.19:
	v_cmp_le_i32_e32 vcc_lo, v7, v8
	s_waitcnt lgkmcnt(1)
	v_cmp_lt_i16_sdwa s1, sext(v11), sext(v10) src0_sel:BYTE_0 src1_sel:BYTE_0
	v_cmp_gt_i32_e64 s0, v6, v9
	s_or_b32 s1, vcc_lo, s1
	s_and_b32 vcc_lo, s0, s1
	v_add_co_u32 v1, s0, s6, v1
	v_cndmask_b32_e32 v5, v8, v9, vcc_lo
	v_cndmask_b32_e32 v4, v10, v11, vcc_lo
	v_add_co_u32 v0, vcc_lo, v1, v0
	v_add_nc_u32_e32 v3, v3, v5
	v_add_co_ci_u32_e64 v5, null, s7, 0, s0
	ds_read_u8 v3, v3
	v_add_co_ci_u32_e64 v1, null, v5, v2, vcc_lo
	s_waitcnt lgkmcnt(0)
	v_add_nc_u16 v3, v3, v4
	global_store_byte v[0:1], v3, off
.LBB63_20:
	s_endpgm
	.section	.rodata,"a",@progbits
	.p2align	6, 0x0
	.amdhsa_kernel _Z20sort_pairs_segmentedILj256ELj16ELj1EaN10test_utils4lessEEvPKT2_PS2_PKjT3_
		.amdhsa_group_segment_fixed_size 272
		.amdhsa_private_segment_fixed_size 0
		.amdhsa_kernarg_size 28
		.amdhsa_user_sgpr_count 6
		.amdhsa_user_sgpr_private_segment_buffer 1
		.amdhsa_user_sgpr_dispatch_ptr 0
		.amdhsa_user_sgpr_queue_ptr 0
		.amdhsa_user_sgpr_kernarg_segment_ptr 1
		.amdhsa_user_sgpr_dispatch_id 0
		.amdhsa_user_sgpr_flat_scratch_init 0
		.amdhsa_user_sgpr_private_segment_size 0
		.amdhsa_wavefront_size32 1
		.amdhsa_uses_dynamic_stack 0
		.amdhsa_system_sgpr_private_segment_wavefront_offset 0
		.amdhsa_system_sgpr_workgroup_id_x 1
		.amdhsa_system_sgpr_workgroup_id_y 0
		.amdhsa_system_sgpr_workgroup_id_z 0
		.amdhsa_system_sgpr_workgroup_info 0
		.amdhsa_system_vgpr_workitem_id 0
		.amdhsa_next_free_vgpr 20
		.amdhsa_next_free_sgpr 8
		.amdhsa_reserve_vcc 1
		.amdhsa_reserve_flat_scratch 0
		.amdhsa_float_round_mode_32 0
		.amdhsa_float_round_mode_16_64 0
		.amdhsa_float_denorm_mode_32 3
		.amdhsa_float_denorm_mode_16_64 3
		.amdhsa_dx10_clamp 1
		.amdhsa_ieee_mode 1
		.amdhsa_fp16_overflow 0
		.amdhsa_workgroup_processor_mode 1
		.amdhsa_memory_ordered 1
		.amdhsa_forward_progress 1
		.amdhsa_shared_vgpr_count 0
		.amdhsa_exception_fp_ieee_invalid_op 0
		.amdhsa_exception_fp_denorm_src 0
		.amdhsa_exception_fp_ieee_div_zero 0
		.amdhsa_exception_fp_ieee_overflow 0
		.amdhsa_exception_fp_ieee_underflow 0
		.amdhsa_exception_fp_ieee_inexact 0
		.amdhsa_exception_int_div_zero 0
	.end_amdhsa_kernel
	.section	.text._Z20sort_pairs_segmentedILj256ELj16ELj1EaN10test_utils4lessEEvPKT2_PS2_PKjT3_,"axG",@progbits,_Z20sort_pairs_segmentedILj256ELj16ELj1EaN10test_utils4lessEEvPKT2_PS2_PKjT3_,comdat
.Lfunc_end63:
	.size	_Z20sort_pairs_segmentedILj256ELj16ELj1EaN10test_utils4lessEEvPKT2_PS2_PKjT3_, .Lfunc_end63-_Z20sort_pairs_segmentedILj256ELj16ELj1EaN10test_utils4lessEEvPKT2_PS2_PKjT3_
                                        ; -- End function
	.set _Z20sort_pairs_segmentedILj256ELj16ELj1EaN10test_utils4lessEEvPKT2_PS2_PKjT3_.num_vgpr, 20
	.set _Z20sort_pairs_segmentedILj256ELj16ELj1EaN10test_utils4lessEEvPKT2_PS2_PKjT3_.num_agpr, 0
	.set _Z20sort_pairs_segmentedILj256ELj16ELj1EaN10test_utils4lessEEvPKT2_PS2_PKjT3_.numbered_sgpr, 8
	.set _Z20sort_pairs_segmentedILj256ELj16ELj1EaN10test_utils4lessEEvPKT2_PS2_PKjT3_.num_named_barrier, 0
	.set _Z20sort_pairs_segmentedILj256ELj16ELj1EaN10test_utils4lessEEvPKT2_PS2_PKjT3_.private_seg_size, 0
	.set _Z20sort_pairs_segmentedILj256ELj16ELj1EaN10test_utils4lessEEvPKT2_PS2_PKjT3_.uses_vcc, 1
	.set _Z20sort_pairs_segmentedILj256ELj16ELj1EaN10test_utils4lessEEvPKT2_PS2_PKjT3_.uses_flat_scratch, 0
	.set _Z20sort_pairs_segmentedILj256ELj16ELj1EaN10test_utils4lessEEvPKT2_PS2_PKjT3_.has_dyn_sized_stack, 0
	.set _Z20sort_pairs_segmentedILj256ELj16ELj1EaN10test_utils4lessEEvPKT2_PS2_PKjT3_.has_recursion, 0
	.set _Z20sort_pairs_segmentedILj256ELj16ELj1EaN10test_utils4lessEEvPKT2_PS2_PKjT3_.has_indirect_call, 0
	.section	.AMDGPU.csdata,"",@progbits
; Kernel info:
; codeLenInByte = 1608
; TotalNumSgprs: 10
; NumVgprs: 20
; ScratchSize: 0
; MemoryBound: 0
; FloatMode: 240
; IeeeMode: 1
; LDSByteSize: 272 bytes/workgroup (compile time only)
; SGPRBlocks: 0
; VGPRBlocks: 2
; NumSGPRsForWavesPerEU: 10
; NumVGPRsForWavesPerEU: 20
; Occupancy: 16
; WaveLimiterHint : 0
; COMPUTE_PGM_RSRC2:SCRATCH_EN: 0
; COMPUTE_PGM_RSRC2:USER_SGPR: 6
; COMPUTE_PGM_RSRC2:TRAP_HANDLER: 0
; COMPUTE_PGM_RSRC2:TGID_X_EN: 1
; COMPUTE_PGM_RSRC2:TGID_Y_EN: 0
; COMPUTE_PGM_RSRC2:TGID_Z_EN: 0
; COMPUTE_PGM_RSRC2:TIDIG_COMP_CNT: 0
	.section	.text._Z9sort_keysILj256ELj16ELj4EaN10test_utils4lessEEvPKT2_PS2_T3_,"axG",@progbits,_Z9sort_keysILj256ELj16ELj4EaN10test_utils4lessEEvPKT2_PS2_T3_,comdat
	.protected	_Z9sort_keysILj256ELj16ELj4EaN10test_utils4lessEEvPKT2_PS2_T3_ ; -- Begin function _Z9sort_keysILj256ELj16ELj4EaN10test_utils4lessEEvPKT2_PS2_T3_
	.globl	_Z9sort_keysILj256ELj16ELj4EaN10test_utils4lessEEvPKT2_PS2_T3_
	.p2align	8
	.type	_Z9sort_keysILj256ELj16ELj4EaN10test_utils4lessEEvPKT2_PS2_T3_,@function
_Z9sort_keysILj256ELj16ELj4EaN10test_utils4lessEEvPKT2_PS2_T3_: ; @_Z9sort_keysILj256ELj16ELj4EaN10test_utils4lessEEvPKT2_PS2_T3_
; %bb.0:
	s_load_dwordx4 s[8:11], s[4:5], 0x0
	s_lshl_b32 s3, s6, 10
	v_lshlrev_b32_e32 v1, 2, v0
	v_lshrrev_b32_e32 v0, 4, v0
	s_waitcnt lgkmcnt(0)
	s_add_u32 s0, s8, s3
	s_addc_u32 s1, s9, 0
	global_load_dword v2, v1, s[0:1]
	s_mov_b32 s1, exec_lo
	; wave barrier
	s_waitcnt vmcnt(0)
	v_lshrrev_b32_e32 v3, 8, v2
	v_bfe_i32 v4, v2, 0, 8
	v_perm_b32 v5, v2, v2, 0x7060405
	v_bfe_i32 v3, v3, 0, 8
	v_cmp_lt_i16_e32 vcc_lo, v3, v4
	v_cndmask_b32_e32 v2, v2, v5, vcc_lo
	v_lshrrev_b32_e32 v5, 16, v2
	v_lshrrev_b32_e32 v6, 24, v2
	v_perm_b32 v7, 0, v5, 0xc0c0001
	v_bfe_i32 v6, v6, 0, 8
	v_bfe_i32 v5, v5, 0, 8
	v_lshlrev_b32_e32 v7, 16, v7
	v_min_i16 v8, v6, v5
	v_cmp_lt_i16_e32 vcc_lo, v6, v5
	v_and_or_b32 v7, 0xffff, v2, v7
	v_lshlrev_b16 v9, 8, v8
	v_cndmask_b32_e32 v2, v2, v7, vcc_lo
	v_min_i16 v7, v3, v4
	v_max_i16 v3, v3, v4
	v_or_b32_sdwa v4, v2, v9 dst_sel:DWORD dst_unused:UNUSED_PAD src0_sel:BYTE_0 src1_sel:DWORD
	v_lshlrev_b16 v9, 8, v7
	v_min_i16 v10, v8, v3
	v_perm_b32 v11, v3, v2, 0xc0c0304
	v_cmp_lt_i16_e32 vcc_lo, v8, v3
	v_and_b32_e32 v4, 0xffff, v4
	v_or_b32_sdwa v9, v10, v9 dst_sel:DWORD dst_unused:UNUSED_PAD src0_sel:BYTE_0 src1_sel:DWORD
	v_lshl_or_b32 v4, v11, 16, v4
	v_max_i16 v11, v8, v3
	v_and_b32_e32 v9, 0xffff, v9
	v_cndmask_b32_e32 v2, v2, v4, vcc_lo
	v_max_i16 v4, v6, v5
	v_lshlrev_b16 v5, 8, v11
	v_cmp_lt_i16_e32 vcc_lo, v8, v7
	v_and_or_b32 v6, 0xffff0000, v2, v9
	v_cmp_gt_i16_e64 s0, v3, v4
	v_or_b32_sdwa v5, v4, v5 dst_sel:WORD_1 dst_unused:UNUSED_PAD src0_sel:BYTE_0 src1_sel:DWORD
	v_mbcnt_lo_u32_b32 v3, -1, 0
	v_cndmask_b32_e32 v12, v10, v7, vcc_lo
	v_cndmask_b32_e32 v2, v2, v6, vcc_lo
	v_cndmask_b32_e64 v11, v11, v4, s0
	v_mov_b32_e32 v10, 0
	v_lshlrev_b32_e32 v4, 2, v3
	v_and_or_b32 v5, 0xffff, v2, v5
	v_cmp_lt_i16_e32 vcc_lo, v11, v12
	v_and_b32_e32 v6, 56, v4
	v_and_b32_e32 v7, 4, v4
	v_cndmask_b32_e64 v9, v2, v5, s0
	v_lshlrev_b16 v2, 8, v11
	s_mov_b32 s0, 0
	v_or_b32_e32 v5, 4, v6
	v_perm_b32 v3, v12, v9, 0xc0c0304
	v_or_b32_sdwa v2, v9, v2 dst_sel:DWORD dst_unused:UNUSED_PAD src0_sel:BYTE_0 src1_sel:DWORD
	v_sub_nc_u32_e32 v13, v5, v6
	v_and_b32_e32 v8, 0xffff, v2
	v_and_b32_e32 v2, 60, v4
	v_lshl_or_b32 v14, v3, 16, v8
	v_mad_u32_u24 v3, 0x41, v0, v2
	v_min_i32_e32 v8, v7, v13
	v_mul_u32_u24_e32 v0, 0x41, v0
	v_cndmask_b32_e32 v9, v9, v14, vcc_lo
	ds_write_b32 v3, v9
	; wave barrier
	v_cmpx_lt_i32_e32 0, v8
	s_cbranch_execz .LBB64_4
; %bb.1:
	v_add_nc_u32_e32 v9, v0, v6
	v_mov_b32_e32 v10, 0
	v_add_nc_u32_e32 v11, v9, v7
	.p2align	6
.LBB64_2:                               ; =>This Inner Loop Header: Depth=1
	v_sub_nc_u32_e32 v12, v8, v10
	v_lshrrev_b32_e32 v12, 1, v12
	v_add_nc_u32_e32 v12, v12, v10
	v_add_nc_u32_e32 v13, v9, v12
	v_xad_u32 v14, v12, -1, v11
	v_add_nc_u32_e32 v15, 1, v12
	ds_read_i8 v13, v13
	ds_read_i8 v14, v14 offset:4
	s_waitcnt lgkmcnt(0)
	v_cmp_lt_i16_e32 vcc_lo, v14, v13
	v_cndmask_b32_e32 v8, v8, v12, vcc_lo
	v_cndmask_b32_e32 v10, v15, v10, vcc_lo
	v_cmp_ge_i32_e32 vcc_lo, v10, v8
	s_or_b32 s0, vcc_lo, s0
	s_andn2_b32 exec_lo, exec_lo, s0
	s_cbranch_execnz .LBB64_2
; %bb.3:
	s_or_b32 exec_lo, exec_lo, s0
.LBB64_4:
	s_or_b32 exec_lo, exec_lo, s1
	v_add_nc_u32_e32 v8, v6, v7
	v_add_nc_u32_e32 v11, v10, v6
	;; [unrolled: 1-line block ×3, first 2 shown]
	v_cmp_lt_i32_e32 vcc_lo, 3, v10
	v_sub_nc_u32_e32 v8, v8, v10
	v_add_nc_u32_e32 v14, v0, v11
	v_sub_nc_u32_e32 v12, v12, v10
	v_add_nc_u32_e32 v13, v0, v8
	ds_read_u8 v8, v14
	ds_read_u8 v9, v13 offset:4
	s_waitcnt lgkmcnt(1)
	v_bfe_i32 v7, v8, 0, 8
	s_waitcnt lgkmcnt(0)
	v_bfe_i32 v8, v9, 0, 8
	v_add_nc_u32_e32 v9, 8, v6
                                        ; implicit-def: $vgpr6
	v_cmp_lt_i16_e64 s0, v8, v7
	v_cmp_gt_i32_e64 s1, v9, v12
	s_or_b32 s0, vcc_lo, s0
	s_and_b32 vcc_lo, s1, s0
	s_xor_b32 s0, vcc_lo, -1
	s_and_saveexec_b32 s1, s0
	s_xor_b32 s0, exec_lo, s1
; %bb.5:
	ds_read_u8 v6, v14 offset:1
                                        ; implicit-def: $vgpr13
; %bb.6:
	s_or_saveexec_b32 s0, s0
	v_mov_b32_e32 v10, v8
	s_xor_b32 exec_lo, exec_lo, s0
	s_cbranch_execz .LBB64_8
; %bb.7:
	ds_read_u8 v10, v13 offset:5
	s_waitcnt lgkmcnt(1)
	v_mov_b32_e32 v6, v7
.LBB64_8:
	s_or_b32 exec_lo, exec_lo, s0
	v_add_nc_u32_e32 v13, 1, v11
	v_add_nc_u32_e32 v14, 1, v12
	s_waitcnt lgkmcnt(0)
	v_cmp_lt_i16_sdwa s2, sext(v10), sext(v6) src0_sel:BYTE_0 src1_sel:BYTE_0
	v_cndmask_b32_e32 v13, v13, v11, vcc_lo
	v_cndmask_b32_e32 v12, v12, v14, vcc_lo
                                        ; implicit-def: $vgpr11
	v_cmp_ge_i32_e64 s0, v13, v5
	v_cmp_lt_i32_e64 s1, v12, v9
	s_or_b32 s0, s0, s2
	s_and_b32 s0, s1, s0
	s_xor_b32 s1, s0, -1
	s_and_saveexec_b32 s2, s1
	s_xor_b32 s1, exec_lo, s2
; %bb.9:
	v_add_nc_u32_e32 v11, v0, v13
	ds_read_u8 v11, v11 offset:1
; %bb.10:
	s_or_saveexec_b32 s1, s1
	v_mov_b32_e32 v15, v10
	s_xor_b32 exec_lo, exec_lo, s1
	s_cbranch_execz .LBB64_12
; %bb.11:
	s_waitcnt lgkmcnt(0)
	v_add_nc_u32_e32 v11, v0, v12
	ds_read_u8 v15, v11 offset:1
	v_mov_b32_e32 v11, v6
.LBB64_12:
	s_or_b32 exec_lo, exec_lo, s1
	v_add_nc_u32_e32 v14, 1, v13
	v_add_nc_u32_e32 v16, 1, v12
	s_waitcnt lgkmcnt(0)
	v_cmp_lt_i16_sdwa s4, sext(v15), sext(v11) src0_sel:BYTE_0 src1_sel:BYTE_0
	v_cndmask_b32_e64 v13, v14, v13, s0
	v_cndmask_b32_e64 v12, v12, v16, s0
                                        ; implicit-def: $vgpr14
	v_cmp_ge_i32_e64 s1, v13, v5
	v_cmp_lt_i32_e64 s2, v12, v9
	s_or_b32 s1, s1, s4
	s_and_b32 s1, s2, s1
	s_xor_b32 s2, s1, -1
	s_and_saveexec_b32 s4, s2
	s_xor_b32 s2, exec_lo, s4
; %bb.13:
	v_add_nc_u32_e32 v14, v0, v13
	ds_read_u8 v14, v14 offset:1
; %bb.14:
	s_or_saveexec_b32 s2, s2
	v_mov_b32_e32 v16, v15
	s_xor_b32 exec_lo, exec_lo, s2
	s_cbranch_execz .LBB64_16
; %bb.15:
	s_waitcnt lgkmcnt(0)
	v_add_nc_u32_e32 v14, v0, v12
	ds_read_u8 v16, v14 offset:1
	v_mov_b32_e32 v14, v11
.LBB64_16:
	s_or_b32 exec_lo, exec_lo, s2
	v_add_nc_u32_e32 v17, 1, v13
	v_cndmask_b32_e64 v15, v11, v15, s1
	v_and_b32_e32 v11, 48, v4
	v_add_nc_u32_e32 v18, 1, v12
	s_waitcnt lgkmcnt(0)
	v_cmp_lt_i16_sdwa s2, sext(v16), sext(v14) src0_sel:BYTE_0 src1_sel:BYTE_0
	v_cndmask_b32_e64 v13, v17, v13, s1
	v_cndmask_b32_e64 v17, v6, v10, s0
	v_or_b32_e32 v6, 8, v11
	v_cndmask_b32_e64 v12, v12, v18, s1
	v_and_b32_e32 v10, 12, v4
	v_cmp_ge_i32_e64 s0, v13, v5
	v_cndmask_b32_e32 v8, v7, v8, vcc_lo
	v_sub_nc_u32_e32 v7, v6, v11
	v_cmp_lt_i32_e64 s1, v12, v9
	v_sub_nc_u32_e64 v5, v10, 8 clamp
	s_or_b32 s0, s0, s2
	v_min_i32_e32 v7, v10, v7
	s_and_b32 vcc_lo, s1, s0
	s_mov_b32 s0, exec_lo
	v_cndmask_b32_e32 v9, v14, v16, vcc_lo
	; wave barrier
	ds_write_b8 v3, v8
	ds_write_b8 v3, v17 offset:1
	ds_write_b8 v3, v15 offset:2
	;; [unrolled: 1-line block ×3, first 2 shown]
	; wave barrier
	v_cmpx_lt_i32_e64 v5, v7
	s_cbranch_execz .LBB64_20
; %bb.17:
	v_add_nc_u32_e32 v8, v0, v11
	s_mov_b32 s1, 0
	v_add_nc_u32_e32 v9, v8, v10
	.p2align	6
.LBB64_18:                              ; =>This Inner Loop Header: Depth=1
	v_sub_nc_u32_e32 v12, v7, v5
	v_lshrrev_b32_e32 v12, 1, v12
	v_add_nc_u32_e32 v12, v12, v5
	v_add_nc_u32_e32 v13, v8, v12
	v_xad_u32 v14, v12, -1, v9
	v_add_nc_u32_e32 v15, 1, v12
	ds_read_i8 v13, v13
	ds_read_i8 v14, v14 offset:8
	s_waitcnt lgkmcnt(0)
	v_cmp_lt_i16_e32 vcc_lo, v14, v13
	v_cndmask_b32_e32 v7, v7, v12, vcc_lo
	v_cndmask_b32_e32 v5, v15, v5, vcc_lo
	v_cmp_ge_i32_e32 vcc_lo, v5, v7
	s_or_b32 s1, vcc_lo, s1
	s_andn2_b32 exec_lo, exec_lo, s1
	s_cbranch_execnz .LBB64_18
; %bb.19:
	s_or_b32 exec_lo, exec_lo, s1
.LBB64_20:
	s_or_b32 exec_lo, exec_lo, s0
	v_add_nc_u32_e32 v7, v11, v10
	v_add_nc_u32_e32 v12, v5, v11
	;; [unrolled: 1-line block ×4, first 2 shown]
	v_cmp_lt_i32_e32 vcc_lo, 7, v5
	v_sub_nc_u32_e32 v7, v7, v5
	v_add_nc_u32_e32 v14, v0, v12
	v_sub_nc_u32_e32 v11, v10, v5
                                        ; implicit-def: $vgpr5
	v_add_nc_u32_e32 v13, v0, v7
	ds_read_u8 v7, v14
	ds_read_u8 v8, v13 offset:8
	v_cmp_gt_i32_e64 s1, v9, v11
	s_waitcnt lgkmcnt(1)
	v_bfe_i32 v7, v7, 0, 8
	s_waitcnt lgkmcnt(0)
	v_bfe_i32 v8, v8, 0, 8
	v_cmp_lt_i16_e64 s0, v8, v7
	s_or_b32 s0, vcc_lo, s0
	s_and_b32 vcc_lo, s1, s0
	s_xor_b32 s0, vcc_lo, -1
	s_and_saveexec_b32 s1, s0
	s_xor_b32 s0, exec_lo, s1
; %bb.21:
	ds_read_u8 v5, v14 offset:1
                                        ; implicit-def: $vgpr13
; %bb.22:
	s_or_saveexec_b32 s0, s0
	v_mov_b32_e32 v10, v8
	s_xor_b32 exec_lo, exec_lo, s0
	s_cbranch_execz .LBB64_24
; %bb.23:
	ds_read_u8 v10, v13 offset:9
	s_waitcnt lgkmcnt(1)
	v_mov_b32_e32 v5, v7
.LBB64_24:
	s_or_b32 exec_lo, exec_lo, s0
	v_add_nc_u32_e32 v13, 1, v12
	v_add_nc_u32_e32 v14, 1, v11
	s_waitcnt lgkmcnt(0)
	v_cmp_lt_i16_sdwa s2, sext(v10), sext(v5) src0_sel:BYTE_0 src1_sel:BYTE_0
	v_cndmask_b32_e32 v13, v13, v12, vcc_lo
	v_cndmask_b32_e32 v12, v11, v14, vcc_lo
                                        ; implicit-def: $vgpr11
	v_cmp_ge_i32_e64 s0, v13, v6
	v_cmp_lt_i32_e64 s1, v12, v9
	s_or_b32 s0, s0, s2
	s_and_b32 s0, s1, s0
	s_xor_b32 s1, s0, -1
	s_and_saveexec_b32 s2, s1
	s_xor_b32 s1, exec_lo, s2
; %bb.25:
	v_add_nc_u32_e32 v11, v0, v13
	ds_read_u8 v11, v11 offset:1
; %bb.26:
	s_or_saveexec_b32 s1, s1
	v_mov_b32_e32 v15, v10
	s_xor_b32 exec_lo, exec_lo, s1
	s_cbranch_execz .LBB64_28
; %bb.27:
	s_waitcnt lgkmcnt(0)
	v_add_nc_u32_e32 v11, v0, v12
	ds_read_u8 v15, v11 offset:1
	v_mov_b32_e32 v11, v5
.LBB64_28:
	s_or_b32 exec_lo, exec_lo, s1
	v_add_nc_u32_e32 v14, 1, v13
	v_add_nc_u32_e32 v16, 1, v12
	s_waitcnt lgkmcnt(0)
	v_cmp_lt_i16_sdwa s4, sext(v15), sext(v11) src0_sel:BYTE_0 src1_sel:BYTE_0
	v_cndmask_b32_e64 v13, v14, v13, s0
	v_cndmask_b32_e64 v12, v12, v16, s0
                                        ; implicit-def: $vgpr14
	v_cmp_ge_i32_e64 s1, v13, v6
	v_cmp_lt_i32_e64 s2, v12, v9
	s_or_b32 s1, s1, s4
	s_and_b32 s1, s2, s1
	s_xor_b32 s2, s1, -1
	s_and_saveexec_b32 s4, s2
	s_xor_b32 s2, exec_lo, s4
; %bb.29:
	v_add_nc_u32_e32 v14, v0, v13
	ds_read_u8 v14, v14 offset:1
; %bb.30:
	s_or_saveexec_b32 s2, s2
	v_mov_b32_e32 v16, v15
	s_xor_b32 exec_lo, exec_lo, s2
	s_cbranch_execz .LBB64_32
; %bb.31:
	s_waitcnt lgkmcnt(0)
	v_add_nc_u32_e32 v14, v0, v12
	ds_read_u8 v16, v14 offset:1
	v_mov_b32_e32 v14, v11
.LBB64_32:
	s_or_b32 exec_lo, exec_lo, s2
	v_add_nc_u32_e32 v17, 1, v13
	v_cndmask_b32_e64 v15, v11, v15, s1
	v_and_b32_e32 v11, 32, v4
	v_add_nc_u32_e32 v18, 1, v12
	v_cndmask_b32_e64 v10, v5, v10, s0
	v_cndmask_b32_e64 v13, v17, v13, s1
	s_waitcnt lgkmcnt(0)
	v_cmp_lt_i16_sdwa s2, sext(v16), sext(v14) src0_sel:BYTE_0 src1_sel:BYTE_0
	v_or_b32_e32 v5, 16, v11
	v_cndmask_b32_e64 v12, v12, v18, s1
	v_and_b32_e32 v4, 28, v4
	v_cmp_ge_i32_e64 s0, v13, v6
	v_cndmask_b32_e32 v7, v7, v8, vcc_lo
	v_sub_nc_u32_e32 v6, v5, v11
	v_cmp_lt_i32_e64 s1, v12, v9
	v_sub_nc_u32_e64 v8, v4, 16 clamp
	s_or_b32 s0, s0, s2
	v_min_i32_e32 v6, v4, v6
	s_and_b32 vcc_lo, s1, s0
	s_mov_b32 s0, exec_lo
	v_cndmask_b32_e32 v9, v14, v16, vcc_lo
	; wave barrier
	ds_write_b8 v3, v7
	ds_write_b8 v3, v10 offset:1
	ds_write_b8 v3, v15 offset:2
	;; [unrolled: 1-line block ×3, first 2 shown]
	; wave barrier
	v_cmpx_lt_i32_e64 v8, v6
	s_cbranch_execz .LBB64_36
; %bb.33:
	v_add_nc_u32_e32 v7, v0, v11
	s_mov_b32 s1, 0
	v_add_nc_u32_e32 v9, v7, v4
	.p2align	6
.LBB64_34:                              ; =>This Inner Loop Header: Depth=1
	v_sub_nc_u32_e32 v10, v6, v8
	v_lshrrev_b32_e32 v10, 1, v10
	v_add_nc_u32_e32 v10, v10, v8
	v_add_nc_u32_e32 v12, v7, v10
	v_xad_u32 v13, v10, -1, v9
	v_add_nc_u32_e32 v14, 1, v10
	ds_read_i8 v12, v12
	ds_read_i8 v13, v13 offset:16
	s_waitcnt lgkmcnt(0)
	v_cmp_lt_i16_e32 vcc_lo, v13, v12
	v_cndmask_b32_e32 v6, v6, v10, vcc_lo
	v_cndmask_b32_e32 v8, v14, v8, vcc_lo
	v_cmp_ge_i32_e32 vcc_lo, v8, v6
	s_or_b32 s1, vcc_lo, s1
	s_andn2_b32 exec_lo, exec_lo, s1
	s_cbranch_execnz .LBB64_34
; %bb.35:
	s_or_b32 exec_lo, exec_lo, s1
.LBB64_36:
	s_or_b32 exec_lo, exec_lo, s0
	v_add_nc_u32_e32 v6, v11, v4
	v_add_nc_u32_e32 v10, v8, v11
	;; [unrolled: 1-line block ×4, first 2 shown]
	v_cmp_lt_i32_e32 vcc_lo, 15, v8
	v_sub_nc_u32_e32 v6, v6, v8
	v_add_nc_u32_e32 v9, v0, v10
	v_sub_nc_u32_e32 v11, v13, v8
                                        ; implicit-def: $vgpr8
	v_add_nc_u32_e32 v12, v0, v6
	ds_read_u8 v6, v9
	ds_read_u8 v7, v12 offset:16
	v_cmp_gt_i32_e64 s1, v4, v11
	s_waitcnt lgkmcnt(1)
	v_bfe_i32 v6, v6, 0, 8
	s_waitcnt lgkmcnt(0)
	v_bfe_i32 v7, v7, 0, 8
	v_cmp_lt_i16_e64 s0, v7, v6
	s_or_b32 s0, vcc_lo, s0
	s_and_b32 vcc_lo, s1, s0
	s_xor_b32 s0, vcc_lo, -1
	s_and_saveexec_b32 s1, s0
	s_xor_b32 s0, exec_lo, s1
; %bb.37:
	ds_read_u8 v8, v9 offset:1
                                        ; implicit-def: $vgpr12
; %bb.38:
	s_or_saveexec_b32 s0, s0
	v_mov_b32_e32 v9, v7
	s_xor_b32 exec_lo, exec_lo, s0
	s_cbranch_execz .LBB64_40
; %bb.39:
	ds_read_u8 v9, v12 offset:17
	s_waitcnt lgkmcnt(1)
	v_mov_b32_e32 v8, v6
.LBB64_40:
	s_or_b32 exec_lo, exec_lo, s0
	v_add_nc_u32_e32 v12, 1, v10
	v_add_nc_u32_e32 v14, 1, v11
	s_waitcnt lgkmcnt(0)
	v_cmp_lt_i16_sdwa s2, sext(v9), sext(v8) src0_sel:BYTE_0 src1_sel:BYTE_0
	v_cndmask_b32_e32 v13, v12, v10, vcc_lo
	v_cndmask_b32_e32 v12, v11, v14, vcc_lo
                                        ; implicit-def: $vgpr10
	v_cmp_ge_i32_e64 s0, v13, v5
	v_cmp_lt_i32_e64 s1, v12, v4
	s_or_b32 s0, s0, s2
	s_and_b32 s0, s1, s0
	s_xor_b32 s1, s0, -1
	s_and_saveexec_b32 s2, s1
	s_xor_b32 s1, exec_lo, s2
; %bb.41:
	v_add_nc_u32_e32 v10, v0, v13
	ds_read_u8 v10, v10 offset:1
; %bb.42:
	s_or_saveexec_b32 s1, s1
	v_mov_b32_e32 v11, v9
	s_xor_b32 exec_lo, exec_lo, s1
	s_cbranch_execz .LBB64_44
; %bb.43:
	s_waitcnt lgkmcnt(0)
	v_add_nc_u32_e32 v10, v0, v12
	ds_read_u8 v11, v10 offset:1
	v_mov_b32_e32 v10, v8
.LBB64_44:
	s_or_b32 exec_lo, exec_lo, s1
	v_add_nc_u32_e32 v14, 1, v13
	v_add_nc_u32_e32 v15, 1, v12
	s_waitcnt lgkmcnt(0)
	v_cmp_lt_i16_sdwa s4, sext(v11), sext(v10) src0_sel:BYTE_0 src1_sel:BYTE_0
	v_cndmask_b32_e64 v14, v14, v13, s0
	v_cndmask_b32_e64 v13, v12, v15, s0
                                        ; implicit-def: $vgpr12
	v_cmp_ge_i32_e64 s1, v14, v5
	v_cmp_lt_i32_e64 s2, v13, v4
	s_or_b32 s1, s1, s4
	s_and_b32 s1, s2, s1
	s_xor_b32 s2, s1, -1
	s_and_saveexec_b32 s4, s2
	s_xor_b32 s2, exec_lo, s4
; %bb.45:
	v_add_nc_u32_e32 v12, v0, v14
	ds_read_u8 v12, v12 offset:1
; %bb.46:
	s_or_saveexec_b32 s2, s2
	v_mov_b32_e32 v15, v11
	s_xor_b32 exec_lo, exec_lo, s2
	s_cbranch_execz .LBB64_48
; %bb.47:
	s_waitcnt lgkmcnt(0)
	v_add_nc_u32_e32 v12, v0, v13
	ds_read_u8 v15, v12 offset:1
	v_mov_b32_e32 v12, v10
.LBB64_48:
	s_or_b32 exec_lo, exec_lo, s2
	v_add_nc_u32_e32 v16, 1, v14
	v_add_nc_u32_e32 v17, 1, v13
	v_cndmask_b32_e64 v10, v10, v11, s1
	v_cndmask_b32_e64 v8, v8, v9, s0
	v_cndmask_b32_e32 v7, v6, v7, vcc_lo
	v_cndmask_b32_e64 v11, v16, v14, s1
	v_cndmask_b32_e64 v9, v13, v17, s1
	s_waitcnt lgkmcnt(0)
	v_cmp_lt_i16_sdwa s1, sext(v15), sext(v12) src0_sel:BYTE_0 src1_sel:BYTE_0
	v_sub_nc_u32_e64 v6, v2, 32 clamp
	v_cmp_ge_i32_e32 vcc_lo, v11, v5
	v_cmp_lt_i32_e64 s0, v9, v4
	v_min_u32_e32 v4, 32, v2
	; wave barrier
	s_or_b32 s1, vcc_lo, s1
	s_and_b32 vcc_lo, s0, s1
	s_mov_b32 s0, exec_lo
	v_cndmask_b32_e32 v5, v12, v15, vcc_lo
	ds_write_b8 v3, v7
	ds_write_b8 v3, v8 offset:1
	ds_write_b8 v3, v10 offset:2
	;; [unrolled: 1-line block ×3, first 2 shown]
	; wave barrier
	v_cmpx_lt_u32_e64 v6, v4
	s_cbranch_execz .LBB64_52
; %bb.49:
	s_mov_b32 s1, 0
	.p2align	6
.LBB64_50:                              ; =>This Inner Loop Header: Depth=1
	v_sub_nc_u32_e32 v5, v4, v6
	v_lshrrev_b32_e32 v5, 1, v5
	v_add_nc_u32_e32 v5, v5, v6
	v_add_nc_u32_e32 v7, v0, v5
	v_xad_u32 v8, v5, -1, v3
	v_add_nc_u32_e32 v9, 1, v5
	ds_read_i8 v7, v7
	ds_read_i8 v8, v8 offset:32
	s_waitcnt lgkmcnt(0)
	v_cmp_lt_i16_e32 vcc_lo, v8, v7
	v_cndmask_b32_e32 v4, v4, v5, vcc_lo
	v_cndmask_b32_e32 v6, v9, v6, vcc_lo
	v_cmp_ge_i32_e32 vcc_lo, v6, v4
	s_or_b32 s1, vcc_lo, s1
	s_andn2_b32 exec_lo, exec_lo, s1
	s_cbranch_execnz .LBB64_50
; %bb.51:
	s_or_b32 exec_lo, exec_lo, s1
.LBB64_52:
	s_or_b32 exec_lo, exec_lo, s0
	v_sub_nc_u32_e32 v4, v2, v6
	v_add_nc_u32_e32 v5, v0, v6
	v_cmp_lt_i32_e32 vcc_lo, 31, v6
	v_add_nc_u32_e32 v8, v0, v4
	v_add_nc_u32_e32 v7, 32, v4
                                        ; implicit-def: $vgpr4
	ds_read_u8 v2, v5
	ds_read_u8 v3, v8 offset:32
	v_cmp_gt_i32_e64 s1, 64, v7
	s_waitcnt lgkmcnt(1)
	v_bfe_i32 v2, v2, 0, 8
	s_waitcnt lgkmcnt(0)
	v_bfe_i32 v3, v3, 0, 8
	v_cmp_lt_i16_e64 s0, v3, v2
	s_or_b32 s0, vcc_lo, s0
	s_and_b32 s0, s1, s0
	s_xor_b32 s1, s0, -1
	s_and_saveexec_b32 s2, s1
	s_xor_b32 s1, exec_lo, s2
; %bb.53:
	ds_read_u8 v4, v5 offset:1
                                        ; implicit-def: $vgpr8
; %bb.54:
	s_or_saveexec_b32 s1, s1
	v_mov_b32_e32 v5, v3
	s_xor_b32 exec_lo, exec_lo, s1
	s_cbranch_execz .LBB64_56
; %bb.55:
	ds_read_u8 v5, v8 offset:33
	s_waitcnt lgkmcnt(1)
	v_mov_b32_e32 v4, v2
.LBB64_56:
	s_or_b32 exec_lo, exec_lo, s1
	v_add_nc_u32_e32 v8, 1, v6
	v_add_nc_u32_e32 v10, 1, v7
	s_waitcnt lgkmcnt(0)
	v_cmp_lt_i16_sdwa s2, sext(v5), sext(v4) src0_sel:BYTE_0 src1_sel:BYTE_0
	v_cndmask_b32_e64 v9, v8, v6, s0
	v_cndmask_b32_e64 v8, v7, v10, s0
                                        ; implicit-def: $vgpr7
	v_cmp_lt_i32_e32 vcc_lo, 31, v9
	v_cmp_gt_i32_e64 s1, 64, v8
	s_or_b32 s2, vcc_lo, s2
	s_and_b32 vcc_lo, s1, s2
	s_xor_b32 s1, vcc_lo, -1
	s_and_saveexec_b32 s2, s1
	s_xor_b32 s1, exec_lo, s2
; %bb.57:
	v_add_nc_u32_e32 v6, v0, v9
	ds_read_u8 v7, v6 offset:1
; %bb.58:
	s_or_saveexec_b32 s1, s1
	v_mov_b32_e32 v6, v5
	s_xor_b32 exec_lo, exec_lo, s1
	s_cbranch_execz .LBB64_60
; %bb.59:
	v_add_nc_u32_e32 v6, v0, v8
	s_waitcnt lgkmcnt(0)
	v_mov_b32_e32 v7, v4
	ds_read_u8 v6, v6 offset:1
.LBB64_60:
	s_or_b32 exec_lo, exec_lo, s1
	v_add_nc_u32_e32 v10, 1, v9
	v_add_nc_u32_e32 v11, 1, v8
	s_waitcnt lgkmcnt(0)
	v_cmp_ge_i16_sdwa s4, sext(v6), sext(v7) src0_sel:BYTE_0 src1_sel:BYTE_0
                                        ; implicit-def: $vgpr12
	v_cndmask_b32_e32 v10, v10, v9, vcc_lo
	v_cndmask_b32_e32 v8, v8, v11, vcc_lo
                                        ; implicit-def: $vgpr9
	v_cmp_gt_i32_e64 s1, 32, v10
	v_cmp_lt_i32_e64 s2, 63, v8
	s_and_b32 s1, s1, s4
	s_or_b32 s1, s2, s1
	s_and_saveexec_b32 s2, s1
	s_xor_b32 s1, exec_lo, s2
; %bb.61:
	v_add_nc_u32_e32 v0, v0, v10
	v_add_nc_u32_e32 v12, 1, v10
                                        ; implicit-def: $vgpr10
	ds_read_u8 v9, v0 offset:1
                                        ; implicit-def: $vgpr0
; %bb.62:
	s_or_saveexec_b32 s1, s1
	v_mov_b32_e32 v11, v7
	s_xor_b32 exec_lo, exec_lo, s1
	s_cbranch_execz .LBB64_64
; %bb.63:
	v_add_nc_u32_e32 v0, v0, v8
	v_add_nc_u32_e32 v8, 1, v8
	v_mov_b32_e32 v11, v6
	v_mov_b32_e32 v12, v10
	s_waitcnt lgkmcnt(0)
	v_mov_b32_e32 v9, v7
	ds_read_u8 v0, v0 offset:1
	s_waitcnt lgkmcnt(0)
	v_mov_b32_e32 v6, v0
.LBB64_64:
	s_or_b32 exec_lo, exec_lo, s1
	v_cmp_lt_i32_e64 s1, 31, v12
	s_waitcnt lgkmcnt(0)
	v_cmp_lt_i16_sdwa s4, sext(v6), sext(v9) src0_sel:BYTE_0 src1_sel:BYTE_0
	v_cmp_gt_i32_e64 s2, 64, v8
	v_cndmask_b32_sdwa v4, v4, v5, vcc_lo dst_sel:BYTE_1 dst_unused:UNUSED_PAD src0_sel:DWORD src1_sel:DWORD
	v_cndmask_b32_e64 v2, v2, v3, s0
	s_or_b32 s1, s1, s4
	s_and_b32 s1, s2, s1
	v_or_b32_sdwa v2, v2, v4 dst_sel:DWORD dst_unused:UNUSED_PAD src0_sel:BYTE_0 src1_sel:DWORD
	v_cndmask_b32_e64 v0, v9, v6, s1
	s_add_u32 s0, s10, s3
	s_addc_u32 s1, s11, 0
	v_lshlrev_b16 v0, 8, v0
	v_or_b32_sdwa v3, v11, v0 dst_sel:WORD_1 dst_unused:UNUSED_PAD src0_sel:BYTE_0 src1_sel:DWORD
	v_add_co_u32 v0, s0, s0, v1
	v_add_co_ci_u32_e64 v1, null, s1, 0, s0
	v_or_b32_sdwa v2, v2, v3 dst_sel:DWORD dst_unused:UNUSED_PAD src0_sel:WORD_0 src1_sel:DWORD
	global_store_dword v[0:1], v2, off
	s_endpgm
	.section	.rodata,"a",@progbits
	.p2align	6, 0x0
	.amdhsa_kernel _Z9sort_keysILj256ELj16ELj4EaN10test_utils4lessEEvPKT2_PS2_T3_
		.amdhsa_group_segment_fixed_size 1040
		.amdhsa_private_segment_fixed_size 0
		.amdhsa_kernarg_size 20
		.amdhsa_user_sgpr_count 6
		.amdhsa_user_sgpr_private_segment_buffer 1
		.amdhsa_user_sgpr_dispatch_ptr 0
		.amdhsa_user_sgpr_queue_ptr 0
		.amdhsa_user_sgpr_kernarg_segment_ptr 1
		.amdhsa_user_sgpr_dispatch_id 0
		.amdhsa_user_sgpr_flat_scratch_init 0
		.amdhsa_user_sgpr_private_segment_size 0
		.amdhsa_wavefront_size32 1
		.amdhsa_uses_dynamic_stack 0
		.amdhsa_system_sgpr_private_segment_wavefront_offset 0
		.amdhsa_system_sgpr_workgroup_id_x 1
		.amdhsa_system_sgpr_workgroup_id_y 0
		.amdhsa_system_sgpr_workgroup_id_z 0
		.amdhsa_system_sgpr_workgroup_info 0
		.amdhsa_system_vgpr_workitem_id 0
		.amdhsa_next_free_vgpr 19
		.amdhsa_next_free_sgpr 12
		.amdhsa_reserve_vcc 1
		.amdhsa_reserve_flat_scratch 0
		.amdhsa_float_round_mode_32 0
		.amdhsa_float_round_mode_16_64 0
		.amdhsa_float_denorm_mode_32 3
		.amdhsa_float_denorm_mode_16_64 3
		.amdhsa_dx10_clamp 1
		.amdhsa_ieee_mode 1
		.amdhsa_fp16_overflow 0
		.amdhsa_workgroup_processor_mode 1
		.amdhsa_memory_ordered 1
		.amdhsa_forward_progress 1
		.amdhsa_shared_vgpr_count 0
		.amdhsa_exception_fp_ieee_invalid_op 0
		.amdhsa_exception_fp_denorm_src 0
		.amdhsa_exception_fp_ieee_div_zero 0
		.amdhsa_exception_fp_ieee_overflow 0
		.amdhsa_exception_fp_ieee_underflow 0
		.amdhsa_exception_fp_ieee_inexact 0
		.amdhsa_exception_int_div_zero 0
	.end_amdhsa_kernel
	.section	.text._Z9sort_keysILj256ELj16ELj4EaN10test_utils4lessEEvPKT2_PS2_T3_,"axG",@progbits,_Z9sort_keysILj256ELj16ELj4EaN10test_utils4lessEEvPKT2_PS2_T3_,comdat
.Lfunc_end64:
	.size	_Z9sort_keysILj256ELj16ELj4EaN10test_utils4lessEEvPKT2_PS2_T3_, .Lfunc_end64-_Z9sort_keysILj256ELj16ELj4EaN10test_utils4lessEEvPKT2_PS2_T3_
                                        ; -- End function
	.set _Z9sort_keysILj256ELj16ELj4EaN10test_utils4lessEEvPKT2_PS2_T3_.num_vgpr, 19
	.set _Z9sort_keysILj256ELj16ELj4EaN10test_utils4lessEEvPKT2_PS2_T3_.num_agpr, 0
	.set _Z9sort_keysILj256ELj16ELj4EaN10test_utils4lessEEvPKT2_PS2_T3_.numbered_sgpr, 12
	.set _Z9sort_keysILj256ELj16ELj4EaN10test_utils4lessEEvPKT2_PS2_T3_.num_named_barrier, 0
	.set _Z9sort_keysILj256ELj16ELj4EaN10test_utils4lessEEvPKT2_PS2_T3_.private_seg_size, 0
	.set _Z9sort_keysILj256ELj16ELj4EaN10test_utils4lessEEvPKT2_PS2_T3_.uses_vcc, 1
	.set _Z9sort_keysILj256ELj16ELj4EaN10test_utils4lessEEvPKT2_PS2_T3_.uses_flat_scratch, 0
	.set _Z9sort_keysILj256ELj16ELj4EaN10test_utils4lessEEvPKT2_PS2_T3_.has_dyn_sized_stack, 0
	.set _Z9sort_keysILj256ELj16ELj4EaN10test_utils4lessEEvPKT2_PS2_T3_.has_recursion, 0
	.set _Z9sort_keysILj256ELj16ELj4EaN10test_utils4lessEEvPKT2_PS2_T3_.has_indirect_call, 0
	.section	.AMDGPU.csdata,"",@progbits
; Kernel info:
; codeLenInByte = 3168
; TotalNumSgprs: 14
; NumVgprs: 19
; ScratchSize: 0
; MemoryBound: 0
; FloatMode: 240
; IeeeMode: 1
; LDSByteSize: 1040 bytes/workgroup (compile time only)
; SGPRBlocks: 0
; VGPRBlocks: 2
; NumSGPRsForWavesPerEU: 14
; NumVGPRsForWavesPerEU: 19
; Occupancy: 16
; WaveLimiterHint : 0
; COMPUTE_PGM_RSRC2:SCRATCH_EN: 0
; COMPUTE_PGM_RSRC2:USER_SGPR: 6
; COMPUTE_PGM_RSRC2:TRAP_HANDLER: 0
; COMPUTE_PGM_RSRC2:TGID_X_EN: 1
; COMPUTE_PGM_RSRC2:TGID_Y_EN: 0
; COMPUTE_PGM_RSRC2:TGID_Z_EN: 0
; COMPUTE_PGM_RSRC2:TIDIG_COMP_CNT: 0
	.section	.text._Z10sort_pairsILj256ELj16ELj4EaN10test_utils4lessEEvPKT2_PS2_T3_,"axG",@progbits,_Z10sort_pairsILj256ELj16ELj4EaN10test_utils4lessEEvPKT2_PS2_T3_,comdat
	.protected	_Z10sort_pairsILj256ELj16ELj4EaN10test_utils4lessEEvPKT2_PS2_T3_ ; -- Begin function _Z10sort_pairsILj256ELj16ELj4EaN10test_utils4lessEEvPKT2_PS2_T3_
	.globl	_Z10sort_pairsILj256ELj16ELj4EaN10test_utils4lessEEvPKT2_PS2_T3_
	.p2align	8
	.type	_Z10sort_pairsILj256ELj16ELj4EaN10test_utils4lessEEvPKT2_PS2_T3_,@function
_Z10sort_pairsILj256ELj16ELj4EaN10test_utils4lessEEvPKT2_PS2_T3_: ; @_Z10sort_pairsILj256ELj16ELj4EaN10test_utils4lessEEvPKT2_PS2_T3_
; %bb.0:
	s_load_dwordx4 s[8:11], s[4:5], 0x0
	s_lshl_b32 s12, s6, 10
	v_lshlrev_b32_e32 v1, 2, v0
	v_mov_b32_e32 v8, 0xffffff00
	v_lshrrev_b32_e32 v0, 4, v0
	v_mov_b32_e32 v12, 0
	s_mov_b32 s6, 0
	s_mov_b32 s7, exec_lo
	s_waitcnt lgkmcnt(0)
	s_add_u32 s0, s8, s12
	s_addc_u32 s1, s9, 0
	global_load_dword v5, v1, s[0:1]
	; wave barrier
	s_waitcnt vmcnt(0)
	v_lshrrev_b32_e32 v6, 8, v5
	v_perm_b32 v2, v5, v5, 0x7060405
	v_cmp_lt_i16_sdwa vcc_lo, sext(v6), sext(v5) src0_sel:BYTE_0 src1_sel:BYTE_0
	v_cndmask_b32_e32 v2, v5, v2, vcc_lo
	v_lshrrev_b32_e32 v3, 16, v2
	v_lshrrev_b32_e32 v7, 24, v2
	v_perm_b32 v4, 0, v3, 0xc0c0001
	v_bfe_i32 v7, v7, 0, 8
	v_bfe_i32 v3, v3, 0, 8
	v_lshlrev_b32_e32 v4, 16, v4
	v_cmp_lt_i16_e64 s0, v7, v3
	v_min_i16 v9, v7, v3
	v_and_or_b32 v4, 0xffff, v2, v4
	v_lshlrev_b16 v3, 8, v9
	v_cndmask_b32_e64 v2, v2, v4, s0
	v_and_b32_sdwa v4, v2, v8 dst_sel:DWORD dst_unused:UNUSED_PAD src0_sel:WORD_1 src1_sel:DWORD
	v_lshrrev_b32_e32 v7, 8, v2
	v_or_b32_sdwa v3, v2, v3 dst_sel:DWORD dst_unused:UNUSED_PAD src0_sel:BYTE_0 src1_sel:DWORD
	v_or_b32_sdwa v4, v2, v4 dst_sel:WORD_1 dst_unused:UNUSED_PAD src0_sel:BYTE_1 src1_sel:DWORD
	v_bfe_i32 v7, v7, 0, 8
	v_or_b32_sdwa v3, v3, v4 dst_sel:DWORD dst_unused:UNUSED_PAD src0_sel:WORD_0 src1_sel:DWORD
	v_cmp_lt_i16_e64 s1, v9, v7
	v_cndmask_b32_e64 v2, v2, v3, s1
	v_min_i16 v3, v9, v7
	v_mbcnt_lo_u32_b32 v9, -1, 0
	v_lshlrev_b16 v4, 8, v2
	v_cmp_lt_i16_sdwa s3, v3, sext(v2) src0_sel:DWORD src1_sel:BYTE_0
	v_or_b32_sdwa v4, v3, v4 dst_sel:DWORD dst_unused:UNUSED_PAD src0_sel:BYTE_0 src1_sel:DWORD
	v_and_b32_e32 v4, 0xffff, v4
	v_and_or_b32 v4, 0xffff0000, v2, v4
	v_cndmask_b32_e64 v2, v2, v4, s3
	v_lshrrev_b32_e32 v3, 16, v2
	v_lshrrev_b32_e32 v7, 24, v2
	v_perm_b32 v4, 0, v3, 0xc0c0001
	v_bfe_i32 v7, v7, 0, 8
	v_bfe_i32 v3, v3, 0, 8
	v_lshlrev_b32_e32 v4, 16, v4
	v_cmp_lt_i16_e64 s4, v7, v3
	v_min_i16 v11, v7, v3
	v_and_or_b32 v10, 0xffff, v2, v4
	v_lshlrev_b32_e32 v4, 2, v9
	v_cndmask_b32_e64 v13, v2, v10, s4
	v_and_b32_e32 v10, 56, v4
	v_lshlrev_b16 v2, 8, v11
	v_and_b32_sdwa v3, v13, v8 dst_sel:DWORD dst_unused:UNUSED_PAD src0_sel:WORD_1 src1_sel:DWORD
	v_or_b32_e32 v7, 4, v10
	v_or_b32_sdwa v2, v13, v2 dst_sel:DWORD dst_unused:UNUSED_PAD src0_sel:BYTE_0 src1_sel:DWORD
	v_lshrrev_b32_e32 v15, 8, v13
	v_and_b32_e32 v8, 4, v4
	v_or_b32_sdwa v9, v13, v3 dst_sel:WORD_1 dst_unused:UNUSED_PAD src0_sel:BYTE_1 src1_sel:DWORD
	v_and_b32_e32 v3, 60, v4
	v_sub_nc_u32_e32 v14, v7, v10
	v_cmp_lt_i16_sdwa s2, v11, sext(v15) src0_sel:DWORD src1_sel:BYTE_0
	v_or_b32_sdwa v16, v2, v9 dst_sel:DWORD dst_unused:UNUSED_PAD src0_sel:WORD_0 src1_sel:DWORD
	v_mad_u32_u24 v2, 0x41, v0, v3
	v_min_i32_e32 v9, v8, v14
	v_mul_u32_u24_e32 v0, 0x41, v0
	v_cndmask_b32_e64 v11, v13, v16, s2
	ds_write_b32 v2, v11
	; wave barrier
	v_cmpx_lt_i32_e32 0, v9
	s_cbranch_execz .LBB65_4
; %bb.1:
	v_add_nc_u32_e32 v11, v0, v10
	v_mov_b32_e32 v12, 0
	v_add_nc_u32_e32 v13, v11, v8
	.p2align	6
.LBB65_2:                               ; =>This Inner Loop Header: Depth=1
	v_sub_nc_u32_e32 v14, v9, v12
	v_lshrrev_b32_e32 v14, 1, v14
	v_add_nc_u32_e32 v14, v14, v12
	v_add_nc_u32_e32 v15, v11, v14
	v_xad_u32 v16, v14, -1, v13
	v_add_nc_u32_e32 v17, 1, v14
	ds_read_i8 v15, v15
	ds_read_i8 v16, v16 offset:4
	s_waitcnt lgkmcnt(0)
	v_cmp_lt_i16_e64 s5, v16, v15
	v_cndmask_b32_e64 v9, v9, v14, s5
	v_cndmask_b32_e64 v12, v17, v12, s5
	v_cmp_ge_i32_e64 s5, v12, v9
	s_or_b32 s6, s5, s6
	s_andn2_b32 exec_lo, exec_lo, s6
	s_cbranch_execnz .LBB65_2
; %bb.3:
	s_or_b32 exec_lo, exec_lo, s6
.LBB65_4:
	s_or_b32 exec_lo, exec_lo, s7
	v_mov_b32_e32 v9, 24
	v_add_nc_u32_e32 v11, v12, v10
	v_add_nc_u32_e32 v16, v7, v8
	v_cmp_lt_i32_e64 s5, 3, v12
	v_lshrrev_b32_e32 v18, 16, v5
	v_lshrrev_b32_sdwa v17, v9, v5 dst_sel:BYTE_1 dst_unused:UNUSED_PAD src0_sel:DWORD src1_sel:DWORD
	v_add_nc_u32_e32 v9, v10, v8
	v_add_nc_u32_e32 v13, v0, v11
	;; [unrolled: 1-line block ×3, first 2 shown]
	v_sub_nc_u32_e32 v9, v9, v12
	v_add_nc_u32_e32 v14, v0, v9
	ds_read_u8 v9, v13
	ds_read_u8 v15, v14 offset:4
	s_waitcnt lgkmcnt(1)
	v_bfe_i32 v8, v9, 0, 8
	s_waitcnt lgkmcnt(0)
	v_bfe_i32 v9, v15, 0, 8
	v_sub_nc_u32_e32 v15, v16, v12
                                        ; implicit-def: $vgpr12
	v_cmp_lt_i16_e64 s6, v9, v8
	v_cmp_gt_i32_e64 s7, v10, v15
	s_or_b32 s5, s5, s6
	s_and_b32 s5, s7, s5
	s_xor_b32 s6, s5, -1
	s_and_saveexec_b32 s7, s6
	s_xor_b32 s6, exec_lo, s7
; %bb.5:
	ds_read_u8 v12, v13 offset:1
                                        ; implicit-def: $vgpr14
; %bb.6:
	s_or_saveexec_b32 s6, s6
	v_mov_b32_e32 v13, v9
	s_xor_b32 exec_lo, exec_lo, s6
	s_cbranch_execz .LBB65_8
; %bb.7:
	ds_read_u8 v13, v14 offset:5
	s_waitcnt lgkmcnt(1)
	v_mov_b32_e32 v12, v8
.LBB65_8:
	s_or_b32 exec_lo, exec_lo, s6
	v_add_nc_u32_e32 v14, 1, v11
	v_add_nc_u32_e32 v16, 1, v15
	s_waitcnt lgkmcnt(0)
	v_cmp_lt_i16_sdwa s8, sext(v13), sext(v12) src0_sel:BYTE_0 src1_sel:BYTE_0
	v_cndmask_b32_e64 v19, v14, v11, s5
	v_cndmask_b32_e64 v20, v15, v16, s5
                                        ; implicit-def: $vgpr14
	v_cmp_ge_i32_e64 s6, v19, v7
	v_cmp_lt_i32_e64 s7, v20, v10
	s_or_b32 s6, s6, s8
	s_and_b32 s6, s7, s6
	s_xor_b32 s7, s6, -1
	s_and_saveexec_b32 s8, s7
	s_xor_b32 s7, exec_lo, s8
; %bb.9:
	v_add_nc_u32_e32 v14, v0, v19
	ds_read_u8 v14, v14 offset:1
; %bb.10:
	s_or_saveexec_b32 s7, s7
	v_mov_b32_e32 v16, v13
	s_xor_b32 exec_lo, exec_lo, s7
	s_cbranch_execz .LBB65_12
; %bb.11:
	s_waitcnt lgkmcnt(0)
	v_add_nc_u32_e32 v14, v0, v20
	ds_read_u8 v16, v14 offset:1
	v_mov_b32_e32 v14, v12
.LBB65_12:
	s_or_b32 exec_lo, exec_lo, s7
	v_add_nc_u32_e32 v21, 1, v19
	v_add_nc_u32_e32 v22, 1, v20
	s_waitcnt lgkmcnt(0)
	v_cmp_lt_i16_sdwa s9, sext(v16), sext(v14) src0_sel:BYTE_0 src1_sel:BYTE_0
	v_cndmask_b32_e64 v24, v21, v19, s6
	v_cndmask_b32_e64 v23, v20, v22, s6
                                        ; implicit-def: $vgpr21
	v_cmp_ge_i32_e64 s7, v24, v7
	v_cmp_lt_i32_e64 s8, v23, v10
	s_or_b32 s7, s7, s9
	s_and_b32 s7, s8, s7
	s_xor_b32 s8, s7, -1
	s_and_saveexec_b32 s9, s8
	s_xor_b32 s8, exec_lo, s9
; %bb.13:
	v_add_nc_u32_e32 v21, v0, v24
	ds_read_u8 v21, v21 offset:1
; %bb.14:
	s_or_saveexec_b32 s8, s8
	v_mov_b32_e32 v22, v16
	s_xor_b32 exec_lo, exec_lo, s8
	s_cbranch_execz .LBB65_16
; %bb.15:
	s_waitcnt lgkmcnt(0)
	v_add_nc_u32_e32 v21, v0, v23
	ds_read_u8 v22, v21 offset:1
	v_mov_b32_e32 v21, v14
.LBB65_16:
	s_or_b32 exec_lo, exec_lo, s8
	v_add_nc_u16 v6, v6, 1
	v_add_nc_u16 v5, v5, 1
	v_add_nc_u16 v18, v18, 1
	v_cndmask_b32_e64 v11, v11, v15, s5
	v_cndmask_b32_e64 v19, v19, v20, s6
	v_lshlrev_b16 v25, 8, v6
	v_lshlrev_b16 v26, 8, v5
	v_or_b32_sdwa v17, v17, v18 dst_sel:DWORD dst_unused:UNUSED_PAD src0_sel:DWORD src1_sel:BYTE_0
	; wave barrier
	v_or_b32_sdwa v5, v5, v25 dst_sel:DWORD dst_unused:UNUSED_PAD src0_sel:BYTE_0 src1_sel:DWORD
	v_or_b32_sdwa v6, v6, v26 dst_sel:DWORD dst_unused:UNUSED_PAD src0_sel:BYTE_0 src1_sel:DWORD
	v_add_nc_u16 v17, 0x100, v17
	v_cndmask_b32_e64 v25, v24, v23, s7
	v_and_b32_e32 v15, 48, v4
	v_and_b32_e32 v5, 0xffff, v5
	v_and_b32_e32 v6, 0xffff, v6
	v_lshlrev_b32_e32 v18, 16, v17
	v_perm_b32 v17, 0, v17, 0xc0c0001
	v_cndmask_b32_e64 v16, v14, v16, s7
	v_cndmask_b32_e64 v9, v8, v9, s5
	v_cndmask_b32_e32 v5, v5, v6, vcc_lo
	v_cndmask_b32_e64 v12, v12, v13, s6
	v_lshlrev_b32_e32 v6, 16, v17
	v_add_nc_u32_e32 v17, 1, v24
	v_or_b32_e32 v5, v5, v18
	v_add_nc_u32_e32 v18, 1, v23
	v_cndmask_b32_e64 v17, v17, v24, s7
	v_and_or_b32 v6, 0xffff, v5, v6
	v_cndmask_b32_e64 v18, v23, v18, s7
	v_cmp_ge_i32_e32 vcc_lo, v17, v7
	v_cndmask_b32_e64 v5, v5, v6, s0
	v_cmp_lt_i32_e64 s0, v18, v10
	v_perm_b32 v6, v5, v5, 0x7050604
	v_cndmask_b32_e64 v5, v5, v6, s1
	s_waitcnt lgkmcnt(0)
	v_cmp_lt_i16_sdwa s1, sext(v22), sext(v21) src0_sel:BYTE_0 src1_sel:BYTE_0
	v_perm_b32 v6, 0, v5, 0xc0c0001
	s_or_b32 s1, vcc_lo, s1
	s_and_b32 vcc_lo, s0, s1
	s_mov_b32 s0, exec_lo
	v_and_or_b32 v6, 0xffff0000, v5, v6
	v_cndmask_b32_e32 v7, v17, v18, vcc_lo
	v_add_nc_u32_e32 v17, v0, v25
	v_cndmask_b32_e32 v20, v21, v22, vcc_lo
	v_cndmask_b32_e64 v5, v5, v6, s3
	v_add_nc_u32_e32 v18, v0, v7
	v_lshrrev_b32_e32 v6, 16, v5
	v_perm_b32 v6, 0, v6, 0xc0c0001
	v_lshlrev_b32_e32 v6, 16, v6
	v_and_or_b32 v6, 0xffff, v5, v6
	v_cndmask_b32_e64 v5, v5, v6, s4
	v_perm_b32 v6, v5, v5, 0x7050604
	v_cndmask_b32_e64 v5, v5, v6, s2
	v_add_nc_u32_e32 v6, v0, v11
	v_add_nc_u32_e32 v11, v0, v19
	ds_write_b32 v2, v5
	; wave barrier
	ds_read_u8 v10, v6
	ds_read_u8 v6, v11
	;; [unrolled: 1-line block ×4, first 2 shown]
	v_or_b32_e32 v11, 8, v15
	v_and_b32_e32 v17, 12, v4
	; wave barrier
	ds_write_b8 v2, v9
	ds_write_b8 v2, v12 offset:1
	ds_write_b8 v2, v16 offset:2
	ds_write_b8 v2, v20 offset:3
	v_sub_nc_u32_e32 v18, v11, v15
	v_sub_nc_u32_e64 v14, v17, 8 clamp
	; wave barrier
	v_min_i32_e32 v8, v17, v18
	v_cmpx_lt_i32_e64 v14, v8
	s_cbranch_execz .LBB65_20
; %bb.17:
	v_add_nc_u32_e32 v9, v0, v15
	s_mov_b32 s1, 0
	v_add_nc_u32_e32 v12, v9, v17
	.p2align	6
.LBB65_18:                              ; =>This Inner Loop Header: Depth=1
	v_sub_nc_u32_e32 v13, v8, v14
	v_lshrrev_b32_e32 v13, 1, v13
	v_add_nc_u32_e32 v13, v13, v14
	v_add_nc_u32_e32 v16, v9, v13
	v_xad_u32 v18, v13, -1, v12
	v_add_nc_u32_e32 v19, 1, v13
	ds_read_i8 v16, v16
	ds_read_i8 v18, v18 offset:8
	s_waitcnt lgkmcnt(0)
	v_cmp_lt_i16_e32 vcc_lo, v18, v16
	v_cndmask_b32_e32 v8, v8, v13, vcc_lo
	v_cndmask_b32_e32 v14, v19, v14, vcc_lo
	v_cmp_ge_i32_e32 vcc_lo, v14, v8
	s_or_b32 s1, vcc_lo, s1
	s_andn2_b32 exec_lo, exec_lo, s1
	s_cbranch_execnz .LBB65_18
; %bb.19:
	s_or_b32 exec_lo, exec_lo, s1
.LBB65_20:
	s_or_b32 exec_lo, exec_lo, s0
	v_add_nc_u32_e32 v8, v15, v17
	v_add_nc_u32_e32 v9, v14, v15
	;; [unrolled: 1-line block ×3, first 2 shown]
	v_cmp_lt_i32_e32 vcc_lo, 7, v14
	v_sub_nc_u32_e32 v8, v8, v14
	v_add_nc_u32_e32 v19, v0, v9
	v_sub_nc_u32_e32 v16, v16, v14
                                        ; implicit-def: $vgpr14
	v_add_nc_u32_e32 v18, v0, v8
	ds_read_u8 v8, v19
	ds_read_u8 v13, v18 offset:8
	s_waitcnt lgkmcnt(1)
	v_bfe_i32 v12, v8, 0, 8
	s_waitcnt lgkmcnt(0)
	v_bfe_i32 v13, v13, 0, 8
	v_add_nc_u32_e32 v8, 16, v15
	v_cmp_lt_i16_e64 s0, v13, v12
	v_cmp_gt_i32_e64 s1, v8, v16
	s_or_b32 s0, vcc_lo, s0
	s_and_b32 vcc_lo, s1, s0
	s_xor_b32 s0, vcc_lo, -1
	s_and_saveexec_b32 s1, s0
	s_xor_b32 s0, exec_lo, s1
; %bb.21:
	ds_read_u8 v14, v19 offset:1
                                        ; implicit-def: $vgpr18
; %bb.22:
	s_or_saveexec_b32 s0, s0
	v_mov_b32_e32 v15, v13
	s_xor_b32 exec_lo, exec_lo, s0
	s_cbranch_execz .LBB65_24
; %bb.23:
	ds_read_u8 v15, v18 offset:9
	s_waitcnt lgkmcnt(1)
	v_mov_b32_e32 v14, v12
.LBB65_24:
	s_or_b32 exec_lo, exec_lo, s0
	v_add_nc_u32_e32 v17, 1, v9
	v_add_nc_u32_e32 v18, 1, v16
	s_waitcnt lgkmcnt(0)
	v_cmp_lt_i16_sdwa s2, sext(v15), sext(v14) src0_sel:BYTE_0 src1_sel:BYTE_0
	v_cndmask_b32_e32 v19, v17, v9, vcc_lo
	v_cndmask_b32_e32 v20, v16, v18, vcc_lo
                                        ; implicit-def: $vgpr17
	v_cmp_ge_i32_e64 s0, v19, v11
	v_cmp_lt_i32_e64 s1, v20, v8
	s_or_b32 s0, s0, s2
	s_and_b32 s0, s1, s0
	s_xor_b32 s1, s0, -1
	s_and_saveexec_b32 s2, s1
	s_xor_b32 s1, exec_lo, s2
; %bb.25:
	v_add_nc_u32_e32 v17, v0, v19
	ds_read_u8 v17, v17 offset:1
; %bb.26:
	s_or_saveexec_b32 s1, s1
	v_mov_b32_e32 v18, v15
	s_xor_b32 exec_lo, exec_lo, s1
	s_cbranch_execz .LBB65_28
; %bb.27:
	s_waitcnt lgkmcnt(0)
	v_add_nc_u32_e32 v17, v0, v20
	ds_read_u8 v18, v17 offset:1
	v_mov_b32_e32 v17, v14
.LBB65_28:
	s_or_b32 exec_lo, exec_lo, s1
	v_add_nc_u32_e32 v21, 1, v19
	v_add_nc_u32_e32 v22, 1, v20
	s_waitcnt lgkmcnt(0)
	v_cmp_lt_i16_sdwa s3, sext(v18), sext(v17) src0_sel:BYTE_0 src1_sel:BYTE_0
	v_cndmask_b32_e64 v23, v21, v19, s0
	v_cndmask_b32_e64 v22, v20, v22, s0
                                        ; implicit-def: $vgpr21
	v_cmp_ge_i32_e64 s1, v23, v11
	v_cmp_lt_i32_e64 s2, v22, v8
	s_or_b32 s1, s1, s3
	s_and_b32 s1, s2, s1
	s_xor_b32 s2, s1, -1
	s_and_saveexec_b32 s3, s2
	s_xor_b32 s2, exec_lo, s3
; %bb.29:
	v_add_nc_u32_e32 v21, v0, v23
	ds_read_u8 v21, v21 offset:1
; %bb.30:
	s_or_saveexec_b32 s2, s2
	v_mov_b32_e32 v24, v18
	s_xor_b32 exec_lo, exec_lo, s2
	s_cbranch_execz .LBB65_32
; %bb.31:
	s_waitcnt lgkmcnt(0)
	v_add_nc_u32_e32 v21, v0, v22
	ds_read_u8 v24, v21 offset:1
	v_mov_b32_e32 v21, v17
.LBB65_32:
	s_or_b32 exec_lo, exec_lo, s2
	v_add_nc_u32_e32 v25, 1, v23
	v_add_nc_u32_e32 v26, 1, v22
	v_cndmask_b32_e32 v9, v9, v16, vcc_lo
	v_cndmask_b32_e64 v19, v19, v20, s0
	s_waitcnt lgkmcnt(0)
	v_cmp_lt_i16_sdwa s4, sext(v24), sext(v21) src0_sel:BYTE_0 src1_sel:BYTE_0
	v_cndmask_b32_e64 v16, v25, v23, s1
	v_cndmask_b32_e64 v20, v22, v26, s1
	v_cndmask_b32_e64 v27, v23, v22, s1
	; wave barrier
	v_cmp_ge_i32_e64 s2, v16, v11
	v_cmp_lt_i32_e64 s3, v20, v8
	ds_write_b8 v2, v10
	ds_write_b8 v2, v6 offset:1
	ds_write_b8 v2, v7 offset:2
	;; [unrolled: 1-line block ×3, first 2 shown]
	s_or_b32 s2, s2, s4
	v_add_nc_u32_e32 v6, v0, v9
	s_and_b32 s2, s3, s2
	v_add_nc_u32_e32 v8, v0, v19
	v_cndmask_b32_e64 v5, v16, v20, s2
	v_add_nc_u32_e32 v9, v0, v27
	; wave barrier
	v_and_b32_e32 v16, 32, v4
	v_add_nc_u32_e32 v5, v0, v5
	v_and_b32_e32 v4, 28, v4
	ds_read_u8 v7, v6
	ds_read_u8 v8, v8
	ds_read_u8 v6, v9
	ds_read_u8 v5, v5
	v_cndmask_b32_e32 v13, v12, v13, vcc_lo
	v_or_b32_e32 v9, 16, v16
	v_cndmask_b32_e64 v14, v14, v15, s0
	v_sub_nc_u32_e64 v12, v4, 16 clamp
	v_cndmask_b32_e64 v17, v17, v18, s1
	v_cndmask_b32_e64 v11, v21, v24, s2
	v_sub_nc_u32_e32 v10, v9, v16
	s_mov_b32 s0, exec_lo
	; wave barrier
	ds_write_b8 v2, v13
	ds_write_b8 v2, v14 offset:1
	ds_write_b8 v2, v17 offset:2
	;; [unrolled: 1-line block ×3, first 2 shown]
	v_min_i32_e32 v10, v4, v10
	; wave barrier
	v_cmpx_lt_i32_e64 v12, v10
	s_cbranch_execz .LBB65_36
; %bb.33:
	v_add_nc_u32_e32 v11, v0, v16
	s_mov_b32 s1, 0
	v_add_nc_u32_e32 v13, v11, v4
	.p2align	6
.LBB65_34:                              ; =>This Inner Loop Header: Depth=1
	v_sub_nc_u32_e32 v14, v10, v12
	v_lshrrev_b32_e32 v14, 1, v14
	v_add_nc_u32_e32 v14, v14, v12
	v_add_nc_u32_e32 v15, v11, v14
	v_xad_u32 v17, v14, -1, v13
	v_add_nc_u32_e32 v18, 1, v14
	ds_read_i8 v15, v15
	ds_read_i8 v17, v17 offset:16
	s_waitcnt lgkmcnt(0)
	v_cmp_lt_i16_e32 vcc_lo, v17, v15
	v_cndmask_b32_e32 v10, v10, v14, vcc_lo
	v_cndmask_b32_e32 v12, v18, v12, vcc_lo
	v_cmp_ge_i32_e32 vcc_lo, v12, v10
	s_or_b32 s1, vcc_lo, s1
	s_andn2_b32 exec_lo, exec_lo, s1
	s_cbranch_execnz .LBB65_34
; %bb.35:
	s_or_b32 exec_lo, exec_lo, s1
.LBB65_36:
	s_or_b32 exec_lo, exec_lo, s0
	v_add_nc_u32_e32 v10, v16, v4
	v_add_nc_u32_e32 v14, v12, v16
	;; [unrolled: 1-line block ×4, first 2 shown]
	v_cmp_lt_i32_e32 vcc_lo, 15, v12
	v_sub_nc_u32_e32 v10, v10, v12
	v_add_nc_u32_e32 v13, v0, v14
	v_sub_nc_u32_e32 v15, v15, v12
                                        ; implicit-def: $vgpr12
	v_add_nc_u32_e32 v17, v0, v10
	ds_read_u8 v10, v13
	ds_read_u8 v11, v17 offset:16
	v_cmp_gt_i32_e64 s1, v4, v15
	s_waitcnt lgkmcnt(1)
	v_bfe_i32 v10, v10, 0, 8
	s_waitcnt lgkmcnt(0)
	v_bfe_i32 v11, v11, 0, 8
	v_cmp_lt_i16_e64 s0, v11, v10
	s_or_b32 s0, vcc_lo, s0
	s_and_b32 vcc_lo, s1, s0
	s_xor_b32 s0, vcc_lo, -1
	s_and_saveexec_b32 s1, s0
	s_xor_b32 s0, exec_lo, s1
; %bb.37:
	ds_read_u8 v12, v13 offset:1
                                        ; implicit-def: $vgpr17
; %bb.38:
	s_or_saveexec_b32 s0, s0
	v_mov_b32_e32 v13, v11
	s_xor_b32 exec_lo, exec_lo, s0
	s_cbranch_execz .LBB65_40
; %bb.39:
	ds_read_u8 v13, v17 offset:17
	s_waitcnt lgkmcnt(1)
	v_mov_b32_e32 v12, v10
.LBB65_40:
	s_or_b32 exec_lo, exec_lo, s0
	v_add_nc_u32_e32 v16, 1, v14
	v_add_nc_u32_e32 v17, 1, v15
	s_waitcnt lgkmcnt(0)
	v_cmp_lt_i16_sdwa s2, sext(v13), sext(v12) src0_sel:BYTE_0 src1_sel:BYTE_0
	v_cndmask_b32_e32 v18, v16, v14, vcc_lo
	v_cndmask_b32_e32 v19, v15, v17, vcc_lo
                                        ; implicit-def: $vgpr16
	v_cmp_ge_i32_e64 s0, v18, v9
	v_cmp_lt_i32_e64 s1, v19, v4
	s_or_b32 s0, s0, s2
	s_and_b32 s0, s1, s0
	s_xor_b32 s1, s0, -1
	s_and_saveexec_b32 s2, s1
	s_xor_b32 s1, exec_lo, s2
; %bb.41:
	v_add_nc_u32_e32 v16, v0, v18
	ds_read_u8 v16, v16 offset:1
; %bb.42:
	s_or_saveexec_b32 s1, s1
	v_mov_b32_e32 v17, v13
	s_xor_b32 exec_lo, exec_lo, s1
	s_cbranch_execz .LBB65_44
; %bb.43:
	s_waitcnt lgkmcnt(0)
	v_add_nc_u32_e32 v16, v0, v19
	ds_read_u8 v17, v16 offset:1
	v_mov_b32_e32 v16, v12
.LBB65_44:
	s_or_b32 exec_lo, exec_lo, s1
	v_add_nc_u32_e32 v20, 1, v18
	v_add_nc_u32_e32 v21, 1, v19
	s_waitcnt lgkmcnt(0)
	v_cmp_lt_i16_sdwa s3, sext(v17), sext(v16) src0_sel:BYTE_0 src1_sel:BYTE_0
	v_cndmask_b32_e64 v22, v20, v18, s0
	v_cndmask_b32_e64 v21, v19, v21, s0
                                        ; implicit-def: $vgpr20
	v_cmp_ge_i32_e64 s1, v22, v9
	v_cmp_lt_i32_e64 s2, v21, v4
	s_or_b32 s1, s1, s3
	s_and_b32 s1, s2, s1
	s_xor_b32 s2, s1, -1
	s_and_saveexec_b32 s3, s2
	s_xor_b32 s2, exec_lo, s3
; %bb.45:
	v_add_nc_u32_e32 v20, v0, v22
	ds_read_u8 v20, v20 offset:1
; %bb.46:
	s_or_saveexec_b32 s2, s2
	v_mov_b32_e32 v23, v17
	s_xor_b32 exec_lo, exec_lo, s2
	s_cbranch_execz .LBB65_48
; %bb.47:
	s_waitcnt lgkmcnt(0)
	v_add_nc_u32_e32 v20, v0, v21
	ds_read_u8 v23, v20 offset:1
	v_mov_b32_e32 v20, v16
.LBB65_48:
	s_or_b32 exec_lo, exec_lo, s2
	v_add_nc_u32_e32 v24, 1, v22
	v_add_nc_u32_e32 v25, 1, v21
	v_cndmask_b32_e32 v14, v14, v15, vcc_lo
	v_cndmask_b32_e64 v18, v18, v19, s0
	s_waitcnt lgkmcnt(0)
	v_cmp_lt_i16_sdwa s4, sext(v23), sext(v20) src0_sel:BYTE_0 src1_sel:BYTE_0
	v_cndmask_b32_e64 v15, v24, v22, s1
	v_cndmask_b32_e64 v19, v21, v25, s1
	;; [unrolled: 1-line block ×3, first 2 shown]
	v_add_nc_u32_e32 v21, v0, v3
	v_cmp_ge_i32_e64 s2, v15, v9
	v_cmp_lt_i32_e64 s3, v19, v4
	; wave barrier
	ds_write_b8 v21, v7
	ds_write_b8 v21, v8 offset:1
	ds_write_b8 v21, v5 offset:3
	s_or_b32 s2, s2, s4
	v_add_nc_u32_e32 v5, v0, v14
	s_and_b32 s2, s3, s2
	ds_write_b8 v21, v6 offset:2
	v_cndmask_b32_e64 v4, v15, v19, s2
	v_add_nc_u32_e32 v6, v0, v18
	v_add_nc_u32_e32 v7, v0, v26
	; wave barrier
	v_add_nc_u32_e32 v8, v0, v4
	v_cndmask_b32_e32 v10, v10, v11, vcc_lo
	ds_read_u8 v4, v5
	ds_read_u8 v5, v6
	;; [unrolled: 1-line block ×4, first 2 shown]
	v_sub_nc_u32_e64 v8, v3, 32 clamp
	v_min_u32_e32 v9, 32, v3
	v_cndmask_b32_e64 v12, v12, v13, s0
	v_cndmask_b32_e64 v14, v16, v17, s1
	v_cndmask_b32_e64 v20, v20, v23, s2
	s_mov_b32 s0, exec_lo
	; wave barrier
	ds_write_b8 v21, v10
	ds_write_b8 v21, v12 offset:1
	ds_write_b8 v21, v14 offset:2
	;; [unrolled: 1-line block ×3, first 2 shown]
	; wave barrier
	v_cmpx_lt_u32_e64 v8, v9
	s_cbranch_execz .LBB65_52
; %bb.49:
	s_mov_b32 s1, 0
	.p2align	6
.LBB65_50:                              ; =>This Inner Loop Header: Depth=1
	v_sub_nc_u32_e32 v10, v9, v8
	v_lshrrev_b32_e32 v10, 1, v10
	v_add_nc_u32_e32 v10, v10, v8
	v_add_nc_u32_e32 v11, v0, v10
	v_xad_u32 v12, v10, -1, v2
	v_add_nc_u32_e32 v13, 1, v10
	ds_read_i8 v11, v11
	ds_read_i8 v12, v12 offset:32
	s_waitcnt lgkmcnt(0)
	v_cmp_lt_i16_e32 vcc_lo, v12, v11
	v_cndmask_b32_e32 v9, v9, v10, vcc_lo
	v_cndmask_b32_e32 v8, v13, v8, vcc_lo
	v_cmp_ge_i32_e32 vcc_lo, v8, v9
	s_or_b32 s1, vcc_lo, s1
	s_andn2_b32 exec_lo, exec_lo, s1
	s_cbranch_execnz .LBB65_50
; %bb.51:
	s_or_b32 exec_lo, exec_lo, s1
.LBB65_52:
	s_or_b32 exec_lo, exec_lo, s0
	v_sub_nc_u32_e32 v10, v3, v8
	v_add_nc_u32_e32 v11, v0, v8
	v_cmp_lt_i32_e32 vcc_lo, 31, v8
	v_add_nc_u32_e32 v13, v0, v10
	v_add_nc_u32_e32 v12, 32, v10
                                        ; implicit-def: $vgpr10
	ds_read_u8 v3, v11
	ds_read_u8 v9, v13 offset:32
	v_cmp_gt_i32_e64 s1, 64, v12
	s_waitcnt lgkmcnt(1)
	v_bfe_i32 v3, v3, 0, 8
	s_waitcnt lgkmcnt(0)
	v_bfe_i32 v9, v9, 0, 8
	v_cmp_lt_i16_e64 s0, v9, v3
	s_or_b32 s0, vcc_lo, s0
	s_and_b32 vcc_lo, s1, s0
	s_xor_b32 s0, vcc_lo, -1
	s_and_saveexec_b32 s1, s0
	s_xor_b32 s0, exec_lo, s1
; %bb.53:
	ds_read_u8 v10, v11 offset:1
                                        ; implicit-def: $vgpr13
; %bb.54:
	s_or_saveexec_b32 s0, s0
	v_mov_b32_e32 v11, v9
	s_xor_b32 exec_lo, exec_lo, s0
	s_cbranch_execz .LBB65_56
; %bb.55:
	ds_read_u8 v11, v13 offset:33
	s_waitcnt lgkmcnt(1)
	v_mov_b32_e32 v10, v3
.LBB65_56:
	s_or_b32 exec_lo, exec_lo, s0
	v_add_nc_u32_e32 v13, 1, v8
	v_add_nc_u32_e32 v14, 1, v12
	s_waitcnt lgkmcnt(0)
	v_cmp_lt_i16_sdwa s2, sext(v11), sext(v10) src0_sel:BYTE_0 src1_sel:BYTE_0
                                        ; implicit-def: $vgpr16
	v_cndmask_b32_e32 v13, v13, v8, vcc_lo
	v_cndmask_b32_e32 v14, v12, v14, vcc_lo
	v_cmp_lt_i32_e64 s0, 31, v13
	v_cmp_gt_i32_e64 s1, 64, v14
	s_or_b32 s0, s0, s2
	s_and_b32 s0, s1, s0
	s_xor_b32 s1, s0, -1
	s_and_saveexec_b32 s2, s1
	s_xor_b32 s1, exec_lo, s2
; %bb.57:
	v_add_nc_u32_e32 v15, v0, v13
	ds_read_u8 v16, v15 offset:1
; %bb.58:
	s_or_saveexec_b32 s1, s1
	v_mov_b32_e32 v15, v11
	s_xor_b32 exec_lo, exec_lo, s1
	s_cbranch_execz .LBB65_60
; %bb.59:
	v_add_nc_u32_e32 v15, v0, v14
	s_waitcnt lgkmcnt(0)
	v_mov_b32_e32 v16, v10
	ds_read_u8 v15, v15 offset:1
.LBB65_60:
	s_or_b32 exec_lo, exec_lo, s1
	v_add_nc_u32_e32 v17, 1, v13
	v_add_nc_u32_e32 v18, 1, v14
	s_waitcnt lgkmcnt(0)
	v_cmp_ge_i16_sdwa s3, sext(v15), sext(v16) src0_sel:BYTE_0 src1_sel:BYTE_0
                                        ; implicit-def: $vgpr21
                                        ; implicit-def: $vgpr20
	v_cndmask_b32_e64 v22, v17, v13, s0
	v_cndmask_b32_e64 v18, v14, v18, s0
	v_cmp_gt_i32_e64 s1, 32, v22
	v_cmp_lt_i32_e64 s2, 63, v18
	s_and_b32 s1, s1, s3
	s_or_b32 s1, s2, s1
	s_and_saveexec_b32 s2, s1
	s_xor_b32 s1, exec_lo, s2
; %bb.61:
	v_add_nc_u32_e32 v17, v0, v22
	v_add_nc_u32_e32 v20, 1, v22
	ds_read_u8 v21, v17 offset:1
; %bb.62:
	s_or_saveexec_b32 s1, s1
	v_mov_b32_e32 v17, v16
	v_mov_b32_e32 v19, v22
	s_xor_b32 exec_lo, exec_lo, s1
	s_cbranch_execz .LBB65_64
; %bb.63:
	v_add_nc_u32_e32 v17, v0, v18
	s_waitcnt lgkmcnt(0)
	v_add_nc_u32_e32 v21, 1, v18
	v_mov_b32_e32 v19, v18
	v_mov_b32_e32 v20, v22
	ds_read_u8 v23, v17 offset:1
	v_mov_b32_e32 v17, v15
	v_mov_b32_e32 v18, v21
	;; [unrolled: 1-line block ×3, first 2 shown]
	s_waitcnt lgkmcnt(0)
	v_mov_b32_e32 v15, v23
.LBB65_64:
	s_or_b32 exec_lo, exec_lo, s1
	v_cmp_lt_i32_e64 s1, 31, v20
	s_waitcnt lgkmcnt(0)
	v_cmp_lt_i16_sdwa s3, sext(v15), sext(v21) src0_sel:BYTE_0 src1_sel:BYTE_0
	v_cmp_gt_i32_e64 s2, 64, v18
	v_cndmask_b32_e64 v13, v13, v14, s0
	v_cndmask_b32_e32 v8, v8, v12, vcc_lo
	s_or_b32 s1, s1, s3
	; wave barrier
	s_and_b32 s1, s2, s1
	ds_write_b8 v2, v4
	ds_write_b8 v2, v5 offset:1
	ds_write_b8 v2, v6 offset:2
	;; [unrolled: 1-line block ×3, first 2 shown]
	v_cndmask_b32_e64 v14, v20, v18, s1
	v_add_nc_u32_e32 v2, v0, v13
	v_add_nc_u32_e32 v5, v0, v8
	; wave barrier
	v_add_nc_u32_e32 v4, v0, v14
	v_add_nc_u32_e32 v0, v0, v19
	v_cndmask_b32_e64 v12, v21, v15, s1
	ds_read_u8 v2, v2
	ds_read_u8 v4, v4
	;; [unrolled: 1-line block ×4, first 2 shown]
	v_cndmask_b32_e64 v6, v10, v11, s0
	v_cndmask_b32_e32 v3, v3, v9, vcc_lo
	s_add_u32 s0, s10, s12
	s_addc_u32 s1, s11, 0
	s_waitcnt lgkmcnt(3)
	v_add_nc_u16 v2, v2, v6
	s_waitcnt lgkmcnt(2)
	v_add_nc_u16 v4, v4, v12
	;; [unrolled: 2-line block ×4, first 2 shown]
	v_lshlrev_b16 v2, 8, v2
	v_lshlrev_b16 v4, 8, v4
	v_or_b32_sdwa v2, v3, v2 dst_sel:DWORD dst_unused:UNUSED_PAD src0_sel:BYTE_0 src1_sel:DWORD
	v_or_b32_sdwa v3, v0, v4 dst_sel:WORD_1 dst_unused:UNUSED_PAD src0_sel:BYTE_0 src1_sel:DWORD
	v_add_co_u32 v0, s0, s0, v1
	v_add_co_ci_u32_e64 v1, null, s1, 0, s0
	v_or_b32_sdwa v2, v2, v3 dst_sel:DWORD dst_unused:UNUSED_PAD src0_sel:WORD_0 src1_sel:DWORD
	global_store_dword v[0:1], v2, off
	s_endpgm
	.section	.rodata,"a",@progbits
	.p2align	6, 0x0
	.amdhsa_kernel _Z10sort_pairsILj256ELj16ELj4EaN10test_utils4lessEEvPKT2_PS2_T3_
		.amdhsa_group_segment_fixed_size 1040
		.amdhsa_private_segment_fixed_size 0
		.amdhsa_kernarg_size 20
		.amdhsa_user_sgpr_count 6
		.amdhsa_user_sgpr_private_segment_buffer 1
		.amdhsa_user_sgpr_dispatch_ptr 0
		.amdhsa_user_sgpr_queue_ptr 0
		.amdhsa_user_sgpr_kernarg_segment_ptr 1
		.amdhsa_user_sgpr_dispatch_id 0
		.amdhsa_user_sgpr_flat_scratch_init 0
		.amdhsa_user_sgpr_private_segment_size 0
		.amdhsa_wavefront_size32 1
		.amdhsa_uses_dynamic_stack 0
		.amdhsa_system_sgpr_private_segment_wavefront_offset 0
		.amdhsa_system_sgpr_workgroup_id_x 1
		.amdhsa_system_sgpr_workgroup_id_y 0
		.amdhsa_system_sgpr_workgroup_id_z 0
		.amdhsa_system_sgpr_workgroup_info 0
		.amdhsa_system_vgpr_workitem_id 0
		.amdhsa_next_free_vgpr 28
		.amdhsa_next_free_sgpr 13
		.amdhsa_reserve_vcc 1
		.amdhsa_reserve_flat_scratch 0
		.amdhsa_float_round_mode_32 0
		.amdhsa_float_round_mode_16_64 0
		.amdhsa_float_denorm_mode_32 3
		.amdhsa_float_denorm_mode_16_64 3
		.amdhsa_dx10_clamp 1
		.amdhsa_ieee_mode 1
		.amdhsa_fp16_overflow 0
		.amdhsa_workgroup_processor_mode 1
		.amdhsa_memory_ordered 1
		.amdhsa_forward_progress 1
		.amdhsa_shared_vgpr_count 0
		.amdhsa_exception_fp_ieee_invalid_op 0
		.amdhsa_exception_fp_denorm_src 0
		.amdhsa_exception_fp_ieee_div_zero 0
		.amdhsa_exception_fp_ieee_overflow 0
		.amdhsa_exception_fp_ieee_underflow 0
		.amdhsa_exception_fp_ieee_inexact 0
		.amdhsa_exception_int_div_zero 0
	.end_amdhsa_kernel
	.section	.text._Z10sort_pairsILj256ELj16ELj4EaN10test_utils4lessEEvPKT2_PS2_T3_,"axG",@progbits,_Z10sort_pairsILj256ELj16ELj4EaN10test_utils4lessEEvPKT2_PS2_T3_,comdat
.Lfunc_end65:
	.size	_Z10sort_pairsILj256ELj16ELj4EaN10test_utils4lessEEvPKT2_PS2_T3_, .Lfunc_end65-_Z10sort_pairsILj256ELj16ELj4EaN10test_utils4lessEEvPKT2_PS2_T3_
                                        ; -- End function
	.set _Z10sort_pairsILj256ELj16ELj4EaN10test_utils4lessEEvPKT2_PS2_T3_.num_vgpr, 28
	.set _Z10sort_pairsILj256ELj16ELj4EaN10test_utils4lessEEvPKT2_PS2_T3_.num_agpr, 0
	.set _Z10sort_pairsILj256ELj16ELj4EaN10test_utils4lessEEvPKT2_PS2_T3_.numbered_sgpr, 13
	.set _Z10sort_pairsILj256ELj16ELj4EaN10test_utils4lessEEvPKT2_PS2_T3_.num_named_barrier, 0
	.set _Z10sort_pairsILj256ELj16ELj4EaN10test_utils4lessEEvPKT2_PS2_T3_.private_seg_size, 0
	.set _Z10sort_pairsILj256ELj16ELj4EaN10test_utils4lessEEvPKT2_PS2_T3_.uses_vcc, 1
	.set _Z10sort_pairsILj256ELj16ELj4EaN10test_utils4lessEEvPKT2_PS2_T3_.uses_flat_scratch, 0
	.set _Z10sort_pairsILj256ELj16ELj4EaN10test_utils4lessEEvPKT2_PS2_T3_.has_dyn_sized_stack, 0
	.set _Z10sort_pairsILj256ELj16ELj4EaN10test_utils4lessEEvPKT2_PS2_T3_.has_recursion, 0
	.set _Z10sort_pairsILj256ELj16ELj4EaN10test_utils4lessEEvPKT2_PS2_T3_.has_indirect_call, 0
	.section	.AMDGPU.csdata,"",@progbits
; Kernel info:
; codeLenInByte = 3976
; TotalNumSgprs: 15
; NumVgprs: 28
; ScratchSize: 0
; MemoryBound: 0
; FloatMode: 240
; IeeeMode: 1
; LDSByteSize: 1040 bytes/workgroup (compile time only)
; SGPRBlocks: 0
; VGPRBlocks: 3
; NumSGPRsForWavesPerEU: 15
; NumVGPRsForWavesPerEU: 28
; Occupancy: 16
; WaveLimiterHint : 0
; COMPUTE_PGM_RSRC2:SCRATCH_EN: 0
; COMPUTE_PGM_RSRC2:USER_SGPR: 6
; COMPUTE_PGM_RSRC2:TRAP_HANDLER: 0
; COMPUTE_PGM_RSRC2:TGID_X_EN: 1
; COMPUTE_PGM_RSRC2:TGID_Y_EN: 0
; COMPUTE_PGM_RSRC2:TGID_Z_EN: 0
; COMPUTE_PGM_RSRC2:TIDIG_COMP_CNT: 0
	.section	.text._Z19sort_keys_segmentedILj256ELj16ELj4EaN10test_utils4lessEEvPKT2_PS2_PKjT3_,"axG",@progbits,_Z19sort_keys_segmentedILj256ELj16ELj4EaN10test_utils4lessEEvPKT2_PS2_PKjT3_,comdat
	.protected	_Z19sort_keys_segmentedILj256ELj16ELj4EaN10test_utils4lessEEvPKT2_PS2_PKjT3_ ; -- Begin function _Z19sort_keys_segmentedILj256ELj16ELj4EaN10test_utils4lessEEvPKT2_PS2_PKjT3_
	.globl	_Z19sort_keys_segmentedILj256ELj16ELj4EaN10test_utils4lessEEvPKT2_PS2_PKjT3_
	.p2align	8
	.type	_Z19sort_keys_segmentedILj256ELj16ELj4EaN10test_utils4lessEEvPKT2_PS2_PKjT3_,@function
_Z19sort_keys_segmentedILj256ELj16ELj4EaN10test_utils4lessEEvPKT2_PS2_PKjT3_: ; @_Z19sort_keys_segmentedILj256ELj16ELj4EaN10test_utils4lessEEvPKT2_PS2_PKjT3_
; %bb.0:
	s_clause 0x1
	s_load_dwordx2 s[0:1], s[4:5], 0x10
	s_load_dwordx4 s[8:11], s[4:5], 0x0
	v_lshrrev_b32_e32 v7, 4, v0
	v_mov_b32_e32 v1, 0
	v_mov_b32_e32 v8, 0
	;; [unrolled: 1-line block ×3, first 2 shown]
	v_lshl_or_b32 v0, s6, 4, v7
	v_lshlrev_b64 v[2:3], 2, v[0:1]
	v_lshlrev_b32_e32 v4, 6, v0
	s_waitcnt lgkmcnt(0)
	v_add_co_u32 v2, vcc_lo, s0, v2
	v_add_co_ci_u32_e64 v3, null, s1, v3, vcc_lo
	global_load_dword v5, v[2:3], off
	v_mbcnt_lo_u32_b32 v2, -1, 0
	v_lshlrev_b32_e32 v6, 2, v2
	v_add_co_u32 v2, s0, s8, v4
	v_add_co_ci_u32_e64 v3, null, s9, 0, s0
	v_and_b32_e32 v0, 60, v6
	v_add_co_u32 v2, vcc_lo, v2, v0
	v_add_co_ci_u32_e64 v3, null, 0, v3, vcc_lo
	s_waitcnt vmcnt(0)
	v_cmp_lt_u32_e32 vcc_lo, v0, v5
	s_and_saveexec_b32 s0, vcc_lo
	s_cbranch_execz .LBB66_2
; %bb.1:
	global_load_ubyte v8, v[2:3], off
	v_mov_b32_e32 v9, 0
.LBB66_2:
	s_or_b32 exec_lo, exec_lo, s0
	v_or_b32_e32 v10, 1, v0
	v_mov_b32_e32 v11, v1
	v_cmp_lt_u32_e64 s0, v10, v5
	s_and_saveexec_b32 s1, s0
	s_cbranch_execz .LBB66_4
; %bb.3:
	global_load_ubyte v11, v[2:3], off offset:1
.LBB66_4:
	s_or_b32 exec_lo, exec_lo, s1
	v_or_b32_e32 v12, 2, v0
	v_cmp_lt_u32_e64 s1, v12, v5
	s_and_saveexec_b32 s2, s1
	s_cbranch_execz .LBB66_6
; %bb.5:
	global_load_ubyte v1, v[2:3], off offset:2
.LBB66_6:
	s_or_b32 exec_lo, exec_lo, s2
	v_or_b32_e32 v13, 3, v0
	v_cmp_lt_u32_e64 s2, v13, v5
	s_and_saveexec_b32 s3, s2
	s_cbranch_execz .LBB66_8
; %bb.7:
	global_load_ubyte v9, v[2:3], off offset:3
.LBB66_8:
	s_or_b32 exec_lo, exec_lo, s3
	s_waitcnt vmcnt(0)
	v_perm_b32 v2, v1, v9, 0xc0c0004
	v_mov_b32_e32 v1, 0x7f00
	v_perm_b32 v3, v8, v11, 0xc0c0004
	v_cmp_lt_i32_e64 s3, v10, v5
	v_mov_b32_e32 v9, 0x7f
	v_lshlrev_b32_e32 v2, 16, v2
	v_or_b32_sdwa v8, v8, v1 dst_sel:DWORD dst_unused:UNUSED_PAD src0_sel:BYTE_0 src1_sel:DWORD
	v_cmp_lt_i32_e64 s4, v13, v5
	s_mov_b32 s5, exec_lo
	v_or_b32_e32 v3, v3, v2
	v_or_b32_sdwa v2, v8, v2 dst_sel:DWORD dst_unused:UNUSED_PAD src0_sel:WORD_0 src1_sel:DWORD
	v_mov_b32_e32 v8, 0xffffff00
	v_cndmask_b32_e64 v2, v2, v3, s3
	v_cmp_lt_i32_e64 s3, v12, v5
	v_and_b32_sdwa v8, v2, v8 dst_sel:DWORD dst_unused:UNUSED_PAD src0_sel:WORD_1 src1_sel:DWORD
	v_or_b32_sdwa v8, v8, v9 dst_sel:WORD_1 dst_unused:UNUSED_PAD src0_sel:DWORD src1_sel:DWORD
	v_and_or_b32 v2, 0xffff, v2, v8
	v_cndmask_b32_e64 v3, v2, v3, s3
	v_cmpx_ge_i32_e64 v13, v5
; %bb.9:
	v_mov_b32_e32 v2, 0xff
	v_cmp_lt_i32_e64 s3, v0, v5
	s_andn2_b32 s4, s4, exec_lo
	v_and_b32_sdwa v2, v3, v2 dst_sel:DWORD dst_unused:UNUSED_PAD src0_sel:WORD_1 src1_sel:DWORD
	s_and_b32 s3, s3, exec_lo
	s_or_b32 s4, s4, s3
	v_or_b32_sdwa v1, v2, v1 dst_sel:WORD_1 dst_unused:UNUSED_PAD src0_sel:DWORD src1_sel:DWORD
	v_and_or_b32 v3, 0xffff, v3, v1
; %bb.10:
	s_or_b32 exec_lo, exec_lo, s5
	s_and_saveexec_b32 s5, s4
	s_cbranch_execz .LBB66_14
; %bb.11:
	v_lshrrev_b32_e32 v1, 8, v3
	v_bfe_i32 v2, v3, 0, 8
	v_perm_b32 v8, v3, v3, 0x7060405
	v_bfe_i32 v1, v1, 0, 8
	v_cmp_lt_i16_e64 s3, v1, v2
	v_cndmask_b32_e64 v3, v3, v8, s3
	v_lshrrev_b32_e32 v8, 16, v3
	v_lshrrev_b32_e32 v9, 24, v3
	v_perm_b32 v10, 0, v8, 0xc0c0001
	v_bfe_i32 v9, v9, 0, 8
	v_bfe_i32 v8, v8, 0, 8
	v_lshlrev_b32_e32 v10, 16, v10
	v_min_i16 v11, v9, v8
	v_cmp_lt_i16_e64 s3, v9, v8
	v_max_i16 v8, v9, v8
	v_and_or_b32 v10, 0xffff, v3, v10
	v_lshlrev_b16 v12, 8, v11
	v_cndmask_b32_e64 v3, v3, v10, s3
	v_min_i16 v10, v1, v2
	v_max_i16 v1, v1, v2
	v_or_b32_sdwa v2, v3, v12 dst_sel:DWORD dst_unused:UNUSED_PAD src0_sel:BYTE_0 src1_sel:DWORD
	v_lshlrev_b16 v12, 8, v10
	v_min_i16 v13, v11, v1
	v_perm_b32 v14, v1, v3, 0xc0c0304
	v_cmp_lt_i16_e64 s3, v11, v1
	v_and_b32_e32 v2, 0xffff, v2
	v_cmp_gt_i16_e64 s4, v1, v8
	v_or_b32_sdwa v12, v13, v12 dst_sel:DWORD dst_unused:UNUSED_PAD src0_sel:BYTE_0 src1_sel:DWORD
	v_lshl_or_b32 v2, v14, 16, v2
	v_max_i16 v14, v11, v1
	v_and_b32_e32 v12, 0xffff, v12
	v_cndmask_b32_e64 v2, v3, v2, s3
	v_lshlrev_b16 v3, 8, v14
	v_cmp_lt_i16_e64 s3, v11, v10
	v_and_or_b32 v9, 0xffff0000, v2, v12
	v_or_b32_sdwa v3, v8, v3 dst_sel:WORD_1 dst_unused:UNUSED_PAD src0_sel:BYTE_0 src1_sel:DWORD
	v_cndmask_b32_e64 v1, v13, v10, s3
	v_cndmask_b32_e64 v2, v2, v9, s3
	v_and_or_b32 v3, 0xffff, v2, v3
	v_cndmask_b32_e64 v3, v2, v3, s4
	v_cndmask_b32_e64 v2, v14, v8, s4
	s_mov_b32 s4, exec_lo
	v_cmpx_lt_i16_e64 v2, v1
; %bb.12:
	v_perm_b32 v2, v3, v2, 0xc0c0004
	v_perm_b32 v1, v1, v3, 0xc0c0304
	v_lshl_or_b32 v3, v1, 16, v2
; %bb.13:
	s_or_b32 exec_lo, exec_lo, s4
.LBB66_14:
	s_or_b32 exec_lo, exec_lo, s5
	v_and_b32_e32 v1, 56, v6
	v_and_b32_e32 v10, 4, v6
	v_mad_u32_u24 v13, 0x41, v7, v0
	s_mov_b32 s5, 0
	s_mov_b32 s4, exec_lo
	v_min_i32_e32 v8, v5, v1
	v_min_i32_e32 v10, v5, v10
	; wave barrier
	ds_write_b32 v13, v3
	v_add_nc_u32_e32 v1, 4, v8
	; wave barrier
	v_min_i32_e32 v9, v5, v1
	v_add_nc_u32_e32 v1, 4, v9
	v_sub_nc_u32_e32 v12, v9, v8
	v_min_i32_e32 v2, v5, v1
	v_min_i32_e32 v12, v10, v12
	v_sub_nc_u32_e32 v1, v2, v9
	v_sub_nc_u32_e32 v11, v10, v1
	v_cmp_ge_i32_e64 s3, v10, v1
	v_mul_u32_u24_e32 v1, 0x41, v7
	v_cndmask_b32_e64 v11, 0, v11, s3
	v_cmpx_lt_i32_e64 v11, v12
	s_cbranch_execz .LBB66_18
; %bb.15:
	v_add_nc_u32_e32 v3, v1, v8
	v_add3_u32 v7, v1, v9, v10
	.p2align	6
.LBB66_16:                              ; =>This Inner Loop Header: Depth=1
	v_sub_nc_u32_e32 v13, v12, v11
	v_lshrrev_b32_e32 v13, 1, v13
	v_add_nc_u32_e32 v13, v13, v11
	v_add_nc_u32_e32 v14, v3, v13
	v_xad_u32 v15, v13, -1, v7
	v_add_nc_u32_e32 v16, 1, v13
	ds_read_i8 v14, v14
	ds_read_i8 v15, v15
	s_waitcnt lgkmcnt(0)
	v_cmp_lt_i16_e64 s3, v15, v14
	v_cndmask_b32_e64 v12, v12, v13, s3
	v_cndmask_b32_e64 v11, v16, v11, s3
	v_cmp_ge_i32_e64 s3, v11, v12
	s_or_b32 s5, s3, s5
	s_andn2_b32 exec_lo, exec_lo, s5
	s_cbranch_execnz .LBB66_16
; %bb.17:
	s_or_b32 exec_lo, exec_lo, s5
.LBB66_18:
	s_or_b32 exec_lo, exec_lo, s4
	v_add_nc_u32_e32 v7, v9, v10
	v_add_nc_u32_e32 v3, v11, v8
                                        ; implicit-def: $vgpr10
	v_sub_nc_u32_e32 v12, v7, v11
	v_add_nc_u32_e32 v11, v1, v3
	v_cmp_le_i32_e64 s3, v9, v3
	v_add_nc_u32_e32 v13, v1, v12
	v_cmp_gt_i32_e64 s5, v2, v12
	ds_read_u8 v7, v11
	ds_read_u8 v8, v13
	s_waitcnt lgkmcnt(1)
	v_bfe_i32 v7, v7, 0, 8
	s_waitcnt lgkmcnt(0)
	v_bfe_i32 v8, v8, 0, 8
	v_cmp_lt_i16_e64 s4, v8, v7
	s_or_b32 s3, s3, s4
	s_and_b32 s3, s5, s3
	s_xor_b32 s4, s3, -1
	s_and_saveexec_b32 s5, s4
	s_xor_b32 s4, exec_lo, s5
; %bb.19:
	ds_read_u8 v10, v11 offset:1
                                        ; implicit-def: $vgpr13
; %bb.20:
	s_or_saveexec_b32 s4, s4
	v_mov_b32_e32 v11, v8
	s_xor_b32 exec_lo, exec_lo, s4
	s_cbranch_execz .LBB66_22
; %bb.21:
	ds_read_u8 v11, v13 offset:1
	s_waitcnt lgkmcnt(1)
	v_mov_b32_e32 v10, v7
.LBB66_22:
	s_or_b32 exec_lo, exec_lo, s4
	v_add_nc_u32_e32 v13, 1, v3
	v_add_nc_u32_e32 v14, 1, v12
	s_waitcnt lgkmcnt(0)
	v_cmp_lt_i16_sdwa s6, sext(v11), sext(v10) src0_sel:BYTE_0 src1_sel:BYTE_0
	v_cndmask_b32_e64 v13, v13, v3, s3
	v_cndmask_b32_e64 v3, v12, v14, s3
                                        ; implicit-def: $vgpr12
	v_cmp_ge_i32_e64 s4, v13, v9
	v_cmp_lt_i32_e64 s5, v3, v2
	s_or_b32 s4, s4, s6
	s_and_b32 s4, s5, s4
	s_xor_b32 s5, s4, -1
	s_and_saveexec_b32 s6, s5
	s_xor_b32 s5, exec_lo, s6
; %bb.23:
	v_add_nc_u32_e32 v12, v1, v13
	ds_read_u8 v12, v12 offset:1
; %bb.24:
	s_or_saveexec_b32 s5, s5
	v_mov_b32_e32 v14, v11
	s_xor_b32 exec_lo, exec_lo, s5
	s_cbranch_execz .LBB66_26
; %bb.25:
	s_waitcnt lgkmcnt(0)
	v_add_nc_u32_e32 v12, v1, v3
	ds_read_u8 v14, v12 offset:1
	v_mov_b32_e32 v12, v10
.LBB66_26:
	s_or_b32 exec_lo, exec_lo, s5
	v_add_nc_u32_e32 v15, 1, v13
	v_add_nc_u32_e32 v16, 1, v3
	s_waitcnt lgkmcnt(0)
	v_cmp_lt_i16_sdwa s7, sext(v14), sext(v12) src0_sel:BYTE_0 src1_sel:BYTE_0
	v_cndmask_b32_e64 v17, v15, v13, s4
	v_cndmask_b32_e64 v15, v3, v16, s4
                                        ; implicit-def: $vgpr16
	v_cmp_ge_i32_e64 s5, v17, v9
	v_cmp_lt_i32_e64 s6, v15, v2
	s_or_b32 s5, s5, s7
	s_and_b32 s5, s6, s5
	s_xor_b32 s6, s5, -1
	s_and_saveexec_b32 s7, s6
	s_xor_b32 s6, exec_lo, s7
; %bb.27:
	v_add_nc_u32_e32 v3, v1, v17
	ds_read_u8 v16, v3 offset:1
; %bb.28:
	s_or_saveexec_b32 s6, s6
	v_mov_b32_e32 v18, v14
	s_xor_b32 exec_lo, exec_lo, s6
	s_cbranch_execz .LBB66_30
; %bb.29:
	v_add_nc_u32_e32 v3, v1, v15
	s_waitcnt lgkmcnt(0)
	v_mov_b32_e32 v16, v12
	ds_read_u8 v18, v3 offset:1
.LBB66_30:
	s_or_b32 exec_lo, exec_lo, s6
	v_and_b32_e32 v3, 48, v6
	v_add_nc_u32_e32 v19, 1, v17
	v_cndmask_b32_e64 v12, v12, v14, s5
	v_add_nc_u32_e32 v14, 1, v15
	v_cndmask_b32_e64 v11, v10, v11, s4
	v_min_i32_e32 v13, v5, v3
	v_cndmask_b32_e64 v10, v19, v17, s5
	v_cndmask_b32_e64 v21, v7, v8, s3
	v_cndmask_b32_e64 v14, v15, v14, s5
	v_and_b32_e32 v7, 12, v6
	v_add_nc_u32_e32 v3, 8, v13
	s_waitcnt lgkmcnt(0)
	v_cmp_lt_i16_sdwa s6, sext(v18), sext(v16) src0_sel:BYTE_0 src1_sel:BYTE_0
	v_cmp_ge_i32_e64 s3, v10, v9
	v_cmp_lt_i32_e64 s4, v14, v2
	v_min_i32_e32 v7, v5, v7
	v_min_i32_e32 v3, v5, v3
	v_add_nc_u32_e32 v2, v1, v0
	s_or_b32 s3, s3, s6
	s_mov_b32 s5, 0
	s_and_b32 s3, s4, s3
	v_add_nc_u32_e32 v20, 8, v3
	v_sub_nc_u32_e32 v14, v3, v13
	v_cndmask_b32_e64 v15, v16, v18, s3
	s_mov_b32 s4, exec_lo
	v_min_i32_e32 v8, v5, v20
	; wave barrier
	ds_write_b8 v2, v21
	ds_write_b8 v2, v11 offset:1
	ds_write_b8 v2, v12 offset:2
	;; [unrolled: 1-line block ×3, first 2 shown]
	; wave barrier
	v_sub_nc_u32_e32 v9, v8, v3
	v_sub_nc_u32_e32 v10, v7, v9
	v_cmp_ge_i32_e64 s3, v7, v9
	v_cndmask_b32_e64 v9, 0, v10, s3
	v_min_i32_e32 v10, v7, v14
	v_cmpx_lt_i32_e64 v9, v10
	s_cbranch_execz .LBB66_34
; %bb.31:
	v_add_nc_u32_e32 v11, v1, v13
	v_add3_u32 v12, v1, v3, v7
	.p2align	6
.LBB66_32:                              ; =>This Inner Loop Header: Depth=1
	v_sub_nc_u32_e32 v14, v10, v9
	v_lshrrev_b32_e32 v14, 1, v14
	v_add_nc_u32_e32 v14, v14, v9
	v_add_nc_u32_e32 v15, v11, v14
	v_xad_u32 v16, v14, -1, v12
	v_add_nc_u32_e32 v17, 1, v14
	ds_read_i8 v15, v15
	ds_read_i8 v16, v16
	s_waitcnt lgkmcnt(0)
	v_cmp_lt_i16_e64 s3, v16, v15
	v_cndmask_b32_e64 v10, v10, v14, s3
	v_cndmask_b32_e64 v9, v17, v9, s3
	v_cmp_ge_i32_e64 s3, v9, v10
	s_or_b32 s5, s3, s5
	s_andn2_b32 exec_lo, exec_lo, s5
	s_cbranch_execnz .LBB66_32
; %bb.33:
	s_or_b32 exec_lo, exec_lo, s5
.LBB66_34:
	s_or_b32 exec_lo, exec_lo, s4
	v_add_nc_u32_e32 v10, v3, v7
	v_add_nc_u32_e32 v7, v9, v13
	v_sub_nc_u32_e32 v13, v10, v9
	v_add_nc_u32_e32 v12, v1, v7
	v_cmp_le_i32_e64 s3, v3, v7
	v_add_nc_u32_e32 v14, v1, v13
	v_cmp_gt_i32_e64 s5, v8, v13
	ds_read_u8 v9, v12
	ds_read_u8 v11, v14
	s_waitcnt lgkmcnt(1)
	v_bfe_i32 v10, v9, 0, 8
	s_waitcnt lgkmcnt(0)
	v_bfe_i32 v11, v11, 0, 8
                                        ; implicit-def: $vgpr9
	v_cmp_lt_i16_e64 s4, v11, v10
	s_or_b32 s3, s3, s4
	s_and_b32 s3, s5, s3
	s_xor_b32 s4, s3, -1
	s_and_saveexec_b32 s5, s4
	s_xor_b32 s4, exec_lo, s5
; %bb.35:
	ds_read_u8 v9, v12 offset:1
                                        ; implicit-def: $vgpr14
; %bb.36:
	s_or_saveexec_b32 s4, s4
	v_mov_b32_e32 v12, v11
	s_xor_b32 exec_lo, exec_lo, s4
	s_cbranch_execz .LBB66_38
; %bb.37:
	ds_read_u8 v12, v14 offset:1
	s_waitcnt lgkmcnt(1)
	v_mov_b32_e32 v9, v10
.LBB66_38:
	s_or_b32 exec_lo, exec_lo, s4
	v_add_nc_u32_e32 v14, 1, v7
	v_add_nc_u32_e32 v15, 1, v13
	s_waitcnt lgkmcnt(0)
	v_cmp_lt_i16_sdwa s6, sext(v12), sext(v9) src0_sel:BYTE_0 src1_sel:BYTE_0
	v_cndmask_b32_e64 v14, v14, v7, s3
	v_cndmask_b32_e64 v7, v13, v15, s3
                                        ; implicit-def: $vgpr13
	v_cmp_ge_i32_e64 s4, v14, v3
	v_cmp_lt_i32_e64 s5, v7, v8
	s_or_b32 s4, s4, s6
	s_and_b32 s4, s5, s4
	s_xor_b32 s5, s4, -1
	s_and_saveexec_b32 s6, s5
	s_xor_b32 s5, exec_lo, s6
; %bb.39:
	v_add_nc_u32_e32 v13, v1, v14
	ds_read_u8 v13, v13 offset:1
; %bb.40:
	s_or_saveexec_b32 s5, s5
	v_mov_b32_e32 v15, v12
	s_xor_b32 exec_lo, exec_lo, s5
	s_cbranch_execz .LBB66_42
; %bb.41:
	s_waitcnt lgkmcnt(0)
	v_add_nc_u32_e32 v13, v1, v7
	ds_read_u8 v15, v13 offset:1
	v_mov_b32_e32 v13, v9
.LBB66_42:
	s_or_b32 exec_lo, exec_lo, s5
	v_add_nc_u32_e32 v16, 1, v14
	v_add_nc_u32_e32 v17, 1, v7
	s_waitcnt lgkmcnt(0)
	v_cmp_lt_i16_sdwa s7, sext(v15), sext(v13) src0_sel:BYTE_0 src1_sel:BYTE_0
	v_cndmask_b32_e64 v18, v16, v14, s4
	v_cndmask_b32_e64 v16, v7, v17, s4
                                        ; implicit-def: $vgpr17
	v_cmp_ge_i32_e64 s5, v18, v3
	v_cmp_lt_i32_e64 s6, v16, v8
	s_or_b32 s5, s5, s7
	s_and_b32 s5, s6, s5
	s_xor_b32 s6, s5, -1
	s_and_saveexec_b32 s7, s6
	s_xor_b32 s6, exec_lo, s7
; %bb.43:
	v_add_nc_u32_e32 v7, v1, v18
	ds_read_u8 v17, v7 offset:1
; %bb.44:
	s_or_saveexec_b32 s6, s6
	v_mov_b32_e32 v19, v15
	s_xor_b32 exec_lo, exec_lo, s6
	s_cbranch_execz .LBB66_46
; %bb.45:
	v_add_nc_u32_e32 v7, v1, v16
	s_waitcnt lgkmcnt(0)
	v_mov_b32_e32 v17, v13
	ds_read_u8 v19, v7 offset:1
.LBB66_46:
	s_or_b32 exec_lo, exec_lo, s6
	v_and_b32_e32 v7, 32, v6
	v_cndmask_b32_e64 v13, v13, v15, s5
	v_add_nc_u32_e32 v15, 1, v18
	v_add_nc_u32_e32 v21, 1, v16
	v_cndmask_b32_e64 v12, v9, v12, s4
	v_min_i32_e32 v14, v5, v7
	v_and_b32_e32 v6, 28, v6
	v_cndmask_b32_e64 v15, v15, v18, s5
	v_cndmask_b32_e64 v16, v16, v21, s5
	s_waitcnt lgkmcnt(0)
	v_cmp_lt_i16_sdwa s6, sext(v19), sext(v17) src0_sel:BYTE_0 src1_sel:BYTE_0
	v_add_nc_u32_e32 v7, 16, v14
	v_cndmask_b32_e64 v10, v10, v11, s3
	v_cmp_ge_i32_e64 s4, v15, v3
	v_cmp_lt_i32_e64 s3, v16, v8
	v_min_i32_e32 v6, v5, v6
	v_min_i32_e32 v7, v5, v7
	s_mov_b32 s5, 0
	s_or_b32 s4, s4, s6
	s_and_b32 s3, s3, s4
	v_add_nc_u32_e32 v20, 16, v7
	v_sub_nc_u32_e32 v11, v7, v14
	v_cndmask_b32_e64 v15, v17, v19, s3
	s_mov_b32 s4, exec_lo
	; wave barrier
	v_min_i32_e32 v9, v5, v20
	ds_write_b8 v2, v10
	ds_write_b8 v2, v12 offset:1
	ds_write_b8 v2, v13 offset:2
	;; [unrolled: 1-line block ×3, first 2 shown]
	; wave barrier
	v_sub_nc_u32_e32 v3, v9, v7
	v_sub_nc_u32_e32 v8, v6, v3
	v_cmp_ge_i32_e64 s3, v6, v3
	v_cndmask_b32_e64 v3, 0, v8, s3
	v_min_i32_e32 v8, v6, v11
	v_cmpx_lt_i32_e64 v3, v8
	s_cbranch_execz .LBB66_50
; %bb.47:
	v_add_nc_u32_e32 v10, v1, v14
	v_add3_u32 v11, v1, v7, v6
	.p2align	6
.LBB66_48:                              ; =>This Inner Loop Header: Depth=1
	v_sub_nc_u32_e32 v12, v8, v3
	v_lshrrev_b32_e32 v12, 1, v12
	v_add_nc_u32_e32 v12, v12, v3
	v_add_nc_u32_e32 v13, v10, v12
	v_xad_u32 v15, v12, -1, v11
	v_add_nc_u32_e32 v16, 1, v12
	ds_read_i8 v13, v13
	ds_read_i8 v15, v15
	s_waitcnt lgkmcnt(0)
	v_cmp_lt_i16_e64 s3, v15, v13
	v_cndmask_b32_e64 v8, v8, v12, s3
	v_cndmask_b32_e64 v3, v16, v3, s3
	v_cmp_ge_i32_e64 s3, v3, v8
	s_or_b32 s5, s3, s5
	s_andn2_b32 exec_lo, exec_lo, s5
	s_cbranch_execnz .LBB66_48
; %bb.49:
	s_or_b32 exec_lo, exec_lo, s5
.LBB66_50:
	s_or_b32 exec_lo, exec_lo, s4
	v_add_nc_u32_e32 v6, v7, v6
	v_add_nc_u32_e32 v12, v3, v14
	v_sub_nc_u32_e32 v3, v6, v3
	v_add_nc_u32_e32 v11, v1, v12
	v_cmp_le_i32_e64 s3, v7, v12
	v_add_nc_u32_e32 v13, v1, v3
	v_cmp_gt_i32_e64 s5, v9, v3
	ds_read_u8 v6, v11
	ds_read_u8 v10, v13
	s_waitcnt lgkmcnt(1)
	v_bfe_i32 v8, v6, 0, 8
	s_waitcnt lgkmcnt(0)
	v_bfe_i32 v10, v10, 0, 8
                                        ; implicit-def: $vgpr6
	v_cmp_lt_i16_e64 s4, v10, v8
	s_or_b32 s3, s3, s4
	s_and_b32 s3, s5, s3
	s_xor_b32 s4, s3, -1
	s_and_saveexec_b32 s5, s4
	s_xor_b32 s4, exec_lo, s5
; %bb.51:
	ds_read_u8 v6, v11 offset:1
                                        ; implicit-def: $vgpr13
; %bb.52:
	s_or_saveexec_b32 s4, s4
	v_mov_b32_e32 v11, v10
	s_xor_b32 exec_lo, exec_lo, s4
	s_cbranch_execz .LBB66_54
; %bb.53:
	ds_read_u8 v11, v13 offset:1
	s_waitcnt lgkmcnt(1)
	v_mov_b32_e32 v6, v8
.LBB66_54:
	s_or_b32 exec_lo, exec_lo, s4
	v_add_nc_u32_e32 v13, 1, v12
	v_add_nc_u32_e32 v14, 1, v3
	s_waitcnt lgkmcnt(0)
	v_cmp_lt_i16_sdwa s6, sext(v11), sext(v6) src0_sel:BYTE_0 src1_sel:BYTE_0
	v_cndmask_b32_e64 v13, v13, v12, s3
	v_cndmask_b32_e64 v3, v3, v14, s3
                                        ; implicit-def: $vgpr12
	v_cmp_ge_i32_e64 s4, v13, v7
	v_cmp_lt_i32_e64 s5, v3, v9
	s_or_b32 s4, s4, s6
	s_and_b32 s4, s5, s4
	s_xor_b32 s5, s4, -1
	s_and_saveexec_b32 s6, s5
	s_xor_b32 s5, exec_lo, s6
; %bb.55:
	v_add_nc_u32_e32 v12, v1, v13
	ds_read_u8 v12, v12 offset:1
; %bb.56:
	s_or_saveexec_b32 s5, s5
	v_mov_b32_e32 v14, v11
	s_xor_b32 exec_lo, exec_lo, s5
	s_cbranch_execz .LBB66_58
; %bb.57:
	s_waitcnt lgkmcnt(0)
	v_add_nc_u32_e32 v12, v1, v3
	ds_read_u8 v14, v12 offset:1
	v_mov_b32_e32 v12, v6
.LBB66_58:
	s_or_b32 exec_lo, exec_lo, s5
	v_add_nc_u32_e32 v15, 1, v13
	v_add_nc_u32_e32 v16, 1, v3
	s_waitcnt lgkmcnt(0)
	v_cmp_lt_i16_sdwa s7, sext(v14), sext(v12) src0_sel:BYTE_0 src1_sel:BYTE_0
	v_cndmask_b32_e64 v17, v15, v13, s4
	v_cndmask_b32_e64 v15, v3, v16, s4
                                        ; implicit-def: $vgpr16
	v_cmp_ge_i32_e64 s5, v17, v7
	v_cmp_lt_i32_e64 s6, v15, v9
	s_or_b32 s5, s5, s7
	s_and_b32 s5, s6, s5
	s_xor_b32 s6, s5, -1
	s_and_saveexec_b32 s7, s6
	s_xor_b32 s6, exec_lo, s7
; %bb.59:
	v_add_nc_u32_e32 v3, v1, v17
	ds_read_u8 v16, v3 offset:1
; %bb.60:
	s_or_saveexec_b32 s6, s6
	v_mov_b32_e32 v18, v14
	s_xor_b32 exec_lo, exec_lo, s6
	s_cbranch_execz .LBB66_62
; %bb.61:
	v_add_nc_u32_e32 v3, v1, v15
	s_waitcnt lgkmcnt(0)
	v_mov_b32_e32 v16, v12
	ds_read_u8 v18, v3 offset:1
.LBB66_62:
	s_or_b32 exec_lo, exec_lo, s6
	v_min_i32_e32 v13, 0, v5
	v_add_nc_u32_e32 v19, 1, v17
	v_cndmask_b32_e64 v12, v12, v14, s5
	v_add_nc_u32_e32 v14, 1, v15
	v_cndmask_b32_e64 v11, v6, v11, s4
	;; [unrolled: 2-line block ×3, first 2 shown]
	s_waitcnt lgkmcnt(0)
	v_cmp_lt_i16_sdwa s6, sext(v18), sext(v16) src0_sel:BYTE_0 src1_sel:BYTE_0
	v_cndmask_b32_e64 v14, v15, v14, s5
	v_cndmask_b32_e64 v10, v8, v10, s3
	v_min_i32_e32 v3, v5, v3
	v_cmp_ge_i32_e64 s4, v17, v7
	s_mov_b32 s5, 0
	v_cmp_lt_i32_e64 s3, v14, v9
	v_add_nc_u32_e32 v20, 32, v3
	s_or_b32 s4, s4, s6
	v_sub_nc_u32_e32 v9, v3, v13
	s_and_b32 s3, s3, s4
	s_mov_b32 s4, exec_lo
	v_min_i32_e32 v6, v5, v20
	v_min_i32_e32 v5, v5, v0
	v_cndmask_b32_e64 v14, v16, v18, s3
	; wave barrier
	ds_write_b8 v2, v10
	ds_write_b8 v2, v11 offset:1
	ds_write_b8 v2, v12 offset:2
	;; [unrolled: 1-line block ×3, first 2 shown]
	v_sub_nc_u32_e32 v7, v6, v3
	; wave barrier
	v_sub_nc_u32_e32 v8, v5, v7
	v_cmp_ge_i32_e64 s3, v5, v7
	v_cndmask_b32_e64 v7, 0, v8, s3
	v_min_i32_e32 v8, v5, v9
	v_cmpx_lt_i32_e64 v7, v8
	s_cbranch_execz .LBB66_66
; %bb.63:
	v_add_nc_u32_e32 v2, v1, v13
	v_add3_u32 v9, v1, v3, v5
	.p2align	6
.LBB66_64:                              ; =>This Inner Loop Header: Depth=1
	v_sub_nc_u32_e32 v10, v8, v7
	v_lshrrev_b32_e32 v10, 1, v10
	v_add_nc_u32_e32 v10, v10, v7
	v_add_nc_u32_e32 v11, v2, v10
	v_xad_u32 v12, v10, -1, v9
	v_add_nc_u32_e32 v14, 1, v10
	ds_read_i8 v11, v11
	ds_read_i8 v12, v12
	s_waitcnt lgkmcnt(0)
	v_cmp_lt_i16_e64 s3, v12, v11
	v_cndmask_b32_e64 v8, v8, v10, s3
	v_cndmask_b32_e64 v7, v14, v7, s3
	v_cmp_ge_i32_e64 s3, v7, v8
	s_or_b32 s5, s3, s5
	s_andn2_b32 exec_lo, exec_lo, s5
	s_cbranch_execnz .LBB66_64
; %bb.65:
	s_or_b32 exec_lo, exec_lo, s5
.LBB66_66:
	s_or_b32 exec_lo, exec_lo, s4
	v_add_nc_u32_e32 v2, v3, v5
	v_add_nc_u32_e32 v9, v7, v13
	v_sub_nc_u32_e32 v10, v2, v7
	v_add_nc_u32_e32 v8, v1, v9
	v_cmp_le_i32_e64 s3, v3, v9
                                        ; implicit-def: $vgpr7
	v_add_nc_u32_e32 v11, v1, v10
	v_cmp_gt_i32_e64 s5, v6, v10
	ds_read_u8 v2, v8
	ds_read_u8 v5, v11
	s_waitcnt lgkmcnt(1)
	v_bfe_i32 v2, v2, 0, 8
	s_waitcnt lgkmcnt(0)
	v_bfe_i32 v5, v5, 0, 8
	v_cmp_lt_i16_e64 s4, v5, v2
	s_or_b32 s3, s3, s4
	s_and_b32 s3, s5, s3
	s_xor_b32 s4, s3, -1
	s_and_saveexec_b32 s5, s4
	s_xor_b32 s4, exec_lo, s5
; %bb.67:
	ds_read_u8 v7, v8 offset:1
                                        ; implicit-def: $vgpr11
; %bb.68:
	s_or_saveexec_b32 s4, s4
	v_mov_b32_e32 v8, v5
	s_xor_b32 exec_lo, exec_lo, s4
	s_cbranch_execz .LBB66_70
; %bb.69:
	ds_read_u8 v8, v11 offset:1
	s_waitcnt lgkmcnt(1)
	v_mov_b32_e32 v7, v2
.LBB66_70:
	s_or_b32 exec_lo, exec_lo, s4
	v_add_nc_u32_e32 v11, 1, v9
	v_add_nc_u32_e32 v13, 1, v10
	s_waitcnt lgkmcnt(0)
	v_cmp_lt_i16_sdwa s6, sext(v8), sext(v7) src0_sel:BYTE_0 src1_sel:BYTE_0
	v_cndmask_b32_e64 v12, v11, v9, s3
	v_cndmask_b32_e64 v11, v10, v13, s3
                                        ; implicit-def: $vgpr9
	v_cmp_ge_i32_e64 s4, v12, v3
	v_cmp_lt_i32_e64 s5, v11, v6
	s_or_b32 s4, s4, s6
	s_and_b32 s4, s5, s4
	s_xor_b32 s5, s4, -1
	s_and_saveexec_b32 s6, s5
	s_xor_b32 s5, exec_lo, s6
; %bb.71:
	v_add_nc_u32_e32 v9, v1, v12
	ds_read_u8 v9, v9 offset:1
; %bb.72:
	s_or_saveexec_b32 s5, s5
	v_mov_b32_e32 v10, v8
	s_xor_b32 exec_lo, exec_lo, s5
	s_cbranch_execz .LBB66_74
; %bb.73:
	s_waitcnt lgkmcnt(0)
	v_add_nc_u32_e32 v9, v1, v11
	ds_read_u8 v10, v9 offset:1
	v_mov_b32_e32 v9, v7
.LBB66_74:
	s_or_b32 exec_lo, exec_lo, s5
	v_add_nc_u32_e32 v13, 1, v12
	v_add_nc_u32_e32 v14, 1, v11
	s_waitcnt lgkmcnt(0)
	v_cmp_lt_i16_sdwa s7, sext(v10), sext(v9) src0_sel:BYTE_0 src1_sel:BYTE_0
	v_cndmask_b32_e64 v15, v13, v12, s4
	v_cndmask_b32_e64 v11, v11, v14, s4
                                        ; implicit-def: $vgpr12
                                        ; implicit-def: $vgpr13
	v_cmp_ge_i32_e64 s5, v15, v3
	v_cmp_lt_i32_e64 s6, v11, v6
	s_or_b32 s5, s5, s7
	s_and_b32 s5, s6, s5
	s_xor_b32 s6, s5, -1
	s_and_saveexec_b32 s7, s6
	s_xor_b32 s6, exec_lo, s7
; %bb.75:
	v_add_nc_u32_e32 v1, v1, v15
	v_add_nc_u32_e32 v13, 1, v15
                                        ; implicit-def: $vgpr15
	ds_read_u8 v12, v1 offset:1
                                        ; implicit-def: $vgpr1
; %bb.76:
	s_or_saveexec_b32 s6, s6
	v_mov_b32_e32 v14, v10
	s_xor_b32 exec_lo, exec_lo, s6
	s_cbranch_execz .LBB66_78
; %bb.77:
	v_add_nc_u32_e32 v1, v1, v11
	v_add_nc_u32_e32 v11, 1, v11
	v_mov_b32_e32 v13, v15
	s_waitcnt lgkmcnt(0)
	v_mov_b32_e32 v12, v9
	ds_read_u8 v14, v1 offset:1
.LBB66_78:
	s_or_b32 exec_lo, exec_lo, s6
	v_add_co_u32 v1, s6, s10, v4
	v_add_co_ci_u32_e64 v4, null, s11, 0, s6
	v_add_co_u32 v0, s6, v1, v0
	v_add_co_ci_u32_e64 v1, null, 0, v4, s6
	s_and_saveexec_b32 s6, vcc_lo
	s_cbranch_execnz .LBB66_83
; %bb.79:
	s_or_b32 exec_lo, exec_lo, s6
	s_and_saveexec_b32 s3, s0
	s_cbranch_execnz .LBB66_84
.LBB66_80:
	s_or_b32 exec_lo, exec_lo, s3
	s_and_saveexec_b32 s0, s1
	s_cbranch_execnz .LBB66_85
.LBB66_81:
	s_or_b32 exec_lo, exec_lo, s0
	s_and_saveexec_b32 s0, s2
	s_cbranch_execnz .LBB66_86
.LBB66_82:
	s_endpgm
.LBB66_83:
	v_cndmask_b32_e64 v2, v2, v5, s3
	global_store_byte v[0:1], v2, off
	s_or_b32 exec_lo, exec_lo, s6
	s_and_saveexec_b32 s3, s0
	s_cbranch_execz .LBB66_80
.LBB66_84:
	v_cndmask_b32_e64 v2, v7, v8, s4
	global_store_byte v[0:1], v2, off offset:1
	s_or_b32 exec_lo, exec_lo, s3
	s_and_saveexec_b32 s0, s1
	s_cbranch_execz .LBB66_81
.LBB66_85:
	v_cndmask_b32_e64 v2, v9, v10, s5
	global_store_byte v[0:1], v2, off offset:2
	s_or_b32 exec_lo, exec_lo, s0
	s_and_saveexec_b32 s0, s2
	s_cbranch_execz .LBB66_82
.LBB66_86:
	v_cmp_ge_i32_e32 vcc_lo, v13, v3
	s_waitcnt lgkmcnt(0)
	v_cmp_lt_i16_sdwa s1, sext(v14), sext(v12) src0_sel:BYTE_0 src1_sel:BYTE_0
	v_cmp_lt_i32_e64 s0, v11, v6
	s_or_b32 s1, vcc_lo, s1
	s_and_b32 vcc_lo, s0, s1
	v_cndmask_b32_e32 v2, v12, v14, vcc_lo
	global_store_byte v[0:1], v2, off offset:3
	s_endpgm
	.section	.rodata,"a",@progbits
	.p2align	6, 0x0
	.amdhsa_kernel _Z19sort_keys_segmentedILj256ELj16ELj4EaN10test_utils4lessEEvPKT2_PS2_PKjT3_
		.amdhsa_group_segment_fixed_size 1040
		.amdhsa_private_segment_fixed_size 0
		.amdhsa_kernarg_size 28
		.amdhsa_user_sgpr_count 6
		.amdhsa_user_sgpr_private_segment_buffer 1
		.amdhsa_user_sgpr_dispatch_ptr 0
		.amdhsa_user_sgpr_queue_ptr 0
		.amdhsa_user_sgpr_kernarg_segment_ptr 1
		.amdhsa_user_sgpr_dispatch_id 0
		.amdhsa_user_sgpr_flat_scratch_init 0
		.amdhsa_user_sgpr_private_segment_size 0
		.amdhsa_wavefront_size32 1
		.amdhsa_uses_dynamic_stack 0
		.amdhsa_system_sgpr_private_segment_wavefront_offset 0
		.amdhsa_system_sgpr_workgroup_id_x 1
		.amdhsa_system_sgpr_workgroup_id_y 0
		.amdhsa_system_sgpr_workgroup_id_z 0
		.amdhsa_system_sgpr_workgroup_info 0
		.amdhsa_system_vgpr_workitem_id 0
		.amdhsa_next_free_vgpr 22
		.amdhsa_next_free_sgpr 12
		.amdhsa_reserve_vcc 1
		.amdhsa_reserve_flat_scratch 0
		.amdhsa_float_round_mode_32 0
		.amdhsa_float_round_mode_16_64 0
		.amdhsa_float_denorm_mode_32 3
		.amdhsa_float_denorm_mode_16_64 3
		.amdhsa_dx10_clamp 1
		.amdhsa_ieee_mode 1
		.amdhsa_fp16_overflow 0
		.amdhsa_workgroup_processor_mode 1
		.amdhsa_memory_ordered 1
		.amdhsa_forward_progress 1
		.amdhsa_shared_vgpr_count 0
		.amdhsa_exception_fp_ieee_invalid_op 0
		.amdhsa_exception_fp_denorm_src 0
		.amdhsa_exception_fp_ieee_div_zero 0
		.amdhsa_exception_fp_ieee_overflow 0
		.amdhsa_exception_fp_ieee_underflow 0
		.amdhsa_exception_fp_ieee_inexact 0
		.amdhsa_exception_int_div_zero 0
	.end_amdhsa_kernel
	.section	.text._Z19sort_keys_segmentedILj256ELj16ELj4EaN10test_utils4lessEEvPKT2_PS2_PKjT3_,"axG",@progbits,_Z19sort_keys_segmentedILj256ELj16ELj4EaN10test_utils4lessEEvPKT2_PS2_PKjT3_,comdat
.Lfunc_end66:
	.size	_Z19sort_keys_segmentedILj256ELj16ELj4EaN10test_utils4lessEEvPKT2_PS2_PKjT3_, .Lfunc_end66-_Z19sort_keys_segmentedILj256ELj16ELj4EaN10test_utils4lessEEvPKT2_PS2_PKjT3_
                                        ; -- End function
	.set _Z19sort_keys_segmentedILj256ELj16ELj4EaN10test_utils4lessEEvPKT2_PS2_PKjT3_.num_vgpr, 22
	.set _Z19sort_keys_segmentedILj256ELj16ELj4EaN10test_utils4lessEEvPKT2_PS2_PKjT3_.num_agpr, 0
	.set _Z19sort_keys_segmentedILj256ELj16ELj4EaN10test_utils4lessEEvPKT2_PS2_PKjT3_.numbered_sgpr, 12
	.set _Z19sort_keys_segmentedILj256ELj16ELj4EaN10test_utils4lessEEvPKT2_PS2_PKjT3_.num_named_barrier, 0
	.set _Z19sort_keys_segmentedILj256ELj16ELj4EaN10test_utils4lessEEvPKT2_PS2_PKjT3_.private_seg_size, 0
	.set _Z19sort_keys_segmentedILj256ELj16ELj4EaN10test_utils4lessEEvPKT2_PS2_PKjT3_.uses_vcc, 1
	.set _Z19sort_keys_segmentedILj256ELj16ELj4EaN10test_utils4lessEEvPKT2_PS2_PKjT3_.uses_flat_scratch, 0
	.set _Z19sort_keys_segmentedILj256ELj16ELj4EaN10test_utils4lessEEvPKT2_PS2_PKjT3_.has_dyn_sized_stack, 0
	.set _Z19sort_keys_segmentedILj256ELj16ELj4EaN10test_utils4lessEEvPKT2_PS2_PKjT3_.has_recursion, 0
	.set _Z19sort_keys_segmentedILj256ELj16ELj4EaN10test_utils4lessEEvPKT2_PS2_PKjT3_.has_indirect_call, 0
	.section	.AMDGPU.csdata,"",@progbits
; Kernel info:
; codeLenInByte = 4048
; TotalNumSgprs: 14
; NumVgprs: 22
; ScratchSize: 0
; MemoryBound: 0
; FloatMode: 240
; IeeeMode: 1
; LDSByteSize: 1040 bytes/workgroup (compile time only)
; SGPRBlocks: 0
; VGPRBlocks: 2
; NumSGPRsForWavesPerEU: 14
; NumVGPRsForWavesPerEU: 22
; Occupancy: 16
; WaveLimiterHint : 0
; COMPUTE_PGM_RSRC2:SCRATCH_EN: 0
; COMPUTE_PGM_RSRC2:USER_SGPR: 6
; COMPUTE_PGM_RSRC2:TRAP_HANDLER: 0
; COMPUTE_PGM_RSRC2:TGID_X_EN: 1
; COMPUTE_PGM_RSRC2:TGID_Y_EN: 0
; COMPUTE_PGM_RSRC2:TGID_Z_EN: 0
; COMPUTE_PGM_RSRC2:TIDIG_COMP_CNT: 0
	.section	.text._Z20sort_pairs_segmentedILj256ELj16ELj4EaN10test_utils4lessEEvPKT2_PS2_PKjT3_,"axG",@progbits,_Z20sort_pairs_segmentedILj256ELj16ELj4EaN10test_utils4lessEEvPKT2_PS2_PKjT3_,comdat
	.protected	_Z20sort_pairs_segmentedILj256ELj16ELj4EaN10test_utils4lessEEvPKT2_PS2_PKjT3_ ; -- Begin function _Z20sort_pairs_segmentedILj256ELj16ELj4EaN10test_utils4lessEEvPKT2_PS2_PKjT3_
	.globl	_Z20sort_pairs_segmentedILj256ELj16ELj4EaN10test_utils4lessEEvPKT2_PS2_PKjT3_
	.p2align	8
	.type	_Z20sort_pairs_segmentedILj256ELj16ELj4EaN10test_utils4lessEEvPKT2_PS2_PKjT3_,@function
_Z20sort_pairs_segmentedILj256ELj16ELj4EaN10test_utils4lessEEvPKT2_PS2_PKjT3_: ; @_Z20sort_pairs_segmentedILj256ELj16ELj4EaN10test_utils4lessEEvPKT2_PS2_PKjT3_
; %bb.0:
	s_clause 0x1
	s_load_dwordx2 s[0:1], s[4:5], 0x10
	s_load_dwordx4 s[8:11], s[4:5], 0x0
	v_lshrrev_b32_e32 v7, 4, v0
	v_mov_b32_e32 v1, 0
	v_mov_b32_e32 v9, 0
	;; [unrolled: 1-line block ×3, first 2 shown]
	v_lshl_or_b32 v0, s6, 4, v7
	v_lshlrev_b64 v[2:3], 2, v[0:1]
	v_lshlrev_b32_e32 v4, 6, v0
	s_waitcnt lgkmcnt(0)
	v_add_co_u32 v2, vcc_lo, s0, v2
	v_add_co_ci_u32_e64 v3, null, s1, v3, vcc_lo
	global_load_dword v5, v[2:3], off
	v_mbcnt_lo_u32_b32 v2, -1, 0
	v_lshlrev_b32_e32 v6, 2, v2
	v_add_co_u32 v2, s0, s8, v4
	v_add_co_ci_u32_e64 v3, null, s9, 0, s0
	v_and_b32_e32 v0, 60, v6
	v_add_co_u32 v2, vcc_lo, v2, v0
	v_add_co_ci_u32_e64 v3, null, 0, v3, vcc_lo
	s_waitcnt vmcnt(0)
	v_cmp_lt_u32_e64 s0, v0, v5
	s_and_saveexec_b32 s1, s0
	s_cbranch_execz .LBB67_2
; %bb.1:
	global_load_ubyte v9, v[2:3], off
	v_mov_b32_e32 v8, 0
.LBB67_2:
	s_or_b32 exec_lo, exec_lo, s1
	v_or_b32_e32 v10, 1, v0
	v_mov_b32_e32 v13, v1
	v_cmp_lt_u32_e64 s1, v10, v5
	s_and_saveexec_b32 s2, s1
	s_cbranch_execz .LBB67_4
; %bb.3:
	global_load_ubyte v13, v[2:3], off offset:1
.LBB67_4:
	s_or_b32 exec_lo, exec_lo, s2
	v_or_b32_e32 v11, 2, v0
	v_cmp_lt_u32_e64 s2, v11, v5
	s_and_saveexec_b32 s3, s2
	s_cbranch_execz .LBB67_6
; %bb.5:
	global_load_ubyte v1, v[2:3], off offset:2
.LBB67_6:
	s_or_b32 exec_lo, exec_lo, s3
	v_or_b32_e32 v12, 3, v0
	v_cmp_lt_u32_e64 s3, v12, v5
	s_and_saveexec_b32 s4, s3
	s_cbranch_execz .LBB67_8
; %bb.7:
	global_load_ubyte v8, v[2:3], off offset:3
.LBB67_8:
	s_or_b32 exec_lo, exec_lo, s4
	s_waitcnt vmcnt(0)
	v_add_nc_u16 v2, v9, 1
	v_mov_b32_e32 v3, 0xffff
	v_perm_b32 v15, v1, v8, 0xc0c0004
	v_add_nc_u16 v1, v1, 1
	v_cmp_lt_i32_e32 vcc_lo, v10, v5
	v_mov_b32_e32 v10, 0xff
	v_and_b32_sdwa v2, v3, v2 dst_sel:DWORD dst_unused:UNUSED_PAD src0_sel:DWORD src1_sel:BYTE_0
	v_lshlrev_b16 v3, 8, v13
	v_perm_b32 v13, v9, v13, 0xc0c0004
	v_lshlrev_b16 v8, 8, v8
	v_cmp_lt_i32_e64 s5, v12, v5
	v_cndmask_b32_e64 v14, 0, v2, s0
	s_mov_b32 s4, exec_lo
	v_or_b32_e32 v2, v3, v14
	v_add_nc_u16 v2, 0x100, v2
	v_and_b32_e32 v3, 0xffff, v2
	v_mov_b32_e32 v2, 0x7f00
	v_cndmask_b32_e64 v3, v14, v3, s1
	v_lshlrev_b32_e32 v14, 16, v15
	v_or_b32_sdwa v9, v9, v2 dst_sel:DWORD dst_unused:UNUSED_PAD src0_sel:BYTE_0 src1_sel:DWORD
	v_perm_b32 v1, v1, v3, 0xc0c0304
	v_or_b32_e32 v13, v13, v14
	v_or_b32_sdwa v9, v9, v14 dst_sel:DWORD dst_unused:UNUSED_PAD src0_sel:WORD_0 src1_sel:DWORD
	v_mov_b32_e32 v14, 0xffffff00
	v_lshl_or_b32 v1, v1, 16, v3
	v_cndmask_b32_e32 v9, v9, v13, vcc_lo
	v_cmp_lt_i32_e32 vcc_lo, v11, v5
	v_cndmask_b32_e64 v3, v3, v1, s2
	v_mov_b32_e32 v1, 0x7f
	v_and_b32_sdwa v14, v9, v14 dst_sel:DWORD dst_unused:UNUSED_PAD src0_sel:WORD_1 src1_sel:DWORD
	v_and_b32_sdwa v10, v3, v10 dst_sel:DWORD dst_unused:UNUSED_PAD src0_sel:WORD_1 src1_sel:DWORD
	v_or_b32_sdwa v1, v14, v1 dst_sel:WORD_1 dst_unused:UNUSED_PAD src0_sel:DWORD src1_sel:DWORD
	v_or_b32_e32 v8, v8, v10
	v_and_or_b32 v1, 0xffff, v9, v1
	v_add_nc_u16 v8, 0x100, v8
	v_cndmask_b32_e32 v1, v1, v13, vcc_lo
	v_lshlrev_b32_e32 v9, 16, v8
	v_lshrrev_b32_e32 v13, 24, v1
	v_lshrrev_b32_e32 v10, 16, v1
	;; [unrolled: 1-line block ×3, first 2 shown]
	v_and_or_b32 v11, 0xffff, v3, v9
                                        ; implicit-def: $vgpr9
	v_cmpx_ge_i32_e64 v12, v5
; %bb.9:
	v_or_b32_sdwa v2, v10, v2 dst_sel:WORD_1 dst_unused:UNUSED_PAD src0_sel:BYTE_0 src1_sel:DWORD
	v_cmp_lt_i32_e32 vcc_lo, v0, v5
	v_mov_b32_e32 v13, 0x7f
	s_andn2_b32 s5, s5, exec_lo
	v_and_or_b32 v9, 0xffff, v1, v2
	s_and_b32 s6, vcc_lo, exec_lo
	s_or_b32 s5, s5, s6
; %bb.10:
	s_or_b32 exec_lo, exec_lo, s4
	v_cndmask_b32_e64 v3, v3, v11, s3
	s_and_saveexec_b32 s4, s5
	s_cbranch_execz .LBB67_14
; %bb.11:
	v_perm_b32 v2, v10, v13, 0xc0c0004
	v_perm_b32 v9, v8, v1, 0xc0c0004
	v_perm_b32 v10, v1, v8, 0xc0c0004
	v_perm_b32 v11, v3, v3, 0x7060405
	v_cmp_lt_i16_sdwa vcc_lo, sext(v8), sext(v1) src0_sel:BYTE_0 src1_sel:BYTE_0
	v_lshlrev_b32_e32 v2, 16, v2
	v_cndmask_b32_e32 v1, v3, v11, vcc_lo
	v_or_b32_e32 v9, v9, v2
	v_or_b32_e32 v2, v10, v2
	v_mov_b32_e32 v11, 0xffffff00
	v_lshrrev_b32_e32 v3, 16, v1
	v_cndmask_b32_e32 v2, v2, v9, vcc_lo
	v_perm_b32 v3, 0, v3, 0xc0c0001
	v_lshrrev_b32_e32 v8, 16, v2
	v_lshrrev_b32_e32 v9, 24, v2
	v_lshlrev_b32_e32 v3, 16, v3
	v_perm_b32 v10, 0, v8, 0xc0c0001
	v_bfe_i32 v9, v9, 0, 8
	v_bfe_i32 v8, v8, 0, 8
	v_and_or_b32 v3, 0xffff, v1, v3
	v_lshlrev_b32_e32 v10, 16, v10
	v_cmp_lt_i16_e32 vcc_lo, v9, v8
	v_and_or_b32 v10, 0xffff, v2, v10
	v_cndmask_b32_e32 v1, v1, v3, vcc_lo
	v_min_i16 v3, v9, v8
	v_cndmask_b32_e32 v2, v2, v10, vcc_lo
	v_lshlrev_b16 v8, 8, v3
	v_and_b32_sdwa v9, v2, v11 dst_sel:DWORD dst_unused:UNUSED_PAD src0_sel:WORD_1 src1_sel:DWORD
	v_lshrrev_b32_e32 v10, 8, v2
	v_perm_b32 v11, v1, v1, 0x7050604
	v_or_b32_sdwa v8, v2, v8 dst_sel:DWORD dst_unused:UNUSED_PAD src0_sel:BYTE_0 src1_sel:DWORD
	v_or_b32_sdwa v9, v2, v9 dst_sel:WORD_1 dst_unused:UNUSED_PAD src0_sel:BYTE_1 src1_sel:DWORD
	v_bfe_i32 v10, v10, 0, 8
	v_or_b32_sdwa v8, v8, v9 dst_sel:DWORD dst_unused:UNUSED_PAD src0_sel:WORD_0 src1_sel:DWORD
	v_cmp_lt_i16_e32 vcc_lo, v3, v10
	v_min_i16 v3, v3, v10
	v_cndmask_b32_e32 v2, v2, v8, vcc_lo
	v_cndmask_b32_e32 v1, v1, v11, vcc_lo
	v_lshlrev_b16 v8, 8, v2
	v_perm_b32 v9, 0, v1, 0xc0c0001
	v_cmp_lt_i16_sdwa vcc_lo, v3, sext(v2) src0_sel:DWORD src1_sel:BYTE_0
	v_or_b32_sdwa v8, v3, v8 dst_sel:DWORD dst_unused:UNUSED_PAD src0_sel:BYTE_0 src1_sel:DWORD
	v_and_or_b32 v9, 0xffff0000, v1, v9
	v_and_b32_e32 v8, 0xffff, v8
	v_cndmask_b32_e32 v1, v1, v9, vcc_lo
	v_and_or_b32 v8, 0xffff0000, v2, v8
	v_lshrrev_b32_e32 v3, 16, v1
	v_cndmask_b32_e32 v2, v2, v8, vcc_lo
	v_perm_b32 v3, 0, v3, 0xc0c0001
	v_lshrrev_b32_e32 v8, 16, v2
	v_lshrrev_b32_e32 v9, 24, v2
	v_lshlrev_b32_e32 v3, 16, v3
	v_perm_b32 v10, 0, v8, 0xc0c0001
	v_bfe_i32 v11, v9, 0, 8
	v_bfe_i32 v8, v8, 0, 8
	v_and_or_b32 v3, 0xffff, v1, v3
	v_lshlrev_b32_e32 v9, 16, v10
	v_cmp_lt_i16_e32 vcc_lo, v11, v8
	v_and_or_b32 v9, 0xffff, v2, v9
	v_cndmask_b32_e32 v3, v1, v3, vcc_lo
	v_min_i16 v1, v11, v8
	v_cndmask_b32_e32 v9, v2, v9, vcc_lo
	v_lshrrev_b32_e32 v2, 8, v9
	v_cmp_lt_i16_sdwa s6, v1, sext(v2) src0_sel:DWORD src1_sel:BYTE_0
	s_and_saveexec_b32 s5, s6
; %bb.12:
	v_perm_b32 v9, v9, v1, 0x7050004
	v_perm_b32 v3, v3, v3, 0x7050604
; %bb.13:
	s_or_b32 exec_lo, exec_lo, s5
.LBB67_14:
	s_or_b32 exec_lo, exec_lo, s4
	v_and_b32_e32 v1, 56, v6
	v_and_b32_e32 v11, 4, v6
	v_mad_u32_u24 v14, 0x41, v7, v0
	s_mov_b32 s5, 0
	s_mov_b32 s4, exec_lo
	v_min_i32_e32 v10, v5, v1
	v_min_i32_e32 v11, v5, v11
	; wave barrier
	ds_write_b32 v14, v9
	v_add_nc_u32_e32 v1, 4, v10
	; wave barrier
	v_min_i32_e32 v2, v5, v1
	v_add_nc_u32_e32 v1, 4, v2
	v_sub_nc_u32_e32 v13, v2, v10
	v_min_i32_e32 v8, v5, v1
	v_min_i32_e32 v13, v11, v13
	v_sub_nc_u32_e32 v1, v8, v2
	v_sub_nc_u32_e32 v12, v11, v1
	v_cmp_ge_i32_e32 vcc_lo, v11, v1
	v_mul_u32_u24_e32 v1, 0x41, v7
	v_cndmask_b32_e32 v12, 0, v12, vcc_lo
	v_cmpx_lt_i32_e64 v12, v13
	s_cbranch_execz .LBB67_18
; %bb.15:
	v_add_nc_u32_e32 v7, v1, v10
	v_add3_u32 v9, v1, v2, v11
	.p2align	6
.LBB67_16:                              ; =>This Inner Loop Header: Depth=1
	v_sub_nc_u32_e32 v14, v13, v12
	v_lshrrev_b32_e32 v14, 1, v14
	v_add_nc_u32_e32 v14, v14, v12
	v_add_nc_u32_e32 v15, v7, v14
	v_xad_u32 v16, v14, -1, v9
	v_add_nc_u32_e32 v17, 1, v14
	ds_read_i8 v15, v15
	ds_read_i8 v16, v16
	s_waitcnt lgkmcnt(0)
	v_cmp_lt_i16_e32 vcc_lo, v16, v15
	v_cndmask_b32_e32 v13, v13, v14, vcc_lo
	v_cndmask_b32_e32 v12, v17, v12, vcc_lo
	v_cmp_ge_i32_e32 vcc_lo, v12, v13
	s_or_b32 s5, vcc_lo, s5
	s_andn2_b32 exec_lo, exec_lo, s5
	s_cbranch_execnz .LBB67_16
; %bb.17:
	s_or_b32 exec_lo, exec_lo, s5
.LBB67_18:
	s_or_b32 exec_lo, exec_lo, s4
	v_add_nc_u32_e32 v9, v2, v11
	v_add_nc_u32_e32 v7, v12, v10
                                        ; implicit-def: $vgpr14
	v_sub_nc_u32_e32 v9, v9, v12
	v_add_nc_u32_e32 v11, v1, v7
	v_cmp_le_i32_e32 vcc_lo, v2, v7
	v_add_nc_u32_e32 v10, v1, v9
	v_cmp_gt_i32_e64 s5, v8, v9
	ds_read_u8 v12, v11
	ds_read_u8 v13, v10
	s_waitcnt lgkmcnt(1)
	v_bfe_i32 v12, v12, 0, 8
	s_waitcnt lgkmcnt(0)
	v_bfe_i32 v13, v13, 0, 8
	v_cmp_lt_i16_e64 s4, v13, v12
	s_or_b32 s4, vcc_lo, s4
	s_and_b32 vcc_lo, s5, s4
	s_xor_b32 s4, vcc_lo, -1
	s_and_saveexec_b32 s5, s4
	s_xor_b32 s4, exec_lo, s5
; %bb.19:
	ds_read_u8 v14, v11 offset:1
                                        ; implicit-def: $vgpr10
; %bb.20:
	s_or_saveexec_b32 s4, s4
	v_mov_b32_e32 v15, v13
	s_xor_b32 exec_lo, exec_lo, s4
	s_cbranch_execz .LBB67_22
; %bb.21:
	ds_read_u8 v15, v10 offset:1
	s_waitcnt lgkmcnt(1)
	v_mov_b32_e32 v14, v12
.LBB67_22:
	s_or_b32 exec_lo, exec_lo, s4
	v_add_nc_u32_e32 v10, 1, v7
	v_add_nc_u32_e32 v11, 1, v9
	s_waitcnt lgkmcnt(0)
	v_cmp_lt_i16_sdwa s6, sext(v15), sext(v14) src0_sel:BYTE_0 src1_sel:BYTE_0
                                        ; implicit-def: $vgpr16
	v_cndmask_b32_e32 v10, v10, v7, vcc_lo
	v_cndmask_b32_e32 v11, v9, v11, vcc_lo
	v_cmp_ge_i32_e64 s4, v10, v2
	v_cmp_lt_i32_e64 s5, v11, v8
	s_or_b32 s4, s4, s6
	s_and_b32 s4, s5, s4
	s_xor_b32 s5, s4, -1
	s_and_saveexec_b32 s6, s5
	s_xor_b32 s5, exec_lo, s6
; %bb.23:
	v_add_nc_u32_e32 v16, v1, v10
	ds_read_u8 v16, v16 offset:1
; %bb.24:
	s_or_saveexec_b32 s5, s5
	v_mov_b32_e32 v17, v15
	s_xor_b32 exec_lo, exec_lo, s5
	s_cbranch_execz .LBB67_26
; %bb.25:
	s_waitcnt lgkmcnt(0)
	v_add_nc_u32_e32 v16, v1, v11
	ds_read_u8 v17, v16 offset:1
	v_mov_b32_e32 v16, v14
.LBB67_26:
	s_or_b32 exec_lo, exec_lo, s5
	v_add_nc_u32_e32 v18, 1, v10
	v_add_nc_u32_e32 v19, 1, v11
	s_waitcnt lgkmcnt(0)
	v_cmp_lt_i16_sdwa s7, sext(v17), sext(v16) src0_sel:BYTE_0 src1_sel:BYTE_0
                                        ; implicit-def: $vgpr20
	v_cndmask_b32_e64 v18, v18, v10, s4
	v_cndmask_b32_e64 v19, v11, v19, s4
	v_cmp_ge_i32_e64 s5, v18, v2
	v_cmp_lt_i32_e64 s6, v19, v8
	s_or_b32 s5, s5, s7
	s_and_b32 s5, s6, s5
	s_xor_b32 s6, s5, -1
	s_and_saveexec_b32 s7, s6
	s_xor_b32 s6, exec_lo, s7
; %bb.27:
	v_add_nc_u32_e32 v20, v1, v18
	ds_read_u8 v20, v20 offset:1
; %bb.28:
	s_or_saveexec_b32 s6, s6
	v_mov_b32_e32 v21, v17
	s_xor_b32 exec_lo, exec_lo, s6
	s_cbranch_execz .LBB67_30
; %bb.29:
	s_waitcnt lgkmcnt(0)
	v_add_nc_u32_e32 v20, v1, v19
	ds_read_u8 v21, v20 offset:1
	v_mov_b32_e32 v20, v16
.LBB67_30:
	s_or_b32 exec_lo, exec_lo, s6
	v_add_nc_u32_e32 v22, 1, v18
	v_add_nc_u32_e32 v24, 1, v19
	v_and_b32_e32 v23, 48, v6
	v_cndmask_b32_e64 v10, v10, v11, s4
	v_cndmask_b32_e64 v25, v18, v19, s5
	;; [unrolled: 1-line block ×4, first 2 shown]
	v_min_i32_e32 v18, v5, v23
	s_waitcnt lgkmcnt(0)
	v_cmp_lt_i16_sdwa s8, sext(v21), sext(v20) src0_sel:BYTE_0 src1_sel:BYTE_0
	v_cndmask_b32_e32 v9, v7, v9, vcc_lo
	v_cmp_ge_i32_e64 s6, v11, v2
	v_cmp_lt_i32_e64 s7, v19, v8
	v_add_nc_u32_e32 v7, 8, v18
	v_add_nc_u32_e32 v2, v1, v0
	;; [unrolled: 1-line block ×3, first 2 shown]
	s_or_b32 s6, s6, s8
	v_add_nc_u32_e32 v10, v1, v10
	s_and_b32 s6, s7, s6
	v_min_i32_e32 v7, v5, v7
	v_cndmask_b32_e64 v8, v11, v19, s6
	v_and_b32_e32 v11, 12, v6
	; wave barrier
	v_cndmask_b32_e64 v20, v20, v21, s6
	ds_write_b32 v2, v3
	v_add_nc_u32_e32 v3, 8, v7
	v_add_nc_u32_e32 v21, v1, v25
	;; [unrolled: 1-line block ×3, first 2 shown]
	; wave barrier
	v_min_i32_e32 v19, v5, v11
	ds_read_u8 v8, v9
	ds_read_u8 v9, v10
	;; [unrolled: 1-line block ×4, first 2 shown]
	v_min_i32_e32 v3, v5, v3
	v_cndmask_b32_e64 v16, v16, v17, s5
	v_cndmask_b32_e64 v14, v14, v15, s4
	v_sub_nc_u32_e32 v17, v7, v18
	v_cndmask_b32_e32 v21, v12, v13, vcc_lo
	v_sub_nc_u32_e32 v23, v3, v7
	s_mov_b32 s5, 0
	s_mov_b32 s4, exec_lo
	v_min_i32_e32 v13, v19, v17
	v_sub_nc_u32_e32 v15, v19, v23
	v_cmp_ge_i32_e32 vcc_lo, v19, v23
	; wave barrier
	ds_write_b8 v2, v21
	ds_write_b8 v2, v14 offset:1
	ds_write_b8 v2, v16 offset:2
	ds_write_b8 v2, v20 offset:3
	; wave barrier
	v_cndmask_b32_e32 v12, 0, v15, vcc_lo
	v_cmpx_lt_i32_e64 v12, v13
	s_cbranch_execz .LBB67_34
; %bb.31:
	v_add_nc_u32_e32 v14, v1, v18
	v_add3_u32 v15, v1, v7, v19
	.p2align	6
.LBB67_32:                              ; =>This Inner Loop Header: Depth=1
	v_sub_nc_u32_e32 v16, v13, v12
	v_lshrrev_b32_e32 v16, 1, v16
	v_add_nc_u32_e32 v16, v16, v12
	v_add_nc_u32_e32 v17, v14, v16
	v_xad_u32 v20, v16, -1, v15
	v_add_nc_u32_e32 v21, 1, v16
	ds_read_i8 v17, v17
	ds_read_i8 v20, v20
	s_waitcnt lgkmcnt(0)
	v_cmp_lt_i16_e32 vcc_lo, v20, v17
	v_cndmask_b32_e32 v13, v13, v16, vcc_lo
	v_cndmask_b32_e32 v12, v21, v12, vcc_lo
	v_cmp_ge_i32_e32 vcc_lo, v12, v13
	s_or_b32 s5, vcc_lo, s5
	s_andn2_b32 exec_lo, exec_lo, s5
	s_cbranch_execnz .LBB67_32
; %bb.33:
	s_or_b32 exec_lo, exec_lo, s5
.LBB67_34:
	s_or_b32 exec_lo, exec_lo, s4
	v_add_nc_u32_e32 v13, v7, v19
	v_add_nc_u32_e32 v15, v12, v18
                                        ; implicit-def: $vgpr14
	v_sub_nc_u32_e32 v17, v13, v12
	v_add_nc_u32_e32 v16, v1, v15
	v_cmp_le_i32_e32 vcc_lo, v7, v15
	v_add_nc_u32_e32 v18, v1, v17
	v_cmp_gt_i32_e64 s5, v3, v17
	ds_read_u8 v12, v16
	ds_read_u8 v13, v18
	s_waitcnt lgkmcnt(1)
	v_bfe_i32 v12, v12, 0, 8
	s_waitcnt lgkmcnt(0)
	v_bfe_i32 v13, v13, 0, 8
	v_cmp_lt_i16_e64 s4, v13, v12
	s_or_b32 s4, vcc_lo, s4
	s_and_b32 vcc_lo, s5, s4
	s_xor_b32 s4, vcc_lo, -1
	s_and_saveexec_b32 s5, s4
	s_xor_b32 s4, exec_lo, s5
; %bb.35:
	ds_read_u8 v14, v16 offset:1
                                        ; implicit-def: $vgpr18
; %bb.36:
	s_or_saveexec_b32 s4, s4
	v_mov_b32_e32 v16, v13
	s_xor_b32 exec_lo, exec_lo, s4
	s_cbranch_execz .LBB67_38
; %bb.37:
	ds_read_u8 v16, v18 offset:1
	s_waitcnt lgkmcnt(1)
	v_mov_b32_e32 v14, v12
.LBB67_38:
	s_or_b32 exec_lo, exec_lo, s4
	v_add_nc_u32_e32 v18, 1, v15
	v_add_nc_u32_e32 v19, 1, v17
	s_waitcnt lgkmcnt(0)
	v_cmp_lt_i16_sdwa s6, sext(v16), sext(v14) src0_sel:BYTE_0 src1_sel:BYTE_0
	v_cndmask_b32_e32 v20, v18, v15, vcc_lo
	v_cndmask_b32_e32 v21, v17, v19, vcc_lo
                                        ; implicit-def: $vgpr18
	v_cmp_ge_i32_e64 s4, v20, v7
	v_cmp_lt_i32_e64 s5, v21, v3
	s_or_b32 s4, s4, s6
	s_and_b32 s4, s5, s4
	s_xor_b32 s5, s4, -1
	s_and_saveexec_b32 s6, s5
	s_xor_b32 s5, exec_lo, s6
; %bb.39:
	v_add_nc_u32_e32 v18, v1, v20
	ds_read_u8 v18, v18 offset:1
; %bb.40:
	s_or_saveexec_b32 s5, s5
	v_mov_b32_e32 v19, v16
	s_xor_b32 exec_lo, exec_lo, s5
	s_cbranch_execz .LBB67_42
; %bb.41:
	s_waitcnt lgkmcnt(0)
	v_add_nc_u32_e32 v18, v1, v21
	ds_read_u8 v19, v18 offset:1
	v_mov_b32_e32 v18, v14
.LBB67_42:
	s_or_b32 exec_lo, exec_lo, s5
	v_add_nc_u32_e32 v22, 1, v20
	v_add_nc_u32_e32 v23, 1, v21
	s_waitcnt lgkmcnt(0)
	v_cmp_lt_i16_sdwa s7, sext(v19), sext(v18) src0_sel:BYTE_0 src1_sel:BYTE_0
	v_cndmask_b32_e64 v24, v22, v20, s4
	v_cndmask_b32_e64 v22, v21, v23, s4
                                        ; implicit-def: $vgpr23
	v_cmp_ge_i32_e64 s5, v24, v7
	v_cmp_lt_i32_e64 s6, v22, v3
	s_or_b32 s5, s5, s7
	s_and_b32 s5, s6, s5
	s_xor_b32 s6, s5, -1
	s_and_saveexec_b32 s7, s6
	s_xor_b32 s6, exec_lo, s7
; %bb.43:
	v_add_nc_u32_e32 v23, v1, v24
	ds_read_u8 v23, v23 offset:1
; %bb.44:
	s_or_saveexec_b32 s6, s6
	v_mov_b32_e32 v25, v19
	s_xor_b32 exec_lo, exec_lo, s6
	s_cbranch_execz .LBB67_46
; %bb.45:
	s_waitcnt lgkmcnt(0)
	v_add_nc_u32_e32 v23, v1, v22
	ds_read_u8 v25, v23 offset:1
	v_mov_b32_e32 v23, v18
.LBB67_46:
	s_or_b32 exec_lo, exec_lo, s6
	v_add_nc_u32_e32 v26, 1, v24
	v_and_b32_e32 v27, 32, v6
	v_add_nc_u32_e32 v28, 1, v22
	v_cndmask_b32_e64 v29, v24, v22, s5
	v_cndmask_b32_e64 v21, v20, v21, s4
	v_cndmask_b32_e64 v24, v26, v24, s5
	v_min_i32_e32 v20, v5, v27
	v_cndmask_b32_e64 v22, v22, v28, s5
	s_waitcnt lgkmcnt(0)
	v_cmp_lt_i16_sdwa s8, sext(v25), sext(v23) src0_sel:BYTE_0 src1_sel:BYTE_0
	v_cndmask_b32_e32 v15, v15, v17, vcc_lo
	v_cmp_ge_i32_e64 s6, v24, v7
	v_add_nc_u32_e32 v7, 16, v20
	v_cmp_lt_i32_e64 s7, v22, v3
	; wave barrier
	s_or_b32 s6, s6, s8
	v_min_i32_e32 v3, v5, v7
	s_and_b32 s6, s7, s6
	ds_write_b8 v2, v8
	ds_write_b8 v2, v9 offset:1
	ds_write_b8 v2, v10 offset:2
	;; [unrolled: 1-line block ×3, first 2 shown]
	v_cndmask_b32_e64 v7, v24, v22, s6
	v_add_nc_u32_e32 v10, v1, v15
	v_add_nc_u32_e32 v8, 16, v3
	v_and_b32_e32 v6, 28, v6
	v_add_nc_u32_e32 v15, v1, v29
	; wave barrier
	v_min_i32_e32 v9, v5, v8
	v_add_nc_u32_e32 v8, v1, v21
	v_add_nc_u32_e32 v21, v1, v7
	v_min_i32_e32 v11, v5, v6
	ds_read_u8 v10, v10
	ds_read_u8 v7, v8
	;; [unrolled: 1-line block ×4, first 2 shown]
	v_sub_nc_u32_e32 v22, v9, v3
	v_cndmask_b32_e64 v15, v18, v19, s5
	v_cndmask_b32_e64 v14, v14, v16, s4
	v_sub_nc_u32_e32 v18, v3, v20
	v_cndmask_b32_e32 v19, v12, v13, vcc_lo
	v_sub_nc_u32_e32 v16, v11, v22
	v_cmp_ge_i32_e32 vcc_lo, v11, v22
	v_cndmask_b32_e64 v17, v23, v25, s6
	v_min_i32_e32 v13, v11, v18
	s_mov_b32 s5, 0
	s_mov_b32 s4, exec_lo
	v_cndmask_b32_e32 v12, 0, v16, vcc_lo
	; wave barrier
	ds_write_b8 v2, v19
	ds_write_b8 v2, v14 offset:1
	ds_write_b8 v2, v15 offset:2
	;; [unrolled: 1-line block ×3, first 2 shown]
	; wave barrier
	v_cmpx_lt_i32_e64 v12, v13
	s_cbranch_execz .LBB67_50
; %bb.47:
	v_add_nc_u32_e32 v14, v1, v20
	v_add3_u32 v15, v1, v3, v11
	.p2align	6
.LBB67_48:                              ; =>This Inner Loop Header: Depth=1
	v_sub_nc_u32_e32 v16, v13, v12
	v_lshrrev_b32_e32 v16, 1, v16
	v_add_nc_u32_e32 v16, v16, v12
	v_add_nc_u32_e32 v17, v14, v16
	v_xad_u32 v18, v16, -1, v15
	v_add_nc_u32_e32 v19, 1, v16
	ds_read_i8 v17, v17
	ds_read_i8 v18, v18
	s_waitcnt lgkmcnt(0)
	v_cmp_lt_i16_e32 vcc_lo, v18, v17
	v_cndmask_b32_e32 v13, v13, v16, vcc_lo
	v_cndmask_b32_e32 v12, v19, v12, vcc_lo
	v_cmp_ge_i32_e32 vcc_lo, v12, v13
	s_or_b32 s5, vcc_lo, s5
	s_andn2_b32 exec_lo, exec_lo, s5
	s_cbranch_execnz .LBB67_48
; %bb.49:
	s_or_b32 exec_lo, exec_lo, s5
.LBB67_50:
	s_or_b32 exec_lo, exec_lo, s4
	v_add_nc_u32_e32 v11, v3, v11
	v_add_nc_u32_e32 v16, v12, v20
                                        ; implicit-def: $vgpr13
	v_sub_nc_u32_e32 v17, v11, v12
	v_add_nc_u32_e32 v14, v1, v16
	v_cmp_le_i32_e32 vcc_lo, v3, v16
	v_add_nc_u32_e32 v15, v1, v17
	v_cmp_gt_i32_e64 s5, v9, v17
	ds_read_u8 v11, v14
	ds_read_u8 v12, v15
	s_waitcnt lgkmcnt(1)
	v_bfe_i32 v11, v11, 0, 8
	s_waitcnt lgkmcnt(0)
	v_bfe_i32 v12, v12, 0, 8
	v_cmp_lt_i16_e64 s4, v12, v11
	s_or_b32 s4, vcc_lo, s4
	s_and_b32 vcc_lo, s5, s4
	s_xor_b32 s4, vcc_lo, -1
	s_and_saveexec_b32 s5, s4
	s_xor_b32 s4, exec_lo, s5
; %bb.51:
	ds_read_u8 v13, v14 offset:1
                                        ; implicit-def: $vgpr15
; %bb.52:
	s_or_saveexec_b32 s4, s4
	v_mov_b32_e32 v14, v12
	s_xor_b32 exec_lo, exec_lo, s4
	s_cbranch_execz .LBB67_54
; %bb.53:
	ds_read_u8 v14, v15 offset:1
	s_waitcnt lgkmcnt(1)
	v_mov_b32_e32 v13, v11
.LBB67_54:
	s_or_b32 exec_lo, exec_lo, s4
	v_add_nc_u32_e32 v15, 1, v16
	v_add_nc_u32_e32 v18, 1, v17
	s_waitcnt lgkmcnt(0)
	v_cmp_lt_i16_sdwa s6, sext(v14), sext(v13) src0_sel:BYTE_0 src1_sel:BYTE_0
	v_cndmask_b32_e32 v19, v15, v16, vcc_lo
	v_cndmask_b32_e32 v20, v17, v18, vcc_lo
                                        ; implicit-def: $vgpr15
	v_cmp_ge_i32_e64 s4, v19, v3
	v_cmp_lt_i32_e64 s5, v20, v9
	s_or_b32 s4, s4, s6
	s_and_b32 s4, s5, s4
	s_xor_b32 s5, s4, -1
	s_and_saveexec_b32 s6, s5
	s_xor_b32 s5, exec_lo, s6
; %bb.55:
	v_add_nc_u32_e32 v15, v1, v19
	ds_read_u8 v15, v15 offset:1
; %bb.56:
	s_or_saveexec_b32 s5, s5
	v_mov_b32_e32 v18, v14
	s_xor_b32 exec_lo, exec_lo, s5
	s_cbranch_execz .LBB67_58
; %bb.57:
	s_waitcnt lgkmcnt(0)
	v_add_nc_u32_e32 v15, v1, v20
	ds_read_u8 v18, v15 offset:1
	v_mov_b32_e32 v15, v13
.LBB67_58:
	s_or_b32 exec_lo, exec_lo, s5
	v_add_nc_u32_e32 v21, 1, v19
	v_add_nc_u32_e32 v22, 1, v20
	s_waitcnt lgkmcnt(0)
	v_cmp_lt_i16_sdwa s7, sext(v18), sext(v15) src0_sel:BYTE_0 src1_sel:BYTE_0
	v_cndmask_b32_e64 v24, v21, v19, s4
	v_cndmask_b32_e64 v21, v20, v22, s4
                                        ; implicit-def: $vgpr22
	v_cmp_ge_i32_e64 s5, v24, v3
	v_cmp_lt_i32_e64 s6, v21, v9
	s_or_b32 s5, s5, s7
	s_and_b32 s5, s6, s5
	s_xor_b32 s6, s5, -1
	s_and_saveexec_b32 s7, s6
	s_xor_b32 s6, exec_lo, s7
; %bb.59:
	v_add_nc_u32_e32 v22, v1, v24
	ds_read_u8 v22, v22 offset:1
; %bb.60:
	s_or_saveexec_b32 s6, s6
	v_mov_b32_e32 v23, v18
	s_xor_b32 exec_lo, exec_lo, s6
	s_cbranch_execz .LBB67_62
; %bb.61:
	s_waitcnt lgkmcnt(0)
	v_add_nc_u32_e32 v22, v1, v21
	ds_read_u8 v23, v22 offset:1
	v_mov_b32_e32 v22, v15
.LBB67_62:
	s_or_b32 exec_lo, exec_lo, s6
	v_add_nc_u32_e32 v25, 1, v24
	v_add_nc_u32_e32 v26, 1, v21
	v_cndmask_b32_e64 v19, v19, v20, s4
	v_cndmask_b32_e32 v17, v16, v17, vcc_lo
	v_min_i32_e32 v16, 0, v5
	v_cndmask_b32_e64 v20, v25, v24, s5
	v_cndmask_b32_e64 v27, v24, v21, s5
	;; [unrolled: 1-line block ×3, first 2 shown]
	s_waitcnt lgkmcnt(0)
	v_cmp_lt_i16_sdwa s8, sext(v23), sext(v22) src0_sel:BYTE_0 src1_sel:BYTE_0
	v_cmp_ge_i32_e64 s6, v20, v3
	v_add_nc_u32_e32 v3, 32, v16
	v_cmp_lt_i32_e64 s7, v21, v9
	; wave barrier
	ds_write_b8 v2, v10
	s_or_b32 s6, s6, s8
	v_min_i32_e32 v9, v5, v3
	s_and_b32 s6, s7, s6
	ds_write_b8 v2, v7 offset:1
	ds_write_b8 v2, v8 offset:2
	v_cndmask_b32_e64 v10, v20, v21, s6
	ds_write_b8 v2, v6 offset:3
	v_add_nc_u32_e32 v3, 32, v9
	v_add_nc_u32_e32 v6, v1, v17
	;; [unrolled: 1-line block ×5, first 2 shown]
	; wave barrier
	v_min_i32_e32 v3, v5, v3
	v_min_i32_e32 v10, v5, v0
	ds_read_u8 v7, v6
	ds_read_u8 v8, v8
	;; [unrolled: 1-line block ×4, first 2 shown]
	v_cndmask_b32_e64 v15, v15, v18, s5
	v_cndmask_b32_e64 v13, v13, v14, s4
	v_sub_nc_u32_e32 v20, v3, v9
	v_sub_nc_u32_e32 v17, v9, v16
	v_cndmask_b32_e32 v18, v11, v12, vcc_lo
	v_cndmask_b32_e64 v22, v22, v23, s6
	s_mov_b32 s5, 0
	v_sub_nc_u32_e32 v14, v10, v20
	v_cmp_ge_i32_e32 vcc_lo, v10, v20
	v_min_i32_e32 v12, v10, v17
	s_mov_b32 s4, exec_lo
	; wave barrier
	v_cndmask_b32_e32 v11, 0, v14, vcc_lo
	ds_write_b8 v2, v18
	ds_write_b8 v2, v13 offset:1
	ds_write_b8 v2, v15 offset:2
	;; [unrolled: 1-line block ×3, first 2 shown]
	; wave barrier
	v_cmpx_lt_i32_e64 v11, v12
	s_cbranch_execz .LBB67_66
; %bb.63:
	v_add_nc_u32_e32 v13, v1, v16
	v_add3_u32 v14, v1, v9, v10
	.p2align	6
.LBB67_64:                              ; =>This Inner Loop Header: Depth=1
	v_sub_nc_u32_e32 v15, v12, v11
	v_lshrrev_b32_e32 v15, 1, v15
	v_add_nc_u32_e32 v15, v15, v11
	v_add_nc_u32_e32 v17, v13, v15
	v_xad_u32 v18, v15, -1, v14
	v_add_nc_u32_e32 v19, 1, v15
	ds_read_i8 v17, v17
	ds_read_i8 v18, v18
	s_waitcnt lgkmcnt(0)
	v_cmp_lt_i16_e32 vcc_lo, v18, v17
	v_cndmask_b32_e32 v12, v12, v15, vcc_lo
	v_cndmask_b32_e32 v11, v19, v11, vcc_lo
	v_cmp_ge_i32_e32 vcc_lo, v11, v12
	s_or_b32 s5, vcc_lo, s5
	s_andn2_b32 exec_lo, exec_lo, s5
	s_cbranch_execnz .LBB67_64
; %bb.65:
	s_or_b32 exec_lo, exec_lo, s5
.LBB67_66:
	s_or_b32 exec_lo, exec_lo, s4
	v_add_nc_u32_e32 v10, v9, v10
	v_add_nc_u32_e32 v14, v11, v16
                                        ; implicit-def: $vgpr12
	v_sub_nc_u32_e32 v15, v10, v11
	v_add_nc_u32_e32 v13, v1, v14
	v_cmp_le_i32_e32 vcc_lo, v9, v14
	v_add_nc_u32_e32 v16, v1, v15
	v_cmp_gt_i32_e64 s5, v3, v15
	ds_read_u8 v10, v13
	ds_read_u8 v11, v16
	s_waitcnt lgkmcnt(1)
	v_bfe_i32 v10, v10, 0, 8
	s_waitcnt lgkmcnt(0)
	v_bfe_i32 v11, v11, 0, 8
	v_cmp_lt_i16_e64 s4, v11, v10
	s_or_b32 s4, vcc_lo, s4
	s_and_b32 s4, s5, s4
	s_xor_b32 s5, s4, -1
	s_and_saveexec_b32 s6, s5
	s_xor_b32 s5, exec_lo, s6
; %bb.67:
	ds_read_u8 v12, v13 offset:1
                                        ; implicit-def: $vgpr16
; %bb.68:
	s_or_saveexec_b32 s5, s5
	v_mov_b32_e32 v13, v11
	s_xor_b32 exec_lo, exec_lo, s5
	s_cbranch_execz .LBB67_70
; %bb.69:
	ds_read_u8 v13, v16 offset:1
	s_waitcnt lgkmcnt(1)
	v_mov_b32_e32 v12, v10
.LBB67_70:
	s_or_b32 exec_lo, exec_lo, s5
	v_add_nc_u32_e32 v16, 1, v14
	v_add_nc_u32_e32 v17, 1, v15
	s_waitcnt lgkmcnt(0)
	v_cmp_lt_i16_sdwa s6, sext(v13), sext(v12) src0_sel:BYTE_0 src1_sel:BYTE_0
                                        ; implicit-def: $vgpr18
	v_cndmask_b32_e64 v16, v16, v14, s4
	v_cndmask_b32_e64 v17, v15, v17, s4
	v_cmp_ge_i32_e32 vcc_lo, v16, v9
	v_cmp_lt_i32_e64 s5, v17, v3
	s_or_b32 s6, vcc_lo, s6
	s_and_b32 vcc_lo, s5, s6
	s_xor_b32 s5, vcc_lo, -1
	s_and_saveexec_b32 s6, s5
	s_xor_b32 s5, exec_lo, s6
; %bb.71:
	v_add_nc_u32_e32 v18, v1, v16
	ds_read_u8 v18, v18 offset:1
; %bb.72:
	s_or_saveexec_b32 s5, s5
	v_mov_b32_e32 v19, v13
	s_xor_b32 exec_lo, exec_lo, s5
	s_cbranch_execz .LBB67_74
; %bb.73:
	s_waitcnt lgkmcnt(0)
	v_add_nc_u32_e32 v18, v1, v17
	ds_read_u8 v19, v18 offset:1
	v_mov_b32_e32 v18, v12
.LBB67_74:
	s_or_b32 exec_lo, exec_lo, s5
	v_add_nc_u32_e32 v20, 1, v16
	v_add_nc_u32_e32 v21, 1, v17
	s_waitcnt lgkmcnt(0)
	v_cmp_lt_i16_sdwa s7, sext(v19), sext(v18) src0_sel:BYTE_0 src1_sel:BYTE_0
                                        ; implicit-def: $vgpr22
	v_cndmask_b32_e32 v25, v20, v16, vcc_lo
	v_cndmask_b32_e32 v20, v17, v21, vcc_lo
                                        ; implicit-def: $vgpr21
	v_cmp_ge_i32_e64 s5, v25, v9
	v_cmp_lt_i32_e64 s6, v20, v3
	s_or_b32 s5, s5, s7
	s_and_b32 s5, s6, s5
	s_xor_b32 s6, s5, -1
	s_and_saveexec_b32 s7, s6
	s_xor_b32 s6, exec_lo, s7
; %bb.75:
	v_add_nc_u32_e32 v21, v1, v25
	ds_read_u8 v22, v21 offset:1
	v_add_nc_u32_e32 v21, 1, v25
; %bb.76:
	s_or_saveexec_b32 s6, s6
	v_mov_b32_e32 v23, v25
	v_mov_b32_e32 v24, v19
	s_xor_b32 exec_lo, exec_lo, s6
	s_cbranch_execz .LBB67_78
; %bb.77:
	v_add_nc_u32_e32 v21, v1, v20
	s_waitcnt lgkmcnt(0)
	v_add_nc_u32_e32 v22, 1, v20
	v_mov_b32_e32 v23, v20
	ds_read_u8 v24, v21 offset:1
	v_mov_b32_e32 v21, v25
	v_mov_b32_e32 v20, v22
	;; [unrolled: 1-line block ×3, first 2 shown]
.LBB67_78:
	s_or_b32 exec_lo, exec_lo, s6
	v_cndmask_b32_e64 v14, v14, v15, s4
	; wave barrier
	ds_write_b8 v2, v7
	ds_write_b8 v2, v8 offset:1
	ds_write_b8 v2, v5 offset:2
	;; [unrolled: 1-line block ×3, first 2 shown]
	v_add_nc_u32_e32 v7, v1, v14
	; wave barrier
	v_cmp_ge_i32_e64 s6, v21, v9
	s_waitcnt lgkmcnt(4)
	v_cmp_lt_i16_sdwa s8, sext(v24), sext(v22) src0_sel:BYTE_0 src1_sel:BYTE_0
	ds_read_u8 v2, v7
	v_cmp_lt_i32_e64 s7, v20, v3
	v_cndmask_b32_e32 v3, v16, v17, vcc_lo
	v_cndmask_b32_e64 v7, v10, v11, s4
	s_or_b32 s6, s6, s8
	v_cndmask_b32_e64 v8, v18, v19, s5
	s_and_b32 s6, s7, s6
	v_add_nc_u32_e32 v3, v1, v3
	v_cndmask_b32_e64 v5, v22, v24, s6
	v_cndmask_b32_e64 v6, v21, v20, s6
	v_add_nc_u32_e32 v9, v1, v23
	v_lshlrev_b16 v5, 8, v5
	v_add_nc_u32_e32 v1, v1, v6
	v_cndmask_b32_sdwa v6, v12, v13, vcc_lo dst_sel:BYTE_1 dst_unused:UNUSED_PAD src0_sel:DWORD src1_sel:DWORD
	ds_read_u8 v3, v3
	ds_read_u8 v9, v9
	;; [unrolled: 1-line block ×3, first 2 shown]
	v_or_b32_sdwa v5, v8, v5 dst_sel:WORD_1 dst_unused:UNUSED_PAD src0_sel:BYTE_0 src1_sel:DWORD
	s_waitcnt lgkmcnt(3)
	v_add_nc_u16 v2, v2, v7
	v_or_b32_sdwa v7, v7, v6 dst_sel:DWORD dst_unused:UNUSED_PAD src0_sel:BYTE_0 src1_sel:DWORD
	v_or_b32_sdwa v2, v2, v6 dst_sel:DWORD dst_unused:UNUSED_PAD src0_sel:BYTE_0 src1_sel:DWORD
	v_or_b32_sdwa v6, v7, v5 dst_sel:DWORD dst_unused:UNUSED_PAD src0_sel:WORD_0 src1_sel:DWORD
	v_or_b32_sdwa v2, v2, v5 dst_sel:DWORD dst_unused:UNUSED_PAD src0_sel:WORD_0 src1_sel:DWORD
	v_cndmask_b32_e64 v2, v6, v2, s0
	v_lshrrev_b32_e32 v5, 8, v2
	s_waitcnt lgkmcnt(2)
	v_add_nc_u16 v3, v5, v3
	v_mov_b32_e32 v5, 0xff
	v_lshlrev_b16 v3, 8, v3
	v_or_b32_sdwa v3, v2, v3 dst_sel:DWORD dst_unused:UNUSED_PAD src0_sel:BYTE_0 src1_sel:DWORD
	v_and_b32_e32 v3, 0xffff, v3
	v_and_or_b32 v3, 0xffff0000, v2, v3
	v_cndmask_b32_e64 v2, v2, v3, s1
	v_lshrrev_b32_e32 v3, 16, v2
	s_waitcnt lgkmcnt(1)
	v_add_nc_u16 v3, v3, v9
	v_perm_b32 v3, v3, v2, 0xc0c0304
	v_lshlrev_b32_e32 v3, 16, v3
	v_and_or_b32 v3, 0xffff, v2, v3
	v_cndmask_b32_e64 v2, v2, v3, s2
	v_lshrrev_b32_e32 v3, 24, v2
	s_waitcnt lgkmcnt(0)
	v_add_nc_u16 v1, v3, v1
	v_and_b32_sdwa v3, v2, v5 dst_sel:DWORD dst_unused:UNUSED_PAD src0_sel:WORD_1 src1_sel:DWORD
	v_lshlrev_b16 v1, 8, v1
	v_or_b32_sdwa v1, v3, v1 dst_sel:WORD_1 dst_unused:UNUSED_PAD src0_sel:DWORD src1_sel:DWORD
	v_add_co_u32 v3, s4, s10, v4
	v_add_co_ci_u32_e64 v4, null, s11, 0, s4
	v_and_or_b32 v1, 0xffff, v2, v1
	v_add_co_u32 v0, vcc_lo, v3, v0
	v_cndmask_b32_e64 v2, v2, v1, s3
	v_add_co_ci_u32_e64 v1, null, 0, v4, vcc_lo
	s_and_saveexec_b32 s4, s0
	s_cbranch_execnz .LBB67_83
; %bb.79:
	s_or_b32 exec_lo, exec_lo, s4
	s_and_saveexec_b32 s0, s1
	s_cbranch_execnz .LBB67_84
.LBB67_80:
	s_or_b32 exec_lo, exec_lo, s0
	s_and_saveexec_b32 s0, s2
	s_cbranch_execnz .LBB67_85
.LBB67_81:
	s_or_b32 exec_lo, exec_lo, s0
	s_and_saveexec_b32 s0, s3
	s_cbranch_execnz .LBB67_86
.LBB67_82:
	s_endpgm
.LBB67_83:
	global_store_byte v[0:1], v2, off
	s_or_b32 exec_lo, exec_lo, s4
	s_and_saveexec_b32 s0, s1
	s_cbranch_execz .LBB67_80
.LBB67_84:
	v_lshrrev_b32_e32 v3, 8, v2
	global_store_byte v[0:1], v3, off offset:1
	s_or_b32 exec_lo, exec_lo, s0
	s_and_saveexec_b32 s0, s2
	s_cbranch_execz .LBB67_81
.LBB67_85:
	global_store_byte_d16_hi v[0:1], v2, off offset:2
	s_or_b32 exec_lo, exec_lo, s0
	s_and_saveexec_b32 s0, s3
	s_cbranch_execz .LBB67_82
.LBB67_86:
	v_lshrrev_b32_e32 v2, 24, v2
	global_store_byte v[0:1], v2, off offset:3
	s_endpgm
	.section	.rodata,"a",@progbits
	.p2align	6, 0x0
	.amdhsa_kernel _Z20sort_pairs_segmentedILj256ELj16ELj4EaN10test_utils4lessEEvPKT2_PS2_PKjT3_
		.amdhsa_group_segment_fixed_size 1040
		.amdhsa_private_segment_fixed_size 0
		.amdhsa_kernarg_size 28
		.amdhsa_user_sgpr_count 6
		.amdhsa_user_sgpr_private_segment_buffer 1
		.amdhsa_user_sgpr_dispatch_ptr 0
		.amdhsa_user_sgpr_queue_ptr 0
		.amdhsa_user_sgpr_kernarg_segment_ptr 1
		.amdhsa_user_sgpr_dispatch_id 0
		.amdhsa_user_sgpr_flat_scratch_init 0
		.amdhsa_user_sgpr_private_segment_size 0
		.amdhsa_wavefront_size32 1
		.amdhsa_uses_dynamic_stack 0
		.amdhsa_system_sgpr_private_segment_wavefront_offset 0
		.amdhsa_system_sgpr_workgroup_id_x 1
		.amdhsa_system_sgpr_workgroup_id_y 0
		.amdhsa_system_sgpr_workgroup_id_z 0
		.amdhsa_system_sgpr_workgroup_info 0
		.amdhsa_system_vgpr_workitem_id 0
		.amdhsa_next_free_vgpr 30
		.amdhsa_next_free_sgpr 12
		.amdhsa_reserve_vcc 1
		.amdhsa_reserve_flat_scratch 0
		.amdhsa_float_round_mode_32 0
		.amdhsa_float_round_mode_16_64 0
		.amdhsa_float_denorm_mode_32 3
		.amdhsa_float_denorm_mode_16_64 3
		.amdhsa_dx10_clamp 1
		.amdhsa_ieee_mode 1
		.amdhsa_fp16_overflow 0
		.amdhsa_workgroup_processor_mode 1
		.amdhsa_memory_ordered 1
		.amdhsa_forward_progress 1
		.amdhsa_shared_vgpr_count 0
		.amdhsa_exception_fp_ieee_invalid_op 0
		.amdhsa_exception_fp_denorm_src 0
		.amdhsa_exception_fp_ieee_div_zero 0
		.amdhsa_exception_fp_ieee_overflow 0
		.amdhsa_exception_fp_ieee_underflow 0
		.amdhsa_exception_fp_ieee_inexact 0
		.amdhsa_exception_int_div_zero 0
	.end_amdhsa_kernel
	.section	.text._Z20sort_pairs_segmentedILj256ELj16ELj4EaN10test_utils4lessEEvPKT2_PS2_PKjT3_,"axG",@progbits,_Z20sort_pairs_segmentedILj256ELj16ELj4EaN10test_utils4lessEEvPKT2_PS2_PKjT3_,comdat
.Lfunc_end67:
	.size	_Z20sort_pairs_segmentedILj256ELj16ELj4EaN10test_utils4lessEEvPKT2_PS2_PKjT3_, .Lfunc_end67-_Z20sort_pairs_segmentedILj256ELj16ELj4EaN10test_utils4lessEEvPKT2_PS2_PKjT3_
                                        ; -- End function
	.set _Z20sort_pairs_segmentedILj256ELj16ELj4EaN10test_utils4lessEEvPKT2_PS2_PKjT3_.num_vgpr, 30
	.set _Z20sort_pairs_segmentedILj256ELj16ELj4EaN10test_utils4lessEEvPKT2_PS2_PKjT3_.num_agpr, 0
	.set _Z20sort_pairs_segmentedILj256ELj16ELj4EaN10test_utils4lessEEvPKT2_PS2_PKjT3_.numbered_sgpr, 12
	.set _Z20sort_pairs_segmentedILj256ELj16ELj4EaN10test_utils4lessEEvPKT2_PS2_PKjT3_.num_named_barrier, 0
	.set _Z20sort_pairs_segmentedILj256ELj16ELj4EaN10test_utils4lessEEvPKT2_PS2_PKjT3_.private_seg_size, 0
	.set _Z20sort_pairs_segmentedILj256ELj16ELj4EaN10test_utils4lessEEvPKT2_PS2_PKjT3_.uses_vcc, 1
	.set _Z20sort_pairs_segmentedILj256ELj16ELj4EaN10test_utils4lessEEvPKT2_PS2_PKjT3_.uses_flat_scratch, 0
	.set _Z20sort_pairs_segmentedILj256ELj16ELj4EaN10test_utils4lessEEvPKT2_PS2_PKjT3_.has_dyn_sized_stack, 0
	.set _Z20sort_pairs_segmentedILj256ELj16ELj4EaN10test_utils4lessEEvPKT2_PS2_PKjT3_.has_recursion, 0
	.set _Z20sort_pairs_segmentedILj256ELj16ELj4EaN10test_utils4lessEEvPKT2_PS2_PKjT3_.has_indirect_call, 0
	.section	.AMDGPU.csdata,"",@progbits
; Kernel info:
; codeLenInByte = 4776
; TotalNumSgprs: 14
; NumVgprs: 30
; ScratchSize: 0
; MemoryBound: 0
; FloatMode: 240
; IeeeMode: 1
; LDSByteSize: 1040 bytes/workgroup (compile time only)
; SGPRBlocks: 0
; VGPRBlocks: 3
; NumSGPRsForWavesPerEU: 14
; NumVGPRsForWavesPerEU: 30
; Occupancy: 16
; WaveLimiterHint : 0
; COMPUTE_PGM_RSRC2:SCRATCH_EN: 0
; COMPUTE_PGM_RSRC2:USER_SGPR: 6
; COMPUTE_PGM_RSRC2:TRAP_HANDLER: 0
; COMPUTE_PGM_RSRC2:TGID_X_EN: 1
; COMPUTE_PGM_RSRC2:TGID_Y_EN: 0
; COMPUTE_PGM_RSRC2:TGID_Z_EN: 0
; COMPUTE_PGM_RSRC2:TIDIG_COMP_CNT: 0
	.section	.text._Z9sort_keysILj256ELj16ELj8EaN10test_utils4lessEEvPKT2_PS2_T3_,"axG",@progbits,_Z9sort_keysILj256ELj16ELj8EaN10test_utils4lessEEvPKT2_PS2_T3_,comdat
	.protected	_Z9sort_keysILj256ELj16ELj8EaN10test_utils4lessEEvPKT2_PS2_T3_ ; -- Begin function _Z9sort_keysILj256ELj16ELj8EaN10test_utils4lessEEvPKT2_PS2_T3_
	.globl	_Z9sort_keysILj256ELj16ELj8EaN10test_utils4lessEEvPKT2_PS2_T3_
	.p2align	8
	.type	_Z9sort_keysILj256ELj16ELj8EaN10test_utils4lessEEvPKT2_PS2_T3_,@function
_Z9sort_keysILj256ELj16ELj8EaN10test_utils4lessEEvPKT2_PS2_T3_: ; @_Z9sort_keysILj256ELj16ELj8EaN10test_utils4lessEEvPKT2_PS2_T3_
; %bb.0:
	s_load_dwordx4 s[8:11], s[4:5], 0x0
	s_lshl_b32 s7, s6, 11
	v_lshlrev_b32_e32 v1, 3, v0
	v_mov_b32_e32 v14, 0xff
	v_mov_b32_e32 v15, 0xffffff00
	v_lshrrev_b32_e32 v0, 4, v0
	s_waitcnt lgkmcnt(0)
	s_add_u32 s0, s8, s7
	s_addc_u32 s1, s9, 0
	global_load_dwordx2 v[2:3], v1, s[0:1]
	; wave barrier
	s_waitcnt vmcnt(0)
	v_lshrrev_b32_e32 v4, 8, v2
	v_perm_b32 v5, 0, v2, 0xc0c0001
	v_bfe_i32 v6, v2, 0, 8
	v_lshrrev_b32_e32 v11, 8, v3
	v_bfe_i32 v13, v3, 0, 8
	v_bfe_i32 v4, v4, 0, 8
	v_and_or_b32 v5, 0xffff0000, v2, v5
	v_bfe_i32 v11, v11, 0, 8
	v_cmp_lt_i16_e32 vcc_lo, v4, v6
	v_min_i16 v16, v11, v13
	v_cndmask_b32_e32 v2, v2, v5, vcc_lo
	v_lshrrev_b32_e32 v5, 16, v2
	v_lshrrev_b32_e32 v7, 24, v2
	v_perm_b32 v8, 0, v5, 0xc0c0001
	v_bfe_i32 v7, v7, 0, 8
	v_bfe_i32 v5, v5, 0, 8
	v_lshlrev_b32_e32 v8, 16, v8
	v_min_i16 v9, v7, v5
	v_cmp_lt_i16_e32 vcc_lo, v7, v5
	v_max_i16 v5, v7, v5
	v_and_or_b32 v8, 0xffff, v2, v8
	v_lshlrev_b16 v10, 8, v9
	v_cndmask_b32_e32 v2, v2, v8, vcc_lo
	v_max_i16 v8, v4, v6
	v_min_i16 v4, v4, v6
	v_max_i16 v6, v11, v13
	v_or_b32_sdwa v10, v2, v10 dst_sel:DWORD dst_unused:UNUSED_PAD src0_sel:BYTE_0 src1_sel:DWORD
	v_perm_b32 v12, v8, v2, 0xc0c0304
	v_cmp_lt_i16_e32 vcc_lo, v9, v8
	v_min_i16 v17, v9, v8
	v_max_i16 v8, v9, v8
	v_and_b32_e32 v10, 0xffff, v10
	v_lshl_or_b32 v10, v12, 16, v10
	v_perm_b32 v12, v3, v3, 0x7060405
	v_cndmask_b32_e32 v2, v2, v10, vcc_lo
	v_cmp_lt_i16_e32 vcc_lo, v11, v13
	v_lshlrev_b16 v10, 8, v16
	v_lshlrev_b16 v13, 8, v4
	v_and_b32_sdwa v11, v2, v14 dst_sel:DWORD dst_unused:UNUSED_PAD src0_sel:WORD_1 src1_sel:DWORD
	v_cndmask_b32_e32 v3, v3, v12, vcc_lo
	v_cmp_lt_i16_e32 vcc_lo, v16, v5
	v_or_b32_sdwa v13, v17, v13 dst_sel:DWORD dst_unused:UNUSED_PAD src0_sel:BYTE_0 src1_sel:DWORD
	v_or_b32_sdwa v10, v11, v10 dst_sel:WORD_1 dst_unused:UNUSED_PAD src0_sel:DWORD src1_sel:DWORD
	v_lshrrev_b32_e32 v12, 24, v3
	v_lshrrev_b32_e32 v18, 16, v3
	v_perm_b32 v11, v3, v3, 0x6070504
	v_and_b32_e32 v13, 0xffff, v13
	v_and_or_b32 v7, 0xffff, v2, v10
	v_bfe_i32 v12, v12, 0, 8
	v_bfe_i32 v10, v18, 0, 8
	v_lshlrev_b16 v18, 8, v8
	v_cndmask_b32_e32 v2, v2, v7, vcc_lo
	v_min_i16 v7, v16, v5
	v_cmp_lt_i16_e64 s0, v12, v10
	v_cmp_lt_i16_e64 s1, v7, v8
	v_cndmask_b32_e64 v3, v3, v11, s0
	v_and_or_b32 v11, 0xffff0000, v2, v13
	v_cmp_lt_i16_e64 s0, v9, v4
	v_max_i16 v13, v12, v10
	v_min_i16 v10, v12, v10
	v_or_b32_sdwa v12, v7, v18 dst_sel:WORD_1 dst_unused:UNUSED_PAD src0_sel:BYTE_0 src1_sel:DWORD
	v_perm_b32 v9, v5, v3, 0x3020104
	v_cndmask_b32_e64 v2, v2, v11, s0
	v_min_i16 v11, v7, v8
	v_max_i16 v5, v16, v5
	v_cndmask_b32_e64 v21, v17, v4, s0
	v_cndmask_b32_e32 v3, v3, v9, vcc_lo
	v_and_or_b32 v12, 0xffff, v2, v12
	v_lshlrev_b16 v20, 8, v11
	v_lshlrev_b16 v16, 8, v10
	v_min_i16 v19, v10, v6
	v_and_b32_sdwa v24, v3, v15 dst_sel:DWORD dst_unused:UNUSED_PAD src0_sel:WORD_1 src1_sel:DWORD
	v_cndmask_b32_e64 v2, v2, v12, s1
	v_lshlrev_b16 v12, 8, v5
	v_or_b32_sdwa v16, v3, v16 dst_sel:DWORD dst_unused:UNUSED_PAD src0_sel:BYTE_0 src1_sel:DWORD
	v_cmp_lt_i16_e32 vcc_lo, v11, v21
	v_or_b32_sdwa v24, v6, v24 dst_sel:WORD_1 dst_unused:UNUSED_PAD src0_sel:BYTE_0 src1_sel:DWORD
	v_or_b32_sdwa v20, v2, v20 dst_sel:DWORD dst_unused:UNUSED_PAD src0_sel:BYTE_0 src1_sel:DWORD
	v_perm_b32 v9, v21, v2, 0xc0c0304
	v_or_b32_sdwa v12, v19, v12 dst_sel:DWORD dst_unused:UNUSED_PAD src0_sel:BYTE_0 src1_sel:DWORD
	v_min_i16 v22, v19, v5
	v_max_i16 v18, v10, v6
	v_and_b32_e32 v20, 0xffff, v20
	v_cndmask_b32_e64 v4, v4, v17, s0
	v_max_i16 v7, v7, v8
	v_lshlrev_b16 v25, 8, v22
	v_lshlrev_b16 v23, 8, v18
	v_lshl_or_b32 v9, v9, 16, v20
	v_cmp_gt_i16_e64 s0, v6, v13
	v_max_i16 v8, v19, v5
	v_max_i16 v20, v22, v7
	v_or_b32_sdwa v23, v13, v23 dst_sel:WORD_1 dst_unused:UNUSED_PAD src0_sel:BYTE_0 src1_sel:DWORD
	v_cndmask_b32_e32 v2, v2, v9, vcc_lo
	v_and_b32_e32 v9, 0xffff, v12
	v_or_b32_sdwa v12, v16, v24 dst_sel:DWORD dst_unused:UNUSED_PAD src0_sel:WORD_0 src1_sel:DWORD
	v_cmp_lt_i16_e32 vcc_lo, v10, v6
	v_min_i16 v16, v11, v21
	v_and_b32_sdwa v17, v2, v14 dst_sel:DWORD dst_unused:UNUSED_PAD src0_sel:WORD_1 src1_sel:DWORD
	v_lshlrev_b16 v24, 8, v4
	v_max_i16 v11, v11, v21
	v_cndmask_b32_e32 v3, v3, v12, vcc_lo
	v_cmp_lt_i16_e32 vcc_lo, v19, v5
	v_or_b32_sdwa v12, v17, v25 dst_sel:WORD_1 dst_unused:UNUSED_PAD src0_sel:DWORD src1_sel:DWORD
	v_or_b32_sdwa v17, v16, v24 dst_sel:DWORD dst_unused:UNUSED_PAD src0_sel:BYTE_0 src1_sel:DWORD
	v_min_i16 v10, v22, v7
	v_and_or_b32 v9, 0xffff0000, v3, v9
	v_lshlrev_b16 v5, 8, v11
	v_and_or_b32 v12, 0xffff, v2, v12
	v_and_b32_e32 v17, 0xffff, v17
	v_cmp_lt_i16_e64 s1, v16, v4
	v_cndmask_b32_e32 v3, v3, v9, vcc_lo
	v_cmp_lt_i16_e32 vcc_lo, v22, v7
	v_or_b32_sdwa v5, v10, v5 dst_sel:WORD_1 dst_unused:UNUSED_PAD src0_sel:BYTE_0 src1_sel:DWORD
	v_min_i16 v19, v10, v11
	v_lshlrev_b16 v24, 8, v20
	v_max_i16 v9, v16, v4
	v_cndmask_b32_e32 v2, v2, v12, vcc_lo
	v_and_or_b32 v12, 0xffff, v3, v23
	v_lshlrev_b16 v6, 8, v19
	v_min_i16 v4, v16, v4
	v_min_i16 v16, v19, v9
	v_and_or_b32 v17, 0xffff0000, v2, v17
	v_cndmask_b32_e64 v3, v3, v12, s0
	v_max_i16 v12, v19, v9
	v_cndmask_b32_e64 v2, v2, v17, s1
	v_perm_b32 v7, v7, v3, 0x3020104
	v_cndmask_b32_e64 v17, v18, v13, s0
	v_cndmask_b32_e64 v13, v13, v18, s0
	s_mov_b32 s1, exec_lo
	v_and_or_b32 v5, 0xffff, v2, v5
	v_cndmask_b32_e32 v3, v3, v7, vcc_lo
	v_cmp_lt_i16_e32 vcc_lo, v10, v11
	v_lshlrev_b16 v7, 8, v17
	v_min_i16 v18, v17, v8
	v_and_b32_sdwa v21, v3, v15 dst_sel:DWORD dst_unused:UNUSED_PAD src0_sel:WORD_1 src1_sel:DWORD
	v_cndmask_b32_e32 v2, v2, v5, vcc_lo
	v_or_b32_sdwa v7, v3, v7 dst_sel:DWORD dst_unused:UNUSED_PAD src0_sel:BYTE_0 src1_sel:DWORD
	v_or_b32_sdwa v23, v18, v24 dst_sel:DWORD dst_unused:UNUSED_PAD src0_sel:BYTE_0 src1_sel:DWORD
	v_cmp_lt_i16_e32 vcc_lo, v17, v8
	v_or_b32_sdwa v21, v8, v21 dst_sel:WORD_1 dst_unused:UNUSED_PAD src0_sel:BYTE_0 src1_sel:DWORD
	v_or_b32_sdwa v6, v2, v6 dst_sel:DWORD dst_unused:UNUSED_PAD src0_sel:BYTE_0 src1_sel:DWORD
	v_perm_b32 v22, v9, v2, 0xc0c0304
	v_max_i16 v24, v17, v8
	v_lshlrev_b16 v5, 8, v4
	v_or_b32_sdwa v7, v7, v21 dst_sel:DWORD dst_unused:UNUSED_PAD src0_sel:WORD_0 src1_sel:DWORD
	v_and_b32_e32 v6, 0xffff, v6
	v_min_i16 v21, v18, v20
	v_or_b32_sdwa v5, v16, v5 dst_sel:DWORD dst_unused:UNUSED_PAD src0_sel:BYTE_0 src1_sel:DWORD
	v_cndmask_b32_e32 v3, v3, v7, vcc_lo
	v_lshl_or_b32 v6, v22, 16, v6
	v_and_b32_e32 v22, 0xffff, v23
	v_cmp_lt_i16_e32 vcc_lo, v19, v9
	v_lshlrev_b16 v8, 8, v21
	v_and_b32_e32 v5, 0xffff, v5
	v_and_or_b32 v7, 0xffff0000, v3, v22
	v_cndmask_b32_e32 v2, v2, v6, vcc_lo
	v_lshlrev_b16 v6, 8, v24
	v_cmp_lt_i16_e32 vcc_lo, v18, v20
	v_and_b32_sdwa v9, v2, v14 dst_sel:DWORD dst_unused:UNUSED_PAD src0_sel:WORD_1 src1_sel:DWORD
	v_or_b32_sdwa v6, v13, v6 dst_sel:WORD_1 dst_unused:UNUSED_PAD src0_sel:BYTE_0 src1_sel:DWORD
	v_cndmask_b32_e32 v3, v3, v7, vcc_lo
	v_max_i16 v7, v10, v11
	v_cmp_lt_i16_e32 vcc_lo, v13, v24
	v_or_b32_sdwa v8, v9, v8 dst_sel:WORD_1 dst_unused:UNUSED_PAD src0_sel:DWORD src1_sel:DWORD
	v_max_i16 v11, v13, v24
	v_and_or_b32 v6, 0xffff, v3, v6
	v_lshlrev_b16 v9, 8, v12
	v_max_i16 v10, v18, v20
	v_and_or_b32 v8, 0xffff, v2, v8
	v_cndmask_b32_e32 v3, v3, v6, vcc_lo
	v_cmp_lt_i16_e32 vcc_lo, v21, v7
	v_min_i16 v6, v13, v24
	v_perm_b32 v13, v7, v3, 0x3020104
	v_cndmask_b32_e32 v2, v2, v8, vcc_lo
	v_min_i16 v8, v21, v7
	v_max_i16 v7, v21, v7
	v_lshlrev_b16 v17, 8, v6
	v_cndmask_b32_e32 v3, v3, v13, vcc_lo
	v_and_or_b32 v5, 0xffff0000, v2, v5
	v_cmp_lt_i16_e32 vcc_lo, v19, v4
	v_or_b32_sdwa v9, v8, v9 dst_sel:WORD_1 dst_unused:UNUSED_PAD src0_sel:BYTE_0 src1_sel:DWORD
	v_min_i16 v13, v6, v10
	v_and_b32_sdwa v18, v3, v15 dst_sel:DWORD dst_unused:UNUSED_PAD src0_sel:WORD_1 src1_sel:DWORD
	v_lshlrev_b16 v19, 8, v7
	v_cndmask_b32_e32 v2, v2, v5, vcc_lo
	v_min_i16 v5, v8, v12
	v_or_b32_sdwa v17, v3, v17 dst_sel:DWORD dst_unused:UNUSED_PAD src0_sel:BYTE_0 src1_sel:DWORD
	v_or_b32_sdwa v18, v10, v18 dst_sel:WORD_1 dst_unused:UNUSED_PAD src0_sel:BYTE_0 src1_sel:DWORD
	v_cmp_lt_i16_e64 s0, v8, v12
	v_and_or_b32 v9, 0xffff, v2, v9
	v_lshlrev_b16 v20, 8, v5
	v_cndmask_b32_e32 v4, v16, v4, vcc_lo
	v_or_b32_sdwa v17, v17, v18 dst_sel:DWORD dst_unused:UNUSED_PAD src0_sel:WORD_0 src1_sel:DWORD
	v_cmp_lt_i16_e32 vcc_lo, v6, v10
	v_cndmask_b32_e64 v2, v2, v9, s0
	v_or_b32_sdwa v9, v13, v19 dst_sel:DWORD dst_unused:UNUSED_PAD src0_sel:BYTE_0 src1_sel:DWORD
	v_max_i16 v19, v6, v10
	v_min_i16 v18, v13, v7
	v_cndmask_b32_e32 v3, v3, v17, vcc_lo
	v_or_b32_sdwa v16, v2, v20 dst_sel:DWORD dst_unused:UNUSED_PAD src0_sel:BYTE_0 src1_sel:DWORD
	v_and_b32_e32 v9, 0xffff, v9
	v_perm_b32 v6, v4, v2, 0xc0c0304
	v_lshlrev_b16 v17, 8, v19
	v_cmp_lt_i16_e32 vcc_lo, v13, v7
	v_and_b32_e32 v16, 0xffff, v16
	v_and_or_b32 v9, 0xffff0000, v3, v9
	v_max_i16 v8, v8, v12
	v_max_i16 v13, v13, v7
	v_lshl_or_b32 v6, v6, 16, v16
	v_or_b32_sdwa v16, v11, v17 dst_sel:WORD_1 dst_unused:UNUSED_PAD src0_sel:BYTE_0 src1_sel:DWORD
	v_cndmask_b32_e32 v3, v3, v9, vcc_lo
	v_cmp_lt_i16_e32 vcc_lo, v5, v4
	v_lshlrev_b16 v4, 8, v18
	v_cmp_lt_i16_e64 s0, v18, v8
	v_and_or_b32 v5, 0xffff, v3, v16
	v_cndmask_b32_e32 v2, v2, v6, vcc_lo
	v_cmp_gt_i16_e32 vcc_lo, v10, v11
	v_and_b32_sdwa v6, v2, v14 dst_sel:DWORD dst_unused:UNUSED_PAD src0_sel:WORD_1 src1_sel:DWORD
	v_cndmask_b32_e32 v3, v3, v5, vcc_lo
	v_mbcnt_lo_u32_b32 v5, -1, 0
	v_cndmask_b32_e32 v10, v19, v11, vcc_lo
	v_mov_b32_e32 v11, 0
	v_or_b32_sdwa v4, v6, v4 dst_sel:WORD_1 dst_unused:UNUSED_PAD src0_sel:DWORD src1_sel:DWORD
	v_perm_b32 v6, v8, v3, 0x3020104
	v_mov_b32_e32 v8, 0
	v_cmp_lt_i16_e32 vcc_lo, v10, v13
	v_and_or_b32 v9, 0xffff, v2, v4
	v_lshlrev_b32_e32 v4, 3, v5
	v_cndmask_b32_e64 v14, v3, v6, s0
	v_cndmask_b32_e64 v12, v2, v9, s0
	v_and_b32_e32 v6, 0x70, v4
	v_lshlrev_b16 v2, 8, v10
	v_and_b32_sdwa v3, v14, v15 dst_sel:DWORD dst_unused:UNUSED_PAD src0_sel:WORD_1 src1_sel:DWORD
	v_and_b32_e32 v7, 8, v4
	s_mov_b32 s0, 0
	v_or_b32_e32 v5, 8, v6
	v_or_b32_sdwa v9, v14, v2 dst_sel:DWORD dst_unused:UNUSED_PAD src0_sel:BYTE_0 src1_sel:DWORD
	v_or_b32_sdwa v3, v13, v3 dst_sel:WORD_1 dst_unused:UNUSED_PAD src0_sel:BYTE_0 src1_sel:DWORD
	v_and_b32_e32 v2, 0x78, v4
	v_sub_nc_u32_e32 v15, v5, v6
	v_or_b32_sdwa v16, v9, v3 dst_sel:DWORD dst_unused:UNUSED_PAD src0_sel:WORD_0 src1_sel:DWORD
	v_mad_u32_u24 v3, 0x81, v0, v2
	v_mul_u32_u24_e32 v0, 0x81, v0
	v_min_i32_e32 v9, v7, v15
	v_cndmask_b32_e32 v13, v14, v16, vcc_lo
	ds_write_b64 v3, v[12:13]
	; wave barrier
	v_cmpx_lt_i32_e32 0, v9
	s_cbranch_execz .LBB68_4
; %bb.1:
	v_add_nc_u32_e32 v10, v0, v6
	v_add_nc_u32_e32 v11, v10, v7
	.p2align	6
.LBB68_2:                               ; =>This Inner Loop Header: Depth=1
	v_sub_nc_u32_e32 v12, v9, v8
	v_lshrrev_b32_e32 v12, 1, v12
	v_add_nc_u32_e32 v12, v12, v8
	v_add_nc_u32_e32 v13, v10, v12
	v_xad_u32 v14, v12, -1, v11
	v_add_nc_u32_e32 v15, 1, v12
	ds_read_i8 v13, v13
	ds_read_i8 v14, v14 offset:8
	s_waitcnt lgkmcnt(0)
	v_cmp_lt_i16_e32 vcc_lo, v14, v13
	v_cndmask_b32_e32 v9, v9, v12, vcc_lo
	v_cndmask_b32_e32 v8, v15, v8, vcc_lo
	v_cmp_ge_i32_e32 vcc_lo, v8, v9
	s_or_b32 s0, vcc_lo, s0
	s_andn2_b32 exec_lo, exec_lo, s0
	s_cbranch_execnz .LBB68_2
; %bb.3:
	s_or_b32 exec_lo, exec_lo, s0
	v_mov_b32_e32 v11, v8
.LBB68_4:
	s_or_b32 exec_lo, exec_lo, s1
	v_add_nc_u32_e32 v8, v6, v7
	v_add_nc_u32_e32 v10, v11, v6
	;; [unrolled: 1-line block ×4, first 2 shown]
	v_cmp_lt_i32_e32 vcc_lo, 7, v11
	v_sub_nc_u32_e32 v8, v8, v11
	v_add_nc_u32_e32 v14, v0, v10
	v_sub_nc_u32_e32 v12, v12, v11
	v_add_nc_u32_e32 v13, v0, v8
	ds_read_u8 v8, v14
	ds_read_u8 v9, v13 offset:8
	v_cmp_gt_i32_e64 s1, v6, v12
	s_waitcnt lgkmcnt(1)
	v_bfe_i32 v7, v8, 0, 8
	s_waitcnt lgkmcnt(0)
	v_bfe_i32 v8, v9, 0, 8
                                        ; implicit-def: $vgpr9
	v_cmp_lt_i16_e64 s0, v8, v7
	s_or_b32 s0, vcc_lo, s0
	s_and_b32 s0, s1, s0
	s_xor_b32 s1, s0, -1
	s_and_saveexec_b32 s2, s1
	s_xor_b32 s1, exec_lo, s2
; %bb.5:
	ds_read_u8 v9, v14 offset:1
                                        ; implicit-def: $vgpr13
; %bb.6:
	s_or_saveexec_b32 s1, s1
	v_mov_b32_e32 v11, v8
	s_xor_b32 exec_lo, exec_lo, s1
	s_cbranch_execz .LBB68_8
; %bb.7:
	ds_read_u8 v11, v13 offset:9
	s_waitcnt lgkmcnt(1)
	v_mov_b32_e32 v9, v7
.LBB68_8:
	s_or_b32 exec_lo, exec_lo, s1
	v_add_nc_u32_e32 v13, 1, v10
	v_add_nc_u32_e32 v15, 1, v12
	s_waitcnt lgkmcnt(0)
	v_cmp_lt_i16_sdwa s2, sext(v11), sext(v9) src0_sel:BYTE_0 src1_sel:BYTE_0
	v_cndmask_b32_e64 v14, v13, v10, s0
	v_cndmask_b32_e64 v13, v12, v15, s0
                                        ; implicit-def: $vgpr10
	v_cmp_ge_i32_e32 vcc_lo, v14, v5
	v_cmp_lt_i32_e64 s1, v13, v6
	s_or_b32 s2, vcc_lo, s2
	s_and_b32 s1, s1, s2
	s_xor_b32 s2, s1, -1
	s_and_saveexec_b32 s3, s2
	s_xor_b32 s2, exec_lo, s3
; %bb.9:
	v_add_nc_u32_e32 v10, v0, v14
	ds_read_u8 v10, v10 offset:1
; %bb.10:
	s_or_saveexec_b32 s2, s2
	v_mov_b32_e32 v12, v11
	s_xor_b32 exec_lo, exec_lo, s2
	s_cbranch_execz .LBB68_12
; %bb.11:
	s_waitcnt lgkmcnt(0)
	v_add_nc_u32_e32 v10, v0, v13
	ds_read_u8 v12, v10 offset:1
	v_mov_b32_e32 v10, v9
.LBB68_12:
	s_or_b32 exec_lo, exec_lo, s2
	v_add_nc_u32_e32 v15, 1, v14
	v_add_nc_u32_e32 v17, 1, v13
	s_waitcnt lgkmcnt(0)
	v_cmp_lt_i16_sdwa s3, sext(v12), sext(v10) src0_sel:BYTE_0 src1_sel:BYTE_0
	v_cndmask_b32_e64 v16, v15, v14, s1
	v_cndmask_b32_e64 v15, v13, v17, s1
                                        ; implicit-def: $vgpr13
	v_cmp_ge_i32_e32 vcc_lo, v16, v5
	v_cmp_lt_i32_e64 s2, v15, v6
	s_or_b32 s3, vcc_lo, s3
	s_and_b32 s2, s2, s3
	s_xor_b32 s3, s2, -1
	s_and_saveexec_b32 s4, s3
	s_xor_b32 s3, exec_lo, s4
; %bb.13:
	v_add_nc_u32_e32 v13, v0, v16
	ds_read_u8 v13, v13 offset:1
; %bb.14:
	s_or_saveexec_b32 s3, s3
	v_mov_b32_e32 v14, v12
	s_xor_b32 exec_lo, exec_lo, s3
	s_cbranch_execz .LBB68_16
; %bb.15:
	s_waitcnt lgkmcnt(0)
	v_add_nc_u32_e32 v13, v0, v15
	ds_read_u8 v14, v13 offset:1
	v_mov_b32_e32 v13, v10
.LBB68_16:
	s_or_b32 exec_lo, exec_lo, s3
	v_add_nc_u32_e32 v17, 1, v16
	v_add_nc_u32_e32 v19, 1, v15
	s_waitcnt lgkmcnt(0)
	v_cmp_lt_i16_sdwa s4, sext(v14), sext(v13) src0_sel:BYTE_0 src1_sel:BYTE_0
	v_cndmask_b32_e64 v18, v17, v16, s2
	v_cndmask_b32_e64 v17, v15, v19, s2
                                        ; implicit-def: $vgpr15
	v_cmp_ge_i32_e32 vcc_lo, v18, v5
	v_cmp_lt_i32_e64 s3, v17, v6
	s_or_b32 s4, vcc_lo, s4
	s_and_b32 s3, s3, s4
	s_xor_b32 s4, s3, -1
	s_and_saveexec_b32 s5, s4
	s_xor_b32 s4, exec_lo, s5
; %bb.17:
	v_add_nc_u32_e32 v15, v0, v18
	ds_read_u8 v15, v15 offset:1
; %bb.18:
	s_or_saveexec_b32 s4, s4
	v_mov_b32_e32 v16, v14
	s_xor_b32 exec_lo, exec_lo, s4
	s_cbranch_execz .LBB68_20
; %bb.19:
	s_waitcnt lgkmcnt(0)
	v_add_nc_u32_e32 v15, v0, v17
	ds_read_u8 v16, v15 offset:1
	v_mov_b32_e32 v15, v13
.LBB68_20:
	s_or_b32 exec_lo, exec_lo, s4
	v_add_nc_u32_e32 v19, 1, v18
	v_add_nc_u32_e32 v21, 1, v17
	s_waitcnt lgkmcnt(0)
	v_cmp_lt_i16_sdwa s5, sext(v16), sext(v15) src0_sel:BYTE_0 src1_sel:BYTE_0
	v_cndmask_b32_e64 v20, v19, v18, s3
	v_cndmask_b32_e64 v19, v17, v21, s3
                                        ; implicit-def: $vgpr17
	v_cmp_ge_i32_e32 vcc_lo, v20, v5
	v_cmp_lt_i32_e64 s4, v19, v6
	s_or_b32 s5, vcc_lo, s5
	s_and_b32 s4, s4, s5
	s_xor_b32 s5, s4, -1
	s_and_saveexec_b32 s6, s5
	s_xor_b32 s5, exec_lo, s6
; %bb.21:
	v_add_nc_u32_e32 v17, v0, v20
	ds_read_u8 v17, v17 offset:1
; %bb.22:
	s_or_saveexec_b32 s5, s5
	v_mov_b32_e32 v18, v16
	s_xor_b32 exec_lo, exec_lo, s5
	s_cbranch_execz .LBB68_24
; %bb.23:
	s_waitcnt lgkmcnt(0)
	v_add_nc_u32_e32 v17, v0, v19
	ds_read_u8 v18, v17 offset:1
	v_mov_b32_e32 v17, v15
.LBB68_24:
	s_or_b32 exec_lo, exec_lo, s5
	v_add_nc_u32_e32 v21, 1, v20
	v_add_nc_u32_e32 v23, 1, v19
	s_waitcnt lgkmcnt(0)
	v_cmp_lt_i16_sdwa s6, sext(v18), sext(v17) src0_sel:BYTE_0 src1_sel:BYTE_0
	v_cndmask_b32_e64 v22, v21, v20, s4
	v_cndmask_b32_e64 v20, v19, v23, s4
                                        ; implicit-def: $vgpr19
	v_cmp_ge_i32_e32 vcc_lo, v22, v5
	v_cmp_lt_i32_e64 s5, v20, v6
	s_or_b32 s6, vcc_lo, s6
	s_and_b32 vcc_lo, s5, s6
	s_xor_b32 s5, vcc_lo, -1
	s_and_saveexec_b32 s6, s5
	s_xor_b32 s5, exec_lo, s6
; %bb.25:
	v_add_nc_u32_e32 v19, v0, v22
	ds_read_u8 v19, v19 offset:1
; %bb.26:
	s_or_saveexec_b32 s5, s5
	v_mov_b32_e32 v21, v18
	s_xor_b32 exec_lo, exec_lo, s5
	s_cbranch_execz .LBB68_28
; %bb.27:
	s_waitcnt lgkmcnt(0)
	v_add_nc_u32_e32 v19, v0, v20
	ds_read_u8 v21, v19 offset:1
	v_mov_b32_e32 v19, v17
.LBB68_28:
	s_or_b32 exec_lo, exec_lo, s5
	v_add_nc_u32_e32 v23, 1, v22
	v_add_nc_u32_e32 v24, 1, v20
	s_waitcnt lgkmcnt(0)
	v_cmp_lt_i16_sdwa s8, sext(v21), sext(v19) src0_sel:BYTE_0 src1_sel:BYTE_0
	v_cndmask_b32_e32 v23, v23, v22, vcc_lo
	v_cndmask_b32_e32 v24, v20, v24, vcc_lo
                                        ; implicit-def: $vgpr20
	v_cmp_ge_i32_e64 s5, v23, v5
	v_cmp_lt_i32_e64 s6, v24, v6
	s_or_b32 s5, s5, s8
	s_and_b32 s5, s6, s5
	s_xor_b32 s6, s5, -1
	s_and_saveexec_b32 s8, s6
	s_xor_b32 s6, exec_lo, s8
; %bb.29:
	v_add_nc_u32_e32 v20, v0, v23
	ds_read_u8 v20, v20 offset:1
; %bb.30:
	s_or_saveexec_b32 s6, s6
	v_mov_b32_e32 v22, v21
	s_xor_b32 exec_lo, exec_lo, s6
	s_cbranch_execz .LBB68_32
; %bb.31:
	s_waitcnt lgkmcnt(0)
	v_add_nc_u32_e32 v20, v0, v24
	ds_read_u8 v22, v20 offset:1
	v_mov_b32_e32 v20, v19
.LBB68_32:
	s_or_b32 exec_lo, exec_lo, s6
	v_add_nc_u32_e32 v26, 1, v23
	v_add_nc_u32_e32 v25, 1, v24
	v_cndmask_b32_e64 v19, v19, v21, s5
	v_cndmask_b32_e64 v9, v9, v11, s1
	;; [unrolled: 1-line block ×5, first 2 shown]
	s_waitcnt lgkmcnt(0)
	v_cmp_lt_i16_sdwa s5, sext(v22), sext(v20) src0_sel:BYTE_0 src1_sel:BYTE_0
	v_cndmask_b32_sdwa v8, v17, v18, vcc_lo dst_sel:BYTE_1 dst_unused:UNUSED_PAD src0_sel:DWORD src1_sel:DWORD
	s_mov_b32 vcc_lo, s3
	v_cmp_ge_i32_e64 s1, v23, v5
	v_cmp_lt_i32_e64 s0, v21, v6
	v_cndmask_b32_sdwa v11, v13, v14, vcc_lo dst_sel:BYTE_1 dst_unused:UNUSED_PAD src0_sel:DWORD src1_sel:DWORD
	v_and_b32_e32 v6, 0x60, v4
	v_lshlrev_b16 v9, 8, v9
	s_or_b32 s1, s1, s5
	v_cndmask_b32_e64 v10, v10, v12, s2
	s_and_b32 vcc_lo, s0, s1
	v_cndmask_b32_e64 v12, v15, v16, s4
	v_cndmask_b32_e32 v13, v20, v22, vcc_lo
	v_or_b32_e32 v5, 16, v6
	v_or_b32_sdwa v14, v7, v9 dst_sel:DWORD dst_unused:UNUSED_PAD src0_sel:BYTE_0 src1_sel:DWORD
	v_or_b32_sdwa v10, v10, v11 dst_sel:WORD_1 dst_unused:UNUSED_PAD src0_sel:BYTE_0 src1_sel:DWORD
	v_and_b32_e32 v7, 24, v4
	v_lshlrev_b16 v9, 8, v13
	v_sub_nc_u32_e32 v11, v5, v6
	v_or_b32_sdwa v12, v12, v8 dst_sel:DWORD dst_unused:UNUSED_PAD src0_sel:BYTE_0 src1_sel:DWORD
	v_or_b32_sdwa v10, v14, v10 dst_sel:DWORD dst_unused:UNUSED_PAD src0_sel:WORD_0 src1_sel:DWORD
	s_mov_b32 s0, exec_lo
	v_or_b32_sdwa v13, v19, v9 dst_sel:WORD_1 dst_unused:UNUSED_PAD src0_sel:BYTE_0 src1_sel:DWORD
	v_sub_nc_u32_e64 v9, v7, 16 clamp
	v_min_i32_e32 v8, v7, v11
	; wave barrier
	v_or_b32_sdwa v11, v12, v13 dst_sel:DWORD dst_unused:UNUSED_PAD src0_sel:WORD_0 src1_sel:DWORD
	ds_write_b64 v3, v[10:11]
	; wave barrier
	v_cmpx_lt_i32_e64 v9, v8
	s_cbranch_execz .LBB68_36
; %bb.33:
	v_add_nc_u32_e32 v10, v0, v6
	s_mov_b32 s1, 0
	v_add_nc_u32_e32 v11, v10, v7
	.p2align	6
.LBB68_34:                              ; =>This Inner Loop Header: Depth=1
	v_sub_nc_u32_e32 v12, v8, v9
	v_lshrrev_b32_e32 v12, 1, v12
	v_add_nc_u32_e32 v12, v12, v9
	v_add_nc_u32_e32 v13, v10, v12
	v_xad_u32 v14, v12, -1, v11
	v_add_nc_u32_e32 v15, 1, v12
	ds_read_i8 v13, v13
	ds_read_i8 v14, v14 offset:16
	s_waitcnt lgkmcnt(0)
	v_cmp_lt_i16_e32 vcc_lo, v14, v13
	v_cndmask_b32_e32 v8, v8, v12, vcc_lo
	v_cndmask_b32_e32 v9, v15, v9, vcc_lo
	v_cmp_ge_i32_e32 vcc_lo, v9, v8
	s_or_b32 s1, vcc_lo, s1
	s_andn2_b32 exec_lo, exec_lo, s1
	s_cbranch_execnz .LBB68_34
; %bb.35:
	s_or_b32 exec_lo, exec_lo, s1
.LBB68_36:
	s_or_b32 exec_lo, exec_lo, s0
	v_add_nc_u32_e32 v8, v6, v7
	v_add_nc_u32_e32 v10, v9, v6
	;; [unrolled: 1-line block ×4, first 2 shown]
	v_cmp_lt_i32_e32 vcc_lo, 15, v9
	v_sub_nc_u32_e32 v8, v8, v9
	v_add_nc_u32_e32 v11, v0, v10
	v_add_nc_u32_e32 v13, v0, v8
	ds_read_u8 v8, v11
	ds_read_u8 v12, v13 offset:16
	s_waitcnt lgkmcnt(1)
	v_bfe_i32 v7, v8, 0, 8
	s_waitcnt lgkmcnt(0)
	v_bfe_i32 v8, v12, 0, 8
	v_sub_nc_u32_e32 v12, v14, v9
                                        ; implicit-def: $vgpr9
	v_cmp_lt_i16_e64 s0, v8, v7
	v_cmp_gt_i32_e64 s1, v6, v12
	s_or_b32 s0, vcc_lo, s0
	s_and_b32 s0, s1, s0
	s_xor_b32 s1, s0, -1
	s_and_saveexec_b32 s2, s1
	s_xor_b32 s1, exec_lo, s2
; %bb.37:
	ds_read_u8 v9, v11 offset:1
                                        ; implicit-def: $vgpr13
; %bb.38:
	s_or_saveexec_b32 s1, s1
	v_mov_b32_e32 v11, v8
	s_xor_b32 exec_lo, exec_lo, s1
	s_cbranch_execz .LBB68_40
; %bb.39:
	ds_read_u8 v11, v13 offset:17
	s_waitcnt lgkmcnt(1)
	v_mov_b32_e32 v9, v7
.LBB68_40:
	s_or_b32 exec_lo, exec_lo, s1
	v_add_nc_u32_e32 v13, 1, v10
	v_add_nc_u32_e32 v15, 1, v12
	s_waitcnt lgkmcnt(0)
	v_cmp_lt_i16_sdwa s2, sext(v11), sext(v9) src0_sel:BYTE_0 src1_sel:BYTE_0
	v_cndmask_b32_e64 v14, v13, v10, s0
	v_cndmask_b32_e64 v13, v12, v15, s0
                                        ; implicit-def: $vgpr10
	v_cmp_ge_i32_e32 vcc_lo, v14, v5
	v_cmp_lt_i32_e64 s1, v13, v6
	s_or_b32 s2, vcc_lo, s2
	s_and_b32 s1, s1, s2
	s_xor_b32 s2, s1, -1
	s_and_saveexec_b32 s3, s2
	s_xor_b32 s2, exec_lo, s3
; %bb.41:
	v_add_nc_u32_e32 v10, v0, v14
	ds_read_u8 v10, v10 offset:1
; %bb.42:
	s_or_saveexec_b32 s2, s2
	v_mov_b32_e32 v12, v11
	s_xor_b32 exec_lo, exec_lo, s2
	s_cbranch_execz .LBB68_44
; %bb.43:
	s_waitcnt lgkmcnt(0)
	v_add_nc_u32_e32 v10, v0, v13
	ds_read_u8 v12, v10 offset:1
	v_mov_b32_e32 v10, v9
.LBB68_44:
	s_or_b32 exec_lo, exec_lo, s2
	v_add_nc_u32_e32 v15, 1, v14
	v_add_nc_u32_e32 v17, 1, v13
	s_waitcnt lgkmcnt(0)
	v_cmp_lt_i16_sdwa s3, sext(v12), sext(v10) src0_sel:BYTE_0 src1_sel:BYTE_0
	v_cndmask_b32_e64 v16, v15, v14, s1
	v_cndmask_b32_e64 v15, v13, v17, s1
                                        ; implicit-def: $vgpr13
	v_cmp_ge_i32_e32 vcc_lo, v16, v5
	v_cmp_lt_i32_e64 s2, v15, v6
	s_or_b32 s3, vcc_lo, s3
	s_and_b32 s2, s2, s3
	s_xor_b32 s3, s2, -1
	s_and_saveexec_b32 s4, s3
	s_xor_b32 s3, exec_lo, s4
; %bb.45:
	v_add_nc_u32_e32 v13, v0, v16
	ds_read_u8 v13, v13 offset:1
; %bb.46:
	s_or_saveexec_b32 s3, s3
	v_mov_b32_e32 v14, v12
	s_xor_b32 exec_lo, exec_lo, s3
	s_cbranch_execz .LBB68_48
; %bb.47:
	s_waitcnt lgkmcnt(0)
	v_add_nc_u32_e32 v13, v0, v15
	ds_read_u8 v14, v13 offset:1
	v_mov_b32_e32 v13, v10
.LBB68_48:
	s_or_b32 exec_lo, exec_lo, s3
	v_add_nc_u32_e32 v17, 1, v16
	v_add_nc_u32_e32 v19, 1, v15
	s_waitcnt lgkmcnt(0)
	v_cmp_lt_i16_sdwa s4, sext(v14), sext(v13) src0_sel:BYTE_0 src1_sel:BYTE_0
	v_cndmask_b32_e64 v18, v17, v16, s2
	v_cndmask_b32_e64 v17, v15, v19, s2
                                        ; implicit-def: $vgpr15
	v_cmp_ge_i32_e32 vcc_lo, v18, v5
	v_cmp_lt_i32_e64 s3, v17, v6
	s_or_b32 s4, vcc_lo, s4
	s_and_b32 s3, s3, s4
	s_xor_b32 s4, s3, -1
	s_and_saveexec_b32 s5, s4
	s_xor_b32 s4, exec_lo, s5
; %bb.49:
	v_add_nc_u32_e32 v15, v0, v18
	ds_read_u8 v15, v15 offset:1
; %bb.50:
	s_or_saveexec_b32 s4, s4
	v_mov_b32_e32 v16, v14
	s_xor_b32 exec_lo, exec_lo, s4
	s_cbranch_execz .LBB68_52
; %bb.51:
	s_waitcnt lgkmcnt(0)
	v_add_nc_u32_e32 v15, v0, v17
	ds_read_u8 v16, v15 offset:1
	v_mov_b32_e32 v15, v13
.LBB68_52:
	s_or_b32 exec_lo, exec_lo, s4
	v_add_nc_u32_e32 v19, 1, v18
	v_add_nc_u32_e32 v21, 1, v17
	s_waitcnt lgkmcnt(0)
	v_cmp_lt_i16_sdwa s5, sext(v16), sext(v15) src0_sel:BYTE_0 src1_sel:BYTE_0
	v_cndmask_b32_e64 v20, v19, v18, s3
	v_cndmask_b32_e64 v19, v17, v21, s3
                                        ; implicit-def: $vgpr17
	v_cmp_ge_i32_e32 vcc_lo, v20, v5
	v_cmp_lt_i32_e64 s4, v19, v6
	s_or_b32 s5, vcc_lo, s5
	s_and_b32 s4, s4, s5
	s_xor_b32 s5, s4, -1
	s_and_saveexec_b32 s6, s5
	s_xor_b32 s5, exec_lo, s6
; %bb.53:
	v_add_nc_u32_e32 v17, v0, v20
	ds_read_u8 v17, v17 offset:1
; %bb.54:
	s_or_saveexec_b32 s5, s5
	v_mov_b32_e32 v18, v16
	s_xor_b32 exec_lo, exec_lo, s5
	s_cbranch_execz .LBB68_56
; %bb.55:
	s_waitcnt lgkmcnt(0)
	v_add_nc_u32_e32 v17, v0, v19
	ds_read_u8 v18, v17 offset:1
	v_mov_b32_e32 v17, v15
.LBB68_56:
	s_or_b32 exec_lo, exec_lo, s5
	v_add_nc_u32_e32 v21, 1, v20
	v_add_nc_u32_e32 v23, 1, v19
	s_waitcnt lgkmcnt(0)
	v_cmp_lt_i16_sdwa s6, sext(v18), sext(v17) src0_sel:BYTE_0 src1_sel:BYTE_0
	v_cndmask_b32_e64 v22, v21, v20, s4
	v_cndmask_b32_e64 v20, v19, v23, s4
                                        ; implicit-def: $vgpr19
	v_cmp_ge_i32_e32 vcc_lo, v22, v5
	v_cmp_lt_i32_e64 s5, v20, v6
	s_or_b32 s6, vcc_lo, s6
	s_and_b32 vcc_lo, s5, s6
	s_xor_b32 s5, vcc_lo, -1
	s_and_saveexec_b32 s6, s5
	s_xor_b32 s5, exec_lo, s6
; %bb.57:
	v_add_nc_u32_e32 v19, v0, v22
	ds_read_u8 v19, v19 offset:1
; %bb.58:
	s_or_saveexec_b32 s5, s5
	v_mov_b32_e32 v21, v18
	s_xor_b32 exec_lo, exec_lo, s5
	s_cbranch_execz .LBB68_60
; %bb.59:
	s_waitcnt lgkmcnt(0)
	v_add_nc_u32_e32 v19, v0, v20
	ds_read_u8 v21, v19 offset:1
	v_mov_b32_e32 v19, v17
.LBB68_60:
	s_or_b32 exec_lo, exec_lo, s5
	v_add_nc_u32_e32 v23, 1, v22
	v_add_nc_u32_e32 v24, 1, v20
	s_waitcnt lgkmcnt(0)
	v_cmp_lt_i16_sdwa s8, sext(v21), sext(v19) src0_sel:BYTE_0 src1_sel:BYTE_0
	v_cndmask_b32_e32 v23, v23, v22, vcc_lo
	v_cndmask_b32_e32 v24, v20, v24, vcc_lo
                                        ; implicit-def: $vgpr20
	v_cmp_ge_i32_e64 s5, v23, v5
	v_cmp_lt_i32_e64 s6, v24, v6
	s_or_b32 s5, s5, s8
	s_and_b32 s5, s6, s5
	s_xor_b32 s6, s5, -1
	s_and_saveexec_b32 s8, s6
	s_xor_b32 s6, exec_lo, s8
; %bb.61:
	v_add_nc_u32_e32 v20, v0, v23
	ds_read_u8 v20, v20 offset:1
; %bb.62:
	s_or_saveexec_b32 s6, s6
	v_mov_b32_e32 v22, v21
	s_xor_b32 exec_lo, exec_lo, s6
	s_cbranch_execz .LBB68_64
; %bb.63:
	s_waitcnt lgkmcnt(0)
	v_add_nc_u32_e32 v20, v0, v24
	ds_read_u8 v22, v20 offset:1
	v_mov_b32_e32 v20, v19
.LBB68_64:
	s_or_b32 exec_lo, exec_lo, s6
	v_add_nc_u32_e32 v26, 1, v23
	v_add_nc_u32_e32 v25, 1, v24
	v_cndmask_b32_e64 v19, v19, v21, s5
	v_cndmask_b32_e64 v9, v9, v11, s1
	;; [unrolled: 1-line block ×5, first 2 shown]
	s_waitcnt lgkmcnt(0)
	v_cmp_lt_i16_sdwa s5, sext(v22), sext(v20) src0_sel:BYTE_0 src1_sel:BYTE_0
	v_cndmask_b32_sdwa v11, v17, v18, vcc_lo dst_sel:BYTE_1 dst_unused:UNUSED_PAD src0_sel:DWORD src1_sel:DWORD
	s_mov_b32 vcc_lo, s3
	v_cmp_ge_i32_e64 s1, v23, v5
	v_cmp_lt_i32_e64 s0, v21, v6
	v_cndmask_b32_sdwa v6, v13, v14, vcc_lo dst_sel:BYTE_1 dst_unused:UNUSED_PAD src0_sel:DWORD src1_sel:DWORD
	v_and_b32_e32 v7, 64, v4
	v_lshlrev_b16 v9, 8, v9
	s_or_b32 s1, s1, s5
	v_cndmask_b32_e64 v10, v10, v12, s2
	s_and_b32 vcc_lo, s0, s1
	v_cndmask_b32_e64 v12, v15, v16, s4
	v_cndmask_b32_e32 v13, v20, v22, vcc_lo
	v_or_b32_e32 v5, 32, v7
	v_or_b32_sdwa v9, v8, v9 dst_sel:DWORD dst_unused:UNUSED_PAD src0_sel:BYTE_0 src1_sel:DWORD
	v_or_b32_sdwa v10, v10, v6 dst_sel:WORD_1 dst_unused:UNUSED_PAD src0_sel:BYTE_0 src1_sel:DWORD
	v_and_b32_e32 v4, 56, v4
	v_lshlrev_b16 v8, 8, v13
	v_sub_nc_u32_e32 v6, v5, v7
	v_or_b32_sdwa v11, v12, v11 dst_sel:DWORD dst_unused:UNUSED_PAD src0_sel:BYTE_0 src1_sel:DWORD
	v_or_b32_sdwa v9, v9, v10 dst_sel:DWORD dst_unused:UNUSED_PAD src0_sel:WORD_0 src1_sel:DWORD
	s_mov_b32 s0, exec_lo
	v_or_b32_sdwa v12, v19, v8 dst_sel:WORD_1 dst_unused:UNUSED_PAD src0_sel:BYTE_0 src1_sel:DWORD
	v_sub_nc_u32_e64 v8, v4, 32 clamp
	v_min_i32_e32 v6, v4, v6
	; wave barrier
	v_or_b32_sdwa v10, v11, v12 dst_sel:DWORD dst_unused:UNUSED_PAD src0_sel:WORD_0 src1_sel:DWORD
	ds_write_b64 v3, v[9:10]
	; wave barrier
	v_cmpx_lt_i32_e64 v8, v6
	s_cbranch_execz .LBB68_68
; %bb.65:
	v_add_nc_u32_e32 v9, v0, v7
	s_mov_b32 s1, 0
	v_add_nc_u32_e32 v10, v9, v4
	.p2align	6
.LBB68_66:                              ; =>This Inner Loop Header: Depth=1
	v_sub_nc_u32_e32 v11, v6, v8
	v_lshrrev_b32_e32 v11, 1, v11
	v_add_nc_u32_e32 v11, v11, v8
	v_add_nc_u32_e32 v12, v9, v11
	v_xad_u32 v13, v11, -1, v10
	v_add_nc_u32_e32 v14, 1, v11
	ds_read_i8 v12, v12
	ds_read_i8 v13, v13 offset:32
	s_waitcnt lgkmcnt(0)
	v_cmp_lt_i16_e32 vcc_lo, v13, v12
	v_cndmask_b32_e32 v6, v6, v11, vcc_lo
	v_cndmask_b32_e32 v8, v14, v8, vcc_lo
	v_cmp_ge_i32_e32 vcc_lo, v8, v6
	s_or_b32 s1, vcc_lo, s1
	s_andn2_b32 exec_lo, exec_lo, s1
	s_cbranch_execnz .LBB68_66
; %bb.67:
	s_or_b32 exec_lo, exec_lo, s1
.LBB68_68:
	s_or_b32 exec_lo, exec_lo, s0
	v_add_nc_u32_e32 v6, v7, v4
	v_add_nc_u32_e32 v10, v8, v7
	;; [unrolled: 1-line block ×4, first 2 shown]
	v_cmp_lt_i32_e32 vcc_lo, 31, v8
	v_sub_nc_u32_e32 v6, v6, v8
	v_add_nc_u32_e32 v9, v0, v10
	v_add_nc_u32_e32 v12, v0, v6
	ds_read_u8 v6, v9
	ds_read_u8 v11, v12 offset:32
	s_waitcnt lgkmcnt(1)
	v_bfe_i32 v4, v6, 0, 8
	s_waitcnt lgkmcnt(0)
	v_bfe_i32 v6, v11, 0, 8
	v_sub_nc_u32_e32 v11, v13, v8
                                        ; implicit-def: $vgpr8
	v_cmp_lt_i16_e64 s0, v6, v4
	v_cmp_gt_i32_e64 s1, v7, v11
	s_or_b32 s0, vcc_lo, s0
	s_and_b32 s0, s1, s0
	s_xor_b32 s1, s0, -1
	s_and_saveexec_b32 s2, s1
	s_xor_b32 s1, exec_lo, s2
; %bb.69:
	ds_read_u8 v8, v9 offset:1
                                        ; implicit-def: $vgpr12
; %bb.70:
	s_or_saveexec_b32 s1, s1
	v_mov_b32_e32 v9, v6
	s_xor_b32 exec_lo, exec_lo, s1
	s_cbranch_execz .LBB68_72
; %bb.71:
	ds_read_u8 v9, v12 offset:33
	s_waitcnt lgkmcnt(1)
	v_mov_b32_e32 v8, v4
.LBB68_72:
	s_or_b32 exec_lo, exec_lo, s1
	v_add_nc_u32_e32 v12, 1, v10
	v_add_nc_u32_e32 v14, 1, v11
	s_waitcnt lgkmcnt(0)
	v_cmp_lt_i16_sdwa s2, sext(v9), sext(v8) src0_sel:BYTE_0 src1_sel:BYTE_0
	v_cndmask_b32_e64 v13, v12, v10, s0
	v_cndmask_b32_e64 v12, v11, v14, s0
                                        ; implicit-def: $vgpr10
	v_cmp_ge_i32_e32 vcc_lo, v13, v5
	v_cmp_lt_i32_e64 s1, v12, v7
	s_or_b32 s2, vcc_lo, s2
	s_and_b32 s1, s1, s2
	s_xor_b32 s2, s1, -1
	s_and_saveexec_b32 s3, s2
	s_xor_b32 s2, exec_lo, s3
; %bb.73:
	v_add_nc_u32_e32 v10, v0, v13
	ds_read_u8 v10, v10 offset:1
; %bb.74:
	s_or_saveexec_b32 s2, s2
	v_mov_b32_e32 v11, v9
	s_xor_b32 exec_lo, exec_lo, s2
	s_cbranch_execz .LBB68_76
; %bb.75:
	s_waitcnt lgkmcnt(0)
	v_add_nc_u32_e32 v10, v0, v12
	ds_read_u8 v11, v10 offset:1
	v_mov_b32_e32 v10, v8
.LBB68_76:
	s_or_b32 exec_lo, exec_lo, s2
	v_add_nc_u32_e32 v14, 1, v13
	v_add_nc_u32_e32 v16, 1, v12
	s_waitcnt lgkmcnt(0)
	v_cmp_lt_i16_sdwa s3, sext(v11), sext(v10) src0_sel:BYTE_0 src1_sel:BYTE_0
	v_cndmask_b32_e64 v15, v14, v13, s1
	v_cndmask_b32_e64 v14, v12, v16, s1
                                        ; implicit-def: $vgpr12
	v_cmp_ge_i32_e32 vcc_lo, v15, v5
	v_cmp_lt_i32_e64 s2, v14, v7
	s_or_b32 s3, vcc_lo, s3
	s_and_b32 s2, s2, s3
	s_xor_b32 s3, s2, -1
	s_and_saveexec_b32 s4, s3
	s_xor_b32 s3, exec_lo, s4
; %bb.77:
	v_add_nc_u32_e32 v12, v0, v15
	ds_read_u8 v12, v12 offset:1
; %bb.78:
	s_or_saveexec_b32 s3, s3
	v_mov_b32_e32 v13, v11
	s_xor_b32 exec_lo, exec_lo, s3
	s_cbranch_execz .LBB68_80
; %bb.79:
	s_waitcnt lgkmcnt(0)
	v_add_nc_u32_e32 v12, v0, v14
	ds_read_u8 v13, v12 offset:1
	v_mov_b32_e32 v12, v10
.LBB68_80:
	s_or_b32 exec_lo, exec_lo, s3
	v_add_nc_u32_e32 v16, 1, v15
	v_add_nc_u32_e32 v18, 1, v14
	s_waitcnt lgkmcnt(0)
	v_cmp_lt_i16_sdwa s4, sext(v13), sext(v12) src0_sel:BYTE_0 src1_sel:BYTE_0
	v_cndmask_b32_e64 v17, v16, v15, s2
	v_cndmask_b32_e64 v16, v14, v18, s2
                                        ; implicit-def: $vgpr14
	v_cmp_ge_i32_e32 vcc_lo, v17, v5
	v_cmp_lt_i32_e64 s3, v16, v7
	s_or_b32 s4, vcc_lo, s4
	s_and_b32 s3, s3, s4
	s_xor_b32 s4, s3, -1
	s_and_saveexec_b32 s5, s4
	s_xor_b32 s4, exec_lo, s5
; %bb.81:
	v_add_nc_u32_e32 v14, v0, v17
	ds_read_u8 v14, v14 offset:1
; %bb.82:
	s_or_saveexec_b32 s4, s4
	v_mov_b32_e32 v15, v13
	s_xor_b32 exec_lo, exec_lo, s4
	s_cbranch_execz .LBB68_84
; %bb.83:
	s_waitcnt lgkmcnt(0)
	v_add_nc_u32_e32 v14, v0, v16
	ds_read_u8 v15, v14 offset:1
	v_mov_b32_e32 v14, v12
.LBB68_84:
	s_or_b32 exec_lo, exec_lo, s4
	v_add_nc_u32_e32 v18, 1, v17
	v_add_nc_u32_e32 v20, 1, v16
	s_waitcnt lgkmcnt(0)
	v_cmp_lt_i16_sdwa s5, sext(v15), sext(v14) src0_sel:BYTE_0 src1_sel:BYTE_0
	v_cndmask_b32_e64 v19, v18, v17, s3
	v_cndmask_b32_e64 v18, v16, v20, s3
                                        ; implicit-def: $vgpr16
	v_cmp_ge_i32_e32 vcc_lo, v19, v5
	v_cmp_lt_i32_e64 s4, v18, v7
	s_or_b32 s5, vcc_lo, s5
	s_and_b32 s4, s4, s5
	s_xor_b32 s5, s4, -1
	s_and_saveexec_b32 s6, s5
	s_xor_b32 s5, exec_lo, s6
; %bb.85:
	v_add_nc_u32_e32 v16, v0, v19
	ds_read_u8 v16, v16 offset:1
; %bb.86:
	s_or_saveexec_b32 s5, s5
	v_mov_b32_e32 v17, v15
	s_xor_b32 exec_lo, exec_lo, s5
	s_cbranch_execz .LBB68_88
; %bb.87:
	s_waitcnt lgkmcnt(0)
	v_add_nc_u32_e32 v16, v0, v18
	ds_read_u8 v17, v16 offset:1
	v_mov_b32_e32 v16, v14
.LBB68_88:
	s_or_b32 exec_lo, exec_lo, s5
	v_add_nc_u32_e32 v20, 1, v19
	v_add_nc_u32_e32 v22, 1, v18
	s_waitcnt lgkmcnt(0)
	v_cmp_lt_i16_sdwa s6, sext(v17), sext(v16) src0_sel:BYTE_0 src1_sel:BYTE_0
	v_cndmask_b32_e64 v21, v20, v19, s4
	v_cndmask_b32_e64 v20, v18, v22, s4
                                        ; implicit-def: $vgpr18
	v_cmp_ge_i32_e32 vcc_lo, v21, v5
	v_cmp_lt_i32_e64 s5, v20, v7
	s_or_b32 s6, vcc_lo, s6
	s_and_b32 vcc_lo, s5, s6
	s_xor_b32 s5, vcc_lo, -1
	s_and_saveexec_b32 s6, s5
	s_xor_b32 s5, exec_lo, s6
; %bb.89:
	v_add_nc_u32_e32 v18, v0, v21
	ds_read_u8 v18, v18 offset:1
; %bb.90:
	s_or_saveexec_b32 s5, s5
	v_mov_b32_e32 v19, v17
	s_xor_b32 exec_lo, exec_lo, s5
	s_cbranch_execz .LBB68_92
; %bb.91:
	s_waitcnt lgkmcnt(0)
	v_add_nc_u32_e32 v18, v0, v20
	ds_read_u8 v19, v18 offset:1
	v_mov_b32_e32 v18, v16
.LBB68_92:
	s_or_b32 exec_lo, exec_lo, s5
	v_add_nc_u32_e32 v22, 1, v21
	v_add_nc_u32_e32 v23, 1, v20
	s_waitcnt lgkmcnt(0)
	v_cmp_lt_i16_sdwa s8, sext(v19), sext(v18) src0_sel:BYTE_0 src1_sel:BYTE_0
	v_cndmask_b32_e32 v22, v22, v21, vcc_lo
	v_cndmask_b32_e32 v21, v20, v23, vcc_lo
                                        ; implicit-def: $vgpr20
	v_cmp_ge_i32_e64 s5, v22, v5
	v_cmp_lt_i32_e64 s6, v21, v7
	s_or_b32 s5, s5, s8
	s_and_b32 s5, s6, s5
	s_xor_b32 s6, s5, -1
	s_and_saveexec_b32 s8, s6
	s_xor_b32 s6, exec_lo, s8
; %bb.93:
	v_add_nc_u32_e32 v20, v0, v22
	ds_read_u8 v20, v20 offset:1
; %bb.94:
	s_or_saveexec_b32 s6, s6
	v_mov_b32_e32 v23, v19
	s_xor_b32 exec_lo, exec_lo, s6
	s_cbranch_execz .LBB68_96
; %bb.95:
	s_waitcnt lgkmcnt(0)
	v_add_nc_u32_e32 v20, v0, v21
	ds_read_u8 v23, v20 offset:1
	v_mov_b32_e32 v20, v18
.LBB68_96:
	s_or_b32 exec_lo, exec_lo, s6
	v_add_nc_u32_e32 v24, 1, v22
	v_add_nc_u32_e32 v25, 1, v21
	v_cndmask_b32_e64 v18, v18, v19, s5
	v_cndmask_b32_e64 v14, v14, v15, s4
	;; [unrolled: 1-line block ×5, first 2 shown]
	s_waitcnt lgkmcnt(0)
	v_cmp_lt_i16_sdwa s5, sext(v23), sext(v20) src0_sel:BYTE_0 src1_sel:BYTE_0
	v_cndmask_b32_sdwa v6, v16, v17, vcc_lo dst_sel:BYTE_1 dst_unused:UNUSED_PAD src0_sel:DWORD src1_sel:DWORD
	v_cmp_ge_i32_e64 s4, v22, v5
	v_cndmask_b32_e64 v5, v10, v11, s2
	v_cmp_lt_i32_e64 s2, v19, v7
	v_cndmask_b32_e64 v7, v8, v9, s1
	v_or_b32_sdwa v10, v14, v6 dst_sel:DWORD dst_unused:UNUSED_PAD src0_sel:BYTE_0 src1_sel:DWORD
	s_or_b32 s0, s4, s5
	v_sub_nc_u32_e64 v6, v2, 64 clamp
	s_and_b32 vcc_lo, s2, s0
	v_lshlrev_b16 v7, 8, v7
	v_cndmask_b32_e32 v8, v20, v23, vcc_lo
	s_mov_b32 vcc_lo, s3
	s_mov_b32 s0, exec_lo
	v_cndmask_b32_sdwa v9, v12, v13, vcc_lo dst_sel:BYTE_1 dst_unused:UNUSED_PAD src0_sel:DWORD src1_sel:DWORD
	v_or_b32_sdwa v7, v4, v7 dst_sel:DWORD dst_unused:UNUSED_PAD src0_sel:BYTE_0 src1_sel:DWORD
	v_lshlrev_b16 v8, 8, v8
	v_min_u32_e32 v4, 64, v2
	; wave barrier
	v_or_b32_sdwa v5, v5, v9 dst_sel:WORD_1 dst_unused:UNUSED_PAD src0_sel:BYTE_0 src1_sel:DWORD
	v_or_b32_sdwa v8, v18, v8 dst_sel:WORD_1 dst_unused:UNUSED_PAD src0_sel:BYTE_0 src1_sel:DWORD
	v_or_b32_sdwa v7, v7, v5 dst_sel:DWORD dst_unused:UNUSED_PAD src0_sel:WORD_0 src1_sel:DWORD
	v_or_b32_sdwa v8, v10, v8 dst_sel:DWORD dst_unused:UNUSED_PAD src0_sel:WORD_0 src1_sel:DWORD
	ds_write_b64 v3, v[7:8]
	; wave barrier
	v_cmpx_lt_u32_e64 v6, v4
	s_cbranch_execz .LBB68_100
; %bb.97:
	s_mov_b32 s1, 0
	.p2align	6
.LBB68_98:                              ; =>This Inner Loop Header: Depth=1
	v_sub_nc_u32_e32 v5, v4, v6
	v_lshrrev_b32_e32 v5, 1, v5
	v_add_nc_u32_e32 v5, v5, v6
	v_add_nc_u32_e32 v7, v0, v5
	v_xad_u32 v8, v5, -1, v3
	v_add_nc_u32_e32 v9, 1, v5
	ds_read_i8 v7, v7
	ds_read_i8 v8, v8 offset:64
	s_waitcnt lgkmcnt(0)
	v_cmp_lt_i16_e32 vcc_lo, v8, v7
	v_cndmask_b32_e32 v4, v4, v5, vcc_lo
	v_cndmask_b32_e32 v6, v9, v6, vcc_lo
	v_cmp_ge_i32_e32 vcc_lo, v6, v4
	s_or_b32 s1, vcc_lo, s1
	s_andn2_b32 exec_lo, exec_lo, s1
	s_cbranch_execnz .LBB68_98
; %bb.99:
	s_or_b32 exec_lo, exec_lo, s1
.LBB68_100:
	s_or_b32 exec_lo, exec_lo, s0
	v_sub_nc_u32_e32 v4, v2, v6
	v_add_nc_u32_e32 v5, v0, v6
	v_cmp_lt_i32_e32 vcc_lo, 63, v6
	v_add_nc_u32_e32 v8, v0, v4
	v_add_nc_u32_e32 v7, 64, v4
                                        ; implicit-def: $vgpr4
	ds_read_u8 v2, v5
	ds_read_u8 v3, v8 offset:64
	v_cmp_gt_i32_e64 s1, 0x80, v7
	s_waitcnt lgkmcnt(1)
	v_bfe_i32 v2, v2, 0, 8
	s_waitcnt lgkmcnt(0)
	v_bfe_i32 v3, v3, 0, 8
	v_cmp_lt_i16_e64 s0, v3, v2
	s_or_b32 s0, vcc_lo, s0
	s_and_b32 s0, s1, s0
	s_xor_b32 s1, s0, -1
	s_and_saveexec_b32 s2, s1
	s_xor_b32 s1, exec_lo, s2
; %bb.101:
	ds_read_u8 v4, v5 offset:1
                                        ; implicit-def: $vgpr8
; %bb.102:
	s_or_saveexec_b32 s1, s1
	v_mov_b32_e32 v5, v3
	s_xor_b32 exec_lo, exec_lo, s1
	s_cbranch_execz .LBB68_104
; %bb.103:
	ds_read_u8 v5, v8 offset:65
	s_waitcnt lgkmcnt(1)
	v_mov_b32_e32 v4, v2
.LBB68_104:
	s_or_b32 exec_lo, exec_lo, s1
	v_add_nc_u32_e32 v8, 1, v6
	v_add_nc_u32_e32 v10, 1, v7
	s_waitcnt lgkmcnt(0)
	v_cmp_lt_i16_sdwa s2, sext(v5), sext(v4) src0_sel:BYTE_0 src1_sel:BYTE_0
	v_cndmask_b32_e64 v9, v8, v6, s0
	v_cndmask_b32_e64 v8, v7, v10, s0
                                        ; implicit-def: $vgpr6
	v_cmp_lt_i32_e32 vcc_lo, 63, v9
	v_cmp_gt_i32_e64 s1, 0x80, v8
	s_or_b32 s2, vcc_lo, s2
	s_and_b32 s1, s1, s2
	s_xor_b32 s2, s1, -1
	s_and_saveexec_b32 s3, s2
	s_xor_b32 s2, exec_lo, s3
; %bb.105:
	v_add_nc_u32_e32 v6, v0, v9
	ds_read_u8 v6, v6 offset:1
; %bb.106:
	s_or_saveexec_b32 s2, s2
	v_mov_b32_e32 v7, v5
	s_xor_b32 exec_lo, exec_lo, s2
	s_cbranch_execz .LBB68_108
; %bb.107:
	s_waitcnt lgkmcnt(0)
	v_add_nc_u32_e32 v6, v0, v8
	ds_read_u8 v7, v6 offset:1
	v_mov_b32_e32 v6, v4
.LBB68_108:
	s_or_b32 exec_lo, exec_lo, s2
	v_add_nc_u32_e32 v10, 1, v9
	v_add_nc_u32_e32 v12, 1, v8
	s_waitcnt lgkmcnt(0)
	v_cmp_lt_i16_sdwa s3, sext(v7), sext(v6) src0_sel:BYTE_0 src1_sel:BYTE_0
	v_cndmask_b32_e64 v11, v10, v9, s1
	v_cndmask_b32_e64 v10, v8, v12, s1
                                        ; implicit-def: $vgpr8
	v_cmp_lt_i32_e32 vcc_lo, 63, v11
	v_cmp_gt_i32_e64 s2, 0x80, v10
	s_or_b32 s3, vcc_lo, s3
	s_and_b32 s2, s2, s3
	s_xor_b32 s3, s2, -1
	s_and_saveexec_b32 s4, s3
	s_xor_b32 s3, exec_lo, s4
; %bb.109:
	v_add_nc_u32_e32 v8, v0, v11
	ds_read_u8 v8, v8 offset:1
; %bb.110:
	s_or_saveexec_b32 s3, s3
	v_mov_b32_e32 v9, v7
	s_xor_b32 exec_lo, exec_lo, s3
	s_cbranch_execz .LBB68_112
; %bb.111:
	s_waitcnt lgkmcnt(0)
	v_add_nc_u32_e32 v8, v0, v10
	ds_read_u8 v9, v8 offset:1
	v_mov_b32_e32 v8, v6
.LBB68_112:
	s_or_b32 exec_lo, exec_lo, s3
	v_add_nc_u32_e32 v12, 1, v11
	v_add_nc_u32_e32 v14, 1, v10
	s_waitcnt lgkmcnt(0)
	v_cmp_lt_i16_sdwa s4, sext(v9), sext(v8) src0_sel:BYTE_0 src1_sel:BYTE_0
	v_cndmask_b32_e64 v13, v12, v11, s2
	v_cndmask_b32_e64 v12, v10, v14, s2
                                        ; implicit-def: $vgpr10
	v_cmp_lt_i32_e32 vcc_lo, 63, v13
	v_cmp_gt_i32_e64 s3, 0x80, v12
	s_or_b32 s4, vcc_lo, s4
	s_and_b32 s3, s3, s4
	s_xor_b32 s4, s3, -1
	s_and_saveexec_b32 s5, s4
	s_xor_b32 s4, exec_lo, s5
; %bb.113:
	v_add_nc_u32_e32 v10, v0, v13
	ds_read_u8 v10, v10 offset:1
; %bb.114:
	s_or_saveexec_b32 s4, s4
	v_mov_b32_e32 v11, v9
	s_xor_b32 exec_lo, exec_lo, s4
	s_cbranch_execz .LBB68_116
; %bb.115:
	s_waitcnt lgkmcnt(0)
	v_add_nc_u32_e32 v10, v0, v12
	ds_read_u8 v11, v10 offset:1
	v_mov_b32_e32 v10, v8
.LBB68_116:
	s_or_b32 exec_lo, exec_lo, s4
	v_add_nc_u32_e32 v14, 1, v13
	v_add_nc_u32_e32 v16, 1, v12
	s_waitcnt lgkmcnt(0)
	v_cmp_lt_i16_sdwa s5, sext(v11), sext(v10) src0_sel:BYTE_0 src1_sel:BYTE_0
	v_cndmask_b32_e64 v15, v14, v13, s3
	v_cndmask_b32_e64 v14, v12, v16, s3
                                        ; implicit-def: $vgpr12
	v_cmp_lt_i32_e32 vcc_lo, 63, v15
	v_cmp_gt_i32_e64 s4, 0x80, v14
	s_or_b32 s5, vcc_lo, s5
	s_and_b32 s4, s4, s5
	s_xor_b32 s5, s4, -1
	s_and_saveexec_b32 s6, s5
	s_xor_b32 s5, exec_lo, s6
; %bb.117:
	v_add_nc_u32_e32 v12, v0, v15
	ds_read_u8 v12, v12 offset:1
; %bb.118:
	s_or_saveexec_b32 s5, s5
	v_mov_b32_e32 v13, v11
	s_xor_b32 exec_lo, exec_lo, s5
	s_cbranch_execz .LBB68_120
; %bb.119:
	s_waitcnt lgkmcnt(0)
	v_add_nc_u32_e32 v12, v0, v14
	ds_read_u8 v13, v12 offset:1
	v_mov_b32_e32 v12, v10
.LBB68_120:
	s_or_b32 exec_lo, exec_lo, s5
	v_add_nc_u32_e32 v16, 1, v15
	v_add_nc_u32_e32 v18, 1, v14
	s_waitcnt lgkmcnt(0)
	v_cmp_lt_i16_sdwa s6, sext(v13), sext(v12) src0_sel:BYTE_0 src1_sel:BYTE_0
	v_cndmask_b32_e64 v17, v16, v15, s4
	v_cndmask_b32_e64 v16, v14, v18, s4
                                        ; implicit-def: $vgpr15
	v_cmp_lt_i32_e32 vcc_lo, 63, v17
	v_cmp_gt_i32_e64 s5, 0x80, v16
	s_or_b32 s6, vcc_lo, s6
	s_and_b32 vcc_lo, s5, s6
	s_xor_b32 s5, vcc_lo, -1
	s_and_saveexec_b32 s6, s5
	s_xor_b32 s5, exec_lo, s6
; %bb.121:
	v_add_nc_u32_e32 v14, v0, v17
	ds_read_u8 v15, v14 offset:1
; %bb.122:
	s_or_saveexec_b32 s5, s5
	v_mov_b32_e32 v14, v13
	s_xor_b32 exec_lo, exec_lo, s5
	s_cbranch_execz .LBB68_124
; %bb.123:
	v_add_nc_u32_e32 v14, v0, v16
	s_waitcnt lgkmcnt(0)
	v_mov_b32_e32 v15, v12
	ds_read_u8 v14, v14 offset:1
.LBB68_124:
	s_or_b32 exec_lo, exec_lo, s5
	v_add_nc_u32_e32 v18, 1, v17
	v_add_nc_u32_e32 v19, 1, v16
	s_waitcnt lgkmcnt(0)
	v_cmp_ge_i16_sdwa s8, sext(v14), sext(v15) src0_sel:BYTE_0 src1_sel:BYTE_0
	v_cndmask_b32_e32 v20, v18, v17, vcc_lo
	v_cndmask_b32_e32 v16, v16, v19, vcc_lo
                                        ; implicit-def: $vgpr18
                                        ; implicit-def: $vgpr19
	v_cmp_gt_i32_e64 s5, 64, v20
	v_cmp_lt_i32_e64 s6, 0x7f, v16
	s_and_b32 s5, s5, s8
	s_or_b32 s5, s6, s5
	s_and_saveexec_b32 s6, s5
	s_xor_b32 s5, exec_lo, s6
; %bb.125:
	v_add_nc_u32_e32 v0, v0, v20
	v_add_nc_u32_e32 v19, 1, v20
                                        ; implicit-def: $vgpr20
	ds_read_u8 v18, v0 offset:1
                                        ; implicit-def: $vgpr0
; %bb.126:
	s_or_saveexec_b32 s5, s5
	v_mov_b32_e32 v17, v15
	s_xor_b32 exec_lo, exec_lo, s5
	s_cbranch_execz .LBB68_128
; %bb.127:
	v_add_nc_u32_e32 v0, v0, v16
	v_add_nc_u32_e32 v16, 1, v16
	v_mov_b32_e32 v17, v14
	v_mov_b32_e32 v19, v20
	s_waitcnt lgkmcnt(0)
	v_mov_b32_e32 v18, v15
	ds_read_u8 v0, v0 offset:1
	s_waitcnt lgkmcnt(0)
	v_mov_b32_e32 v14, v0
.LBB68_128:
	s_or_b32 exec_lo, exec_lo, s5
	v_cmp_lt_i32_e64 s5, 63, v19
	s_waitcnt lgkmcnt(0)
	v_cmp_lt_i16_sdwa s6, sext(v14), sext(v18) src0_sel:BYTE_0 src1_sel:BYTE_0
	v_cndmask_b32_e64 v10, v10, v11, s4
	v_cmp_gt_i32_e64 s4, 0x80, v16
	v_cndmask_b32_sdwa v0, v12, v13, vcc_lo dst_sel:BYTE_1 dst_unused:UNUSED_PAD src0_sel:DWORD src1_sel:DWORD
	s_mov_b32 vcc_lo, s3
	s_or_b32 s5, s5, s6
	v_cndmask_b32_sdwa v8, v8, v9, vcc_lo dst_sel:BYTE_1 dst_unused:UNUSED_PAD src0_sel:DWORD src1_sel:DWORD
	s_and_b32 vcc_lo, s4, s5
	v_cndmask_b32_e64 v2, v2, v3, s0
	v_cndmask_b32_e32 v9, v18, v14, vcc_lo
	s_mov_b32 vcc_lo, s1
	v_cndmask_b32_e64 v3, v6, v7, s2
	v_cndmask_b32_sdwa v4, v4, v5, vcc_lo dst_sel:BYTE_1 dst_unused:UNUSED_PAD src0_sel:DWORD src1_sel:DWORD
	s_add_u32 s0, s10, s7
	v_lshlrev_b16 v5, 8, v9
	s_addc_u32 s1, s11, 0
	v_or_b32_sdwa v3, v3, v8 dst_sel:WORD_1 dst_unused:UNUSED_PAD src0_sel:BYTE_0 src1_sel:DWORD
	v_or_b32_sdwa v2, v2, v4 dst_sel:DWORD dst_unused:UNUSED_PAD src0_sel:BYTE_0 src1_sel:DWORD
	v_or_b32_sdwa v4, v10, v0 dst_sel:DWORD dst_unused:UNUSED_PAD src0_sel:BYTE_0 src1_sel:DWORD
	v_or_b32_sdwa v5, v17, v5 dst_sel:WORD_1 dst_unused:UNUSED_PAD src0_sel:BYTE_0 src1_sel:DWORD
	v_add_co_u32 v0, s0, s0, v1
	v_add_co_ci_u32_e64 v1, null, s1, 0, s0
	v_or_b32_sdwa v2, v2, v3 dst_sel:DWORD dst_unused:UNUSED_PAD src0_sel:WORD_0 src1_sel:DWORD
	v_or_b32_sdwa v3, v4, v5 dst_sel:DWORD dst_unused:UNUSED_PAD src0_sel:WORD_0 src1_sel:DWORD
	global_store_dwordx2 v[0:1], v[2:3], off
	s_endpgm
	.section	.rodata,"a",@progbits
	.p2align	6, 0x0
	.amdhsa_kernel _Z9sort_keysILj256ELj16ELj8EaN10test_utils4lessEEvPKT2_PS2_T3_
		.amdhsa_group_segment_fixed_size 2064
		.amdhsa_private_segment_fixed_size 0
		.amdhsa_kernarg_size 20
		.amdhsa_user_sgpr_count 6
		.amdhsa_user_sgpr_private_segment_buffer 1
		.amdhsa_user_sgpr_dispatch_ptr 0
		.amdhsa_user_sgpr_queue_ptr 0
		.amdhsa_user_sgpr_kernarg_segment_ptr 1
		.amdhsa_user_sgpr_dispatch_id 0
		.amdhsa_user_sgpr_flat_scratch_init 0
		.amdhsa_user_sgpr_private_segment_size 0
		.amdhsa_wavefront_size32 1
		.amdhsa_uses_dynamic_stack 0
		.amdhsa_system_sgpr_private_segment_wavefront_offset 0
		.amdhsa_system_sgpr_workgroup_id_x 1
		.amdhsa_system_sgpr_workgroup_id_y 0
		.amdhsa_system_sgpr_workgroup_id_z 0
		.amdhsa_system_sgpr_workgroup_info 0
		.amdhsa_system_vgpr_workitem_id 0
		.amdhsa_next_free_vgpr 27
		.amdhsa_next_free_sgpr 12
		.amdhsa_reserve_vcc 1
		.amdhsa_reserve_flat_scratch 0
		.amdhsa_float_round_mode_32 0
		.amdhsa_float_round_mode_16_64 0
		.amdhsa_float_denorm_mode_32 3
		.amdhsa_float_denorm_mode_16_64 3
		.amdhsa_dx10_clamp 1
		.amdhsa_ieee_mode 1
		.amdhsa_fp16_overflow 0
		.amdhsa_workgroup_processor_mode 1
		.amdhsa_memory_ordered 1
		.amdhsa_forward_progress 1
		.amdhsa_shared_vgpr_count 0
		.amdhsa_exception_fp_ieee_invalid_op 0
		.amdhsa_exception_fp_denorm_src 0
		.amdhsa_exception_fp_ieee_div_zero 0
		.amdhsa_exception_fp_ieee_overflow 0
		.amdhsa_exception_fp_ieee_underflow 0
		.amdhsa_exception_fp_ieee_inexact 0
		.amdhsa_exception_int_div_zero 0
	.end_amdhsa_kernel
	.section	.text._Z9sort_keysILj256ELj16ELj8EaN10test_utils4lessEEvPKT2_PS2_T3_,"axG",@progbits,_Z9sort_keysILj256ELj16ELj8EaN10test_utils4lessEEvPKT2_PS2_T3_,comdat
.Lfunc_end68:
	.size	_Z9sort_keysILj256ELj16ELj8EaN10test_utils4lessEEvPKT2_PS2_T3_, .Lfunc_end68-_Z9sort_keysILj256ELj16ELj8EaN10test_utils4lessEEvPKT2_PS2_T3_
                                        ; -- End function
	.set _Z9sort_keysILj256ELj16ELj8EaN10test_utils4lessEEvPKT2_PS2_T3_.num_vgpr, 27
	.set _Z9sort_keysILj256ELj16ELj8EaN10test_utils4lessEEvPKT2_PS2_T3_.num_agpr, 0
	.set _Z9sort_keysILj256ELj16ELj8EaN10test_utils4lessEEvPKT2_PS2_T3_.numbered_sgpr, 12
	.set _Z9sort_keysILj256ELj16ELj8EaN10test_utils4lessEEvPKT2_PS2_T3_.num_named_barrier, 0
	.set _Z9sort_keysILj256ELj16ELj8EaN10test_utils4lessEEvPKT2_PS2_T3_.private_seg_size, 0
	.set _Z9sort_keysILj256ELj16ELj8EaN10test_utils4lessEEvPKT2_PS2_T3_.uses_vcc, 1
	.set _Z9sort_keysILj256ELj16ELj8EaN10test_utils4lessEEvPKT2_PS2_T3_.uses_flat_scratch, 0
	.set _Z9sort_keysILj256ELj16ELj8EaN10test_utils4lessEEvPKT2_PS2_T3_.has_dyn_sized_stack, 0
	.set _Z9sort_keysILj256ELj16ELj8EaN10test_utils4lessEEvPKT2_PS2_T3_.has_recursion, 0
	.set _Z9sort_keysILj256ELj16ELj8EaN10test_utils4lessEEvPKT2_PS2_T3_.has_indirect_call, 0
	.section	.AMDGPU.csdata,"",@progbits
; Kernel info:
; codeLenInByte = 6748
; TotalNumSgprs: 14
; NumVgprs: 27
; ScratchSize: 0
; MemoryBound: 0
; FloatMode: 240
; IeeeMode: 1
; LDSByteSize: 2064 bytes/workgroup (compile time only)
; SGPRBlocks: 0
; VGPRBlocks: 3
; NumSGPRsForWavesPerEU: 14
; NumVGPRsForWavesPerEU: 27
; Occupancy: 16
; WaveLimiterHint : 0
; COMPUTE_PGM_RSRC2:SCRATCH_EN: 0
; COMPUTE_PGM_RSRC2:USER_SGPR: 6
; COMPUTE_PGM_RSRC2:TRAP_HANDLER: 0
; COMPUTE_PGM_RSRC2:TGID_X_EN: 1
; COMPUTE_PGM_RSRC2:TGID_Y_EN: 0
; COMPUTE_PGM_RSRC2:TGID_Z_EN: 0
; COMPUTE_PGM_RSRC2:TIDIG_COMP_CNT: 0
	.section	.text._Z10sort_pairsILj256ELj16ELj8EaN10test_utils4lessEEvPKT2_PS2_T3_,"axG",@progbits,_Z10sort_pairsILj256ELj16ELj8EaN10test_utils4lessEEvPKT2_PS2_T3_,comdat
	.protected	_Z10sort_pairsILj256ELj16ELj8EaN10test_utils4lessEEvPKT2_PS2_T3_ ; -- Begin function _Z10sort_pairsILj256ELj16ELj8EaN10test_utils4lessEEvPKT2_PS2_T3_
	.globl	_Z10sort_pairsILj256ELj16ELj8EaN10test_utils4lessEEvPKT2_PS2_T3_
	.p2align	8
	.type	_Z10sort_pairsILj256ELj16ELj8EaN10test_utils4lessEEvPKT2_PS2_T3_,@function
_Z10sort_pairsILj256ELj16ELj8EaN10test_utils4lessEEvPKT2_PS2_T3_: ; @_Z10sort_pairsILj256ELj16ELj8EaN10test_utils4lessEEvPKT2_PS2_T3_
; %bb.0:
	s_load_dwordx4 s[36:39], s[4:5], 0x0
	s_lshl_b32 s40, s6, 11
	v_lshlrev_b32_e32 v3, 3, v0
	v_lshrrev_b32_e32 v0, 4, v0
	s_mov_b32 s28, 0
	s_mov_b32 s29, exec_lo
	s_waitcnt lgkmcnt(0)
	s_add_u32 s0, s36, s40
	s_addc_u32 s1, s37, 0
	global_load_dwordx2 v[1:2], v3, s[0:1]
	; wave barrier
	s_waitcnt vmcnt(0)
	v_lshrrev_b32_e32 v10, 8, v1
	v_lshrrev_b32_e32 v5, 16, v1
	;; [unrolled: 1-line block ×3, first 2 shown]
	v_perm_b32 v13, v2, v2, 0x7060405
	v_lshlrev_b16 v4, 8, v10
	v_perm_b32 v6, 0, v5, 0xc0c0001
	v_lshlrev_b16 v8, 8, v11
	v_or_b32_sdwa v7, v1, v4 dst_sel:DWORD dst_unused:UNUSED_PAD src0_sel:BYTE_0 src1_sel:DWORD
	v_perm_b32 v4, 0, v1, 0xc0c0001
	v_lshlrev_b32_e32 v12, 16, v6
	v_lshrrev_b32_e32 v6, 8, v2
	v_or_b32_sdwa v9, v5, v8 dst_sel:DWORD dst_unused:UNUSED_PAD src0_sel:BYTE_0 src1_sel:DWORD
	v_cmp_lt_i16_sdwa s0, sext(v10), sext(v7) src0_sel:BYTE_0 src1_sel:BYTE_0
	v_cmp_lt_i16_sdwa s1, sext(v6), sext(v2) src0_sel:BYTE_0 src1_sel:BYTE_0
	;; [unrolled: 1-line block ×3, first 2 shown]
	v_cndmask_b32_e64 v4, v1, v4, s0
	v_cndmask_b32_e64 v5, v2, v13, s1
	v_bfi_b32 v1, 0xffff, v4, v1
	v_and_or_b32 v4, 0xffff, v4, v12
	v_mov_b32_e32 v12, 0xff
	v_lshrrev_b32_e32 v8, 16, v5
	v_perm_b32 v13, v5, v5, 0x6070504
	v_cndmask_b32_e64 v1, v1, v4, s2
	v_lshrrev_b32_e32 v4, 24, v5
	v_lshrrev_b32_e32 v14, 16, v1
	;; [unrolled: 1-line block ×3, first 2 shown]
	v_perm_b32 v16, v1, v1, 0x7050604
	v_cmp_lt_i16_sdwa s5, sext(v4), sext(v8) src0_sel:BYTE_0 src1_sel:BYTE_0
	v_cmp_lt_i16_sdwa s7, sext(v14), sext(v15) src0_sel:BYTE_0 src1_sel:BYTE_0
	v_cndmask_b32_e64 v4, v5, v13, s5
	v_cndmask_b32_e64 v1, v1, v16, s7
	v_lshlrev_b16 v5, 8, v4
	v_and_b32_sdwa v8, v1, v12 dst_sel:DWORD dst_unused:UNUSED_PAD src0_sel:WORD_1 src1_sel:DWORD
	v_or_b32_sdwa v5, v8, v5 dst_sel:WORD_1 dst_unused:UNUSED_PAD src0_sel:DWORD src1_sel:DWORD
	v_lshrrev_b32_e32 v8, 24, v1
	v_and_or_b32 v5, 0xffff, v1, v5
	v_cmp_lt_i16_sdwa s3, sext(v4), sext(v8) src0_sel:BYTE_0 src1_sel:BYTE_0
	v_cndmask_b32_e64 v5, v1, v5, s3
	v_perm_b32 v1, v1, v4, 0x3020107
	v_perm_b32 v8, 0, v5, 0xc0c0001
	v_lshrrev_b32_e32 v13, 8, v5
	v_cndmask_b32_e64 v1, v4, v1, s3
	v_and_or_b32 v8, 0xffff0000, v5, v8
	v_cmp_lt_i16_sdwa s8, sext(v13), sext(v5) src0_sel:BYTE_0 src1_sel:BYTE_0
	v_lshrrev_b32_e32 v13, 8, v1
	v_perm_b32 v14, v1, v1, 0x7050604
	v_cndmask_b32_e64 v4, v5, v8, s8
	v_lshrrev_b32_e32 v5, 16, v1
	v_lshrrev_b32_e32 v8, 16, v4
	v_cmp_lt_i16_sdwa s9, sext(v5), sext(v13) src0_sel:BYTE_0 src1_sel:BYTE_0
	v_perm_b32 v15, 0, v8, 0xc0c0001
	v_cndmask_b32_e64 v1, v1, v14, s9
	v_lshlrev_b32_e32 v5, 16, v15
	v_lshrrev_b32_e32 v13, 8, v1
	v_lshrrev_b32_e32 v15, 24, v4
	v_perm_b32 v14, v1, v1, 0x7060405
	v_and_or_b32 v5, 0xffff, v4, v5
	v_cmp_lt_i16_sdwa s11, sext(v13), sext(v1) src0_sel:BYTE_0 src1_sel:BYTE_0
	v_cmp_lt_i16_sdwa s12, sext(v15), sext(v8) src0_sel:BYTE_0 src1_sel:BYTE_0
	v_cndmask_b32_e64 v1, v1, v14, s11
	v_cndmask_b32_e64 v4, v4, v5, s12
	v_lshrrev_b32_e32 v5, 24, v1
	v_lshrrev_b32_e32 v8, 16, v1
	v_lshrrev_b32_e32 v14, 16, v4
	v_lshrrev_b32_e32 v15, 8, v4
	v_perm_b32 v13, v1, v1, 0x6070504
	v_perm_b32 v16, v4, v4, 0x7050604
	v_cmp_lt_i16_sdwa s14, sext(v5), sext(v8) src0_sel:BYTE_0 src1_sel:BYTE_0
	v_cmp_lt_i16_sdwa s15, sext(v14), sext(v15) src0_sel:BYTE_0 src1_sel:BYTE_0
	v_cndmask_b32_e64 v1, v1, v13, s14
	v_cndmask_b32_e64 v4, v4, v16, s15
	v_lshlrev_b16 v5, 8, v1
	v_and_b32_sdwa v8, v4, v12 dst_sel:DWORD dst_unused:UNUSED_PAD src0_sel:WORD_1 src1_sel:DWORD
	v_or_b32_sdwa v5, v8, v5 dst_sel:WORD_1 dst_unused:UNUSED_PAD src0_sel:DWORD src1_sel:DWORD
	v_lshrrev_b32_e32 v8, 24, v4
	v_and_or_b32 v5, 0xffff, v4, v5
	v_cmp_lt_i16_sdwa s13, sext(v1), sext(v8) src0_sel:BYTE_0 src1_sel:BYTE_0
	v_cndmask_b32_e64 v5, v4, v5, s13
	v_perm_b32 v4, v4, v1, 0x3020107
	v_perm_b32 v8, 0, v5, 0xc0c0001
	v_lshrrev_b32_e32 v13, 8, v5
	v_cndmask_b32_e64 v1, v1, v4, s13
	v_and_or_b32 v8, 0xffff0000, v5, v8
	v_cmp_lt_i16_sdwa s17, sext(v13), sext(v5) src0_sel:BYTE_0 src1_sel:BYTE_0
	v_lshrrev_b32_e32 v13, 8, v1
	v_perm_b32 v14, v1, v1, 0x7050604
	v_cndmask_b32_e64 v4, v5, v8, s17
	v_lshrrev_b32_e32 v5, 16, v1
	v_lshrrev_b32_e32 v8, 16, v4
	v_cmp_lt_i16_sdwa s19, sext(v5), sext(v13) src0_sel:BYTE_0 src1_sel:BYTE_0
	v_perm_b32 v15, 0, v8, 0xc0c0001
	v_cndmask_b32_e64 v1, v1, v14, s19
	v_lshlrev_b32_e32 v5, 16, v15
	v_lshrrev_b32_e32 v13, 8, v1
	v_lshrrev_b32_e32 v15, 24, v4
	v_perm_b32 v14, v1, v1, 0x7060405
	v_and_or_b32 v5, 0xffff, v4, v5
	v_cmp_lt_i16_sdwa s21, sext(v13), sext(v1) src0_sel:BYTE_0 src1_sel:BYTE_0
	v_cmp_lt_i16_sdwa s23, sext(v15), sext(v8) src0_sel:BYTE_0 src1_sel:BYTE_0
	v_cndmask_b32_e64 v1, v1, v14, s21
	v_cndmask_b32_e64 v4, v4, v5, s23
	v_lshrrev_b32_e32 v5, 24, v1
	v_lshrrev_b32_e32 v8, 16, v1
	v_lshrrev_b32_e32 v14, 16, v4
	v_lshrrev_b32_e32 v15, 8, v4
	v_perm_b32 v13, v1, v1, 0x6070504
	;; [unrolled: 40-line block ×3, first 2 shown]
	v_perm_b32 v16, v4, v4, 0x7050604
	v_cmp_lt_i16_sdwa s4, sext(v5), sext(v8) src0_sel:BYTE_0 src1_sel:BYTE_0
	v_mbcnt_lo_u32_b32 v5, -1, 0
	v_cmp_lt_i16_sdwa s6, sext(v14), sext(v15) src0_sel:BYTE_0 src1_sel:BYTE_0
	v_mov_b32_e32 v15, 0
	v_cndmask_b32_e64 v1, v1, v13, s4
	v_lshlrev_b32_e32 v5, 3, v5
	v_cndmask_b32_e64 v4, v4, v16, s6
	v_lshlrev_b16 v8, 8, v1
	v_and_b32_e32 v14, 0x70, v5
	v_and_b32_sdwa v13, v4, v12 dst_sel:DWORD dst_unused:UNUSED_PAD src0_sel:WORD_1 src1_sel:DWORD
	v_perm_b32 v16, v4, v1, 0x3020107
	v_or_b32_sdwa v8, v13, v8 dst_sel:WORD_1 dst_unused:UNUSED_PAD src0_sel:DWORD src1_sel:DWORD
	v_lshrrev_b32_e32 v13, 24, v4
	v_and_or_b32 v17, 0xffff, v4, v8
	v_cmp_lt_i16_sdwa s10, sext(v1), sext(v13) src0_sel:BYTE_0 src1_sel:BYTE_0
	v_or_b32_e32 v8, 8, v14
	v_and_b32_e32 v13, 8, v5
	v_cndmask_b32_e64 v19, v1, v16, s10
	v_cndmask_b32_e64 v18, v4, v17, s10
	v_and_b32_e32 v4, 0x78, v5
	v_sub_nc_u32_e32 v17, v8, v14
	v_mov_b32_e32 v16, 0
	v_lshrrev_b32_e32 v20, 16, v19
	v_lshrrev_b32_e32 v21, 8, v19
	v_perm_b32 v22, v19, v19, 0x7050604
	v_mad_u32_u24 v1, 0x81, v0, v4
	v_min_i32_e32 v17, v13, v17
	v_mul_u32_u24_e32 v0, 0x81, v0
	v_cmp_lt_i16_sdwa s16, sext(v20), sext(v21) src0_sel:BYTE_0 src1_sel:BYTE_0
	v_cndmask_b32_e64 v19, v19, v22, s16
	ds_write_b64 v1, v[18:19]
	; wave barrier
	v_cmpx_lt_i32_e32 0, v17
	s_cbranch_execz .LBB69_4
; %bb.1:
	v_add_nc_u32_e32 v16, v0, v14
	v_add_nc_u32_e32 v18, v16, v13
	.p2align	6
.LBB69_2:                               ; =>This Inner Loop Header: Depth=1
	v_sub_nc_u32_e32 v19, v17, v15
	v_lshrrev_b32_e32 v19, 1, v19
	v_add_nc_u32_e32 v19, v19, v15
	v_add_nc_u32_e32 v20, v16, v19
	v_xad_u32 v21, v19, -1, v18
	v_add_nc_u32_e32 v22, 1, v19
	ds_read_i8 v20, v20
	ds_read_i8 v21, v21 offset:8
	s_waitcnt lgkmcnt(0)
	v_cmp_lt_i16_e32 vcc_lo, v21, v20
	v_cndmask_b32_e32 v17, v17, v19, vcc_lo
	v_cndmask_b32_e32 v15, v22, v15, vcc_lo
	v_cmp_ge_i32_e32 vcc_lo, v15, v17
	s_or_b32 s28, vcc_lo, s28
	s_andn2_b32 exec_lo, exec_lo, s28
	s_cbranch_execnz .LBB69_2
; %bb.3:
	s_or_b32 exec_lo, exec_lo, s28
	v_mov_b32_e32 v16, v15
.LBB69_4:
	s_or_b32 exec_lo, exec_lo, s29
	v_and_b32_e32 v29, 0xff, v10
	v_add_nc_u32_e32 v10, v14, v13
	v_and_b32_sdwa v26, v11, v12 dst_sel:BYTE_1 dst_unused:UNUSED_PAD src0_sel:DWORD src1_sel:DWORD
	v_add_nc_u32_e32 v11, v16, v14
	v_mov_b32_e32 v15, 24
	v_add_nc_u32_e32 v19, v8, v13
	v_sub_nc_u32_e32 v10, v10, v16
	v_cmp_lt_i32_e32 vcc_lo, 7, v16
	v_add_nc_u32_e32 v18, v0, v11
	v_lshrrev_b32_sdwa v23, v15, v2 dst_sel:BYTE_1 dst_unused:UNUSED_PAD src0_sel:DWORD src1_sel:DWORD
	v_lshrrev_b32_e32 v27, 16, v2
	v_add_nc_u32_e32 v17, v0, v10
	ds_read_u8 v10, v18
	ds_read_u8 v15, v17 offset:8
	s_waitcnt lgkmcnt(1)
	v_bfe_i32 v12, v10, 0, 8
	s_waitcnt lgkmcnt(0)
	v_bfe_i32 v13, v15, 0, 8
	v_add_nc_u32_e32 v10, 16, v14
	v_sub_nc_u32_e32 v14, v19, v16
                                        ; implicit-def: $vgpr15
	v_cmp_lt_i16_e64 s28, v13, v12
	v_cmp_gt_i32_e64 s29, v10, v14
	s_or_b32 s28, vcc_lo, s28
	s_and_b32 s28, s29, s28
	s_xor_b32 s29, s28, -1
	s_and_saveexec_b32 s30, s29
	s_xor_b32 s29, exec_lo, s30
; %bb.5:
	ds_read_u8 v15, v18 offset:1
                                        ; implicit-def: $vgpr17
; %bb.6:
	s_or_saveexec_b32 s29, s29
	v_mov_b32_e32 v16, v13
	s_xor_b32 exec_lo, exec_lo, s29
	s_cbranch_execz .LBB69_8
; %bb.7:
	ds_read_u8 v16, v17 offset:9
	s_waitcnt lgkmcnt(1)
	v_mov_b32_e32 v15, v12
.LBB69_8:
	s_or_b32 exec_lo, exec_lo, s29
	v_add_nc_u32_e32 v17, 1, v11
	v_add_nc_u32_e32 v18, 1, v14
	s_waitcnt lgkmcnt(0)
	v_cmp_lt_i16_sdwa s30, sext(v16), sext(v15) src0_sel:BYTE_0 src1_sel:BYTE_0
                                        ; implicit-def: $vgpr19
	v_cndmask_b32_e64 v17, v17, v11, s28
	v_cndmask_b32_e64 v18, v14, v18, s28
	v_cmp_ge_i32_e32 vcc_lo, v17, v8
	v_cmp_lt_i32_e64 s29, v18, v10
	s_or_b32 s30, vcc_lo, s30
	s_and_b32 s29, s29, s30
	s_xor_b32 s30, s29, -1
	s_and_saveexec_b32 s31, s30
	s_xor_b32 s30, exec_lo, s31
; %bb.9:
	v_add_nc_u32_e32 v19, v0, v17
	ds_read_u8 v19, v19 offset:1
; %bb.10:
	s_or_saveexec_b32 s30, s30
	v_mov_b32_e32 v20, v16
	s_xor_b32 exec_lo, exec_lo, s30
	s_cbranch_execz .LBB69_12
; %bb.11:
	s_waitcnt lgkmcnt(0)
	v_add_nc_u32_e32 v19, v0, v18
	ds_read_u8 v20, v19 offset:1
	v_mov_b32_e32 v19, v15
.LBB69_12:
	s_or_b32 exec_lo, exec_lo, s30
	v_add_nc_u32_e32 v21, 1, v17
	v_add_nc_u32_e32 v22, 1, v18
	s_waitcnt lgkmcnt(0)
	v_cmp_lt_i16_sdwa s31, sext(v20), sext(v19) src0_sel:BYTE_0 src1_sel:BYTE_0
                                        ; implicit-def: $vgpr24
	v_cndmask_b32_e64 v21, v21, v17, s29
	v_cndmask_b32_e64 v22, v18, v22, s29
	v_cmp_ge_i32_e32 vcc_lo, v21, v8
	v_cmp_lt_i32_e64 s30, v22, v10
	s_or_b32 s31, vcc_lo, s31
	s_and_b32 s30, s30, s31
	s_xor_b32 s31, s30, -1
	s_and_saveexec_b32 s33, s31
	s_xor_b32 s31, exec_lo, s33
; %bb.13:
	v_add_nc_u32_e32 v24, v0, v21
	ds_read_u8 v24, v24 offset:1
; %bb.14:
	s_or_saveexec_b32 s31, s31
	v_mov_b32_e32 v28, v20
	s_xor_b32 exec_lo, exec_lo, s31
	s_cbranch_execz .LBB69_16
; %bb.15:
	s_waitcnt lgkmcnt(0)
	v_add_nc_u32_e32 v24, v0, v22
	ds_read_u8 v28, v24 offset:1
	v_mov_b32_e32 v24, v19
.LBB69_16:
	s_or_b32 exec_lo, exec_lo, s31
	v_add_nc_u32_e32 v25, 1, v21
	v_add_nc_u32_e32 v30, 1, v22
	s_waitcnt lgkmcnt(0)
	v_cmp_lt_i16_sdwa s33, sext(v28), sext(v24) src0_sel:BYTE_0 src1_sel:BYTE_0
                                        ; implicit-def: $vgpr33
	v_cndmask_b32_e64 v31, v25, v21, s30
	v_cndmask_b32_e64 v32, v22, v30, s30
	v_cmp_ge_i32_e32 vcc_lo, v31, v8
	v_cmp_lt_i32_e64 s31, v32, v10
	s_or_b32 s33, vcc_lo, s33
	s_and_b32 s31, s31, s33
	s_xor_b32 s33, s31, -1
	s_and_saveexec_b32 s34, s33
	s_xor_b32 s33, exec_lo, s34
; %bb.17:
	v_add_nc_u32_e32 v25, v0, v31
	ds_read_u8 v33, v25 offset:1
; %bb.18:
	s_or_saveexec_b32 s33, s33
	v_mov_b32_e32 v34, v28
	s_xor_b32 exec_lo, exec_lo, s33
	s_cbranch_execz .LBB69_20
; %bb.19:
	v_add_nc_u32_e32 v25, v0, v32
	s_waitcnt lgkmcnt(0)
	v_mov_b32_e32 v33, v24
	ds_read_u8 v34, v25 offset:1
.LBB69_20:
	s_or_b32 exec_lo, exec_lo, s33
	v_add_nc_u32_e32 v25, 1, v31
	v_add_nc_u32_e32 v30, 1, v32
	s_waitcnt lgkmcnt(0)
	v_cmp_lt_i16_sdwa s34, sext(v34), sext(v33) src0_sel:BYTE_0 src1_sel:BYTE_0
	v_cndmask_b32_e64 v38, v25, v31, s31
	v_cndmask_b32_e64 v39, v32, v30, s31
                                        ; implicit-def: $vgpr25
	v_cmp_ge_i32_e32 vcc_lo, v38, v8
	v_cmp_lt_i32_e64 s33, v39, v10
	s_or_b32 s34, vcc_lo, s34
	s_and_b32 s34, s33, s34
	s_xor_b32 s33, s34, -1
	s_and_saveexec_b32 s35, s33
	s_xor_b32 s33, exec_lo, s35
; %bb.21:
	v_add_nc_u32_e32 v25, v0, v38
	ds_read_u8 v25, v25 offset:1
; %bb.22:
	s_or_saveexec_b32 s33, s33
	v_mov_b32_e32 v30, v34
	s_xor_b32 exec_lo, exec_lo, s33
	s_cbranch_execz .LBB69_24
; %bb.23:
	s_waitcnt lgkmcnt(0)
	v_add_nc_u32_e32 v25, v0, v39
	ds_read_u8 v30, v25 offset:1
	v_mov_b32_e32 v25, v33
.LBB69_24:
	s_or_b32 exec_lo, exec_lo, s33
	v_add_nc_u32_e32 v35, 1, v38
	v_add_nc_u32_e32 v36, 1, v39
	s_waitcnt lgkmcnt(0)
	v_cmp_lt_i16_sdwa s35, sext(v30), sext(v25) src0_sel:BYTE_0 src1_sel:BYTE_0
                                        ; implicit-def: $vgpr43
	v_cndmask_b32_e64 v41, v35, v38, s34
	v_cndmask_b32_e64 v42, v39, v36, s34
	v_cmp_ge_i32_e32 vcc_lo, v41, v8
	v_cmp_lt_i32_e64 s33, v42, v10
	s_or_b32 s35, vcc_lo, s35
	s_and_b32 vcc_lo, s33, s35
	s_xor_b32 s33, vcc_lo, -1
	s_and_saveexec_b32 s35, s33
	s_xor_b32 s33, exec_lo, s35
; %bb.25:
	v_add_nc_u32_e32 v35, v0, v41
	ds_read_u8 v43, v35 offset:1
; %bb.26:
	s_or_saveexec_b32 s33, s33
	v_mov_b32_e32 v44, v30
	s_xor_b32 exec_lo, exec_lo, s33
	s_cbranch_execz .LBB69_28
; %bb.27:
	v_add_nc_u32_e32 v35, v0, v42
	s_waitcnt lgkmcnt(0)
	v_mov_b32_e32 v43, v25
	ds_read_u8 v44, v35 offset:1
.LBB69_28:
	s_or_b32 exec_lo, exec_lo, s33
	v_add_nc_u32_e32 v35, 1, v41
	v_add_nc_u32_e32 v37, 1, v42
	s_waitcnt lgkmcnt(0)
	v_cmp_lt_i16_sdwa s36, sext(v44), sext(v43) src0_sel:BYTE_0 src1_sel:BYTE_0
	v_cndmask_b32_e32 v36, v35, v41, vcc_lo
	v_cndmask_b32_e32 v37, v42, v37, vcc_lo
                                        ; implicit-def: $vgpr35
	v_cmp_ge_i32_e64 s33, v36, v8
	v_cmp_lt_i32_e64 s35, v37, v10
	s_or_b32 s33, s33, s36
	s_and_b32 s33, s35, s33
	s_xor_b32 s35, s33, -1
	s_and_saveexec_b32 s36, s35
	s_xor_b32 s35, exec_lo, s36
; %bb.29:
	v_add_nc_u32_e32 v35, v0, v36
	ds_read_u8 v35, v35 offset:1
; %bb.30:
	s_or_saveexec_b32 s35, s35
	v_mov_b32_e32 v40, v44
	s_xor_b32 exec_lo, exec_lo, s35
	s_cbranch_execz .LBB69_32
; %bb.31:
	s_waitcnt lgkmcnt(0)
	v_add_nc_u32_e32 v35, v0, v37
	ds_read_u8 v40, v35 offset:1
	v_mov_b32_e32 v35, v43
.LBB69_32:
	s_or_b32 exec_lo, exec_lo, s35
	v_add_nc_u16 v9, v9, 1
	v_add_nc_u16 v29, v29, 1
	;; [unrolled: 1-line block ×5, first 2 shown]
	v_or_b32_sdwa v9, v26, v9 dst_sel:DWORD dst_unused:UNUSED_PAD src0_sel:DWORD src1_sel:BYTE_0
	v_lshlrev_b16 v26, 8, v29
	v_lshlrev_b16 v45, 8, v7
	;; [unrolled: 1-line block ×3, first 2 shown]
	v_or_b32_sdwa v23, v23, v27 dst_sel:DWORD dst_unused:UNUSED_PAD src0_sel:DWORD src1_sel:BYTE_0
	v_add_nc_u16 v9, 0x100, v9
	v_or_b32_sdwa v7, v7, v26 dst_sel:DWORD dst_unused:UNUSED_PAD src0_sel:BYTE_0 src1_sel:DWORD
	v_or_b32_sdwa v26, v29, v45 dst_sel:DWORD dst_unused:UNUSED_PAD src0_sel:BYTE_0 src1_sel:DWORD
	v_or_b32_sdwa v2, v6, v2 dst_sel:DWORD dst_unused:UNUSED_PAD src0_sel:DWORD src1_sel:BYTE_0
	v_add_nc_u16 v6, 0x100, v23
	v_cndmask_b32_e64 v33, v33, v34, s34
	v_and_b32_e32 v7, 0xffff, v7
	v_and_b32_e32 v23, 0xffff, v26
	v_lshlrev_b32_e32 v26, 16, v9
	v_add_nc_u16 v2, 0x100, v2
	v_lshlrev_b32_e32 v6, 16, v6
	v_perm_b32 v9, 0, v9, 0xc0c0001
	v_cndmask_b32_e64 v7, v7, v23, s0
	v_mov_b32_e32 v23, 0xff
	v_cndmask_b32_e64 v34, v38, v39, s34
	v_or_b32_sdwa v2, v2, v6 dst_sel:DWORD dst_unused:UNUSED_PAD src0_sel:WORD_0 src1_sel:DWORD
	v_lshlrev_b32_e32 v6, 16, v9
	v_or_b32_e32 v7, v7, v26
	v_cndmask_b32_e64 v16, v15, v16, s29
	v_cndmask_b32_e64 v17, v17, v18, s29
	v_perm_b32 v9, v2, v2, 0x7060405
	v_cndmask_b32_e64 v18, v12, v13, s28
	v_and_or_b32 v6, 0xffff, v7, v6
	v_cndmask_b32_e64 v19, v19, v20, s30
	v_cndmask_b32_e64 v20, v21, v22, s30
	;; [unrolled: 1-line block ×3, first 2 shown]
	v_add_nc_u32_e32 v27, 1, v36
	v_cndmask_b32_e64 v6, v7, v6, s2
	v_cndmask_b32_e32 v41, v41, v42, vcc_lo
	v_cndmask_b32_e64 v11, v11, v14, s28
	v_perm_b32 v7, v2, v2, 0x6070504
	v_cndmask_b32_e64 v13, v27, v36, s33
	v_perm_b32 v9, v6, v6, 0x7050604
	s_waitcnt lgkmcnt(0)
	v_cmp_lt_i16_sdwa s1, sext(v40), sext(v35) src0_sel:BYTE_0 src1_sel:BYTE_0
	v_cndmask_b32_sdwa v14, v25, v30, vcc_lo dst_sel:BYTE_1 dst_unused:UNUSED_PAD src0_sel:DWORD src1_sel:DWORD
	v_cndmask_b32_e64 v2, v2, v7, s5
	v_cmp_ge_i32_e32 vcc_lo, v13, v8
	v_cndmask_b32_e64 v6, v6, v9, s7
	v_cndmask_b32_e64 v24, v24, v28, s31
	;; [unrolled: 1-line block ×3, first 2 shown]
	v_lshlrev_b16 v7, 8, v2
	s_or_b32 s1, vcc_lo, s1
	v_and_b32_sdwa v9, v6, v23 dst_sel:DWORD dst_unused:UNUSED_PAD src0_sel:WORD_1 src1_sel:DWORD
	v_cndmask_b32_e64 v29, v36, v37, s33
	v_add_nc_u32_e32 v11, v0, v11
	v_add_nc_u32_e32 v22, v0, v28
	v_or_b32_sdwa v7, v9, v7 dst_sel:WORD_1 dst_unused:UNUSED_PAD src0_sel:DWORD src1_sel:DWORD
	; wave barrier
	v_lshlrev_b16 v16, 8, v16
	v_cndmask_b32_e64 v26, v43, v44, s33
	v_and_or_b32 v7, 0xffff, v6, v7
	v_cndmask_b32_e64 v7, v6, v7, s3
	v_perm_b32 v6, v6, v2, 0x3020107
	v_perm_b32 v9, 0, v7, 0xc0c0001
	v_cndmask_b32_e64 v2, v2, v6, s3
	v_and_or_b32 v9, 0xffff0000, v7, v9
	v_cndmask_b32_e64 v7, v7, v9, s8
	v_perm_b32 v9, v2, v2, 0x7050604
	v_lshrrev_b32_e32 v6, 16, v7
	v_cndmask_b32_e64 v2, v2, v9, s9
	v_perm_b32 v6, 0, v6, 0xc0c0001
	v_perm_b32 v9, v2, v2, 0x7060405
	v_lshlrev_b32_e32 v6, 16, v6
	v_cndmask_b32_e64 v2, v2, v9, s11
	v_and_or_b32 v6, 0xffff, v7, v6
	v_cndmask_b32_e64 v6, v7, v6, s12
	v_perm_b32 v7, v2, v2, 0x6070504
	v_perm_b32 v9, v6, v6, 0x7050604
	v_cndmask_b32_e64 v2, v2, v7, s14
	v_cndmask_b32_e64 v6, v6, v9, s15
	v_lshlrev_b16 v7, 8, v2
	v_and_b32_sdwa v9, v6, v23 dst_sel:DWORD dst_unused:UNUSED_PAD src0_sel:WORD_1 src1_sel:DWORD
	v_or_b32_sdwa v7, v9, v7 dst_sel:WORD_1 dst_unused:UNUSED_PAD src0_sel:DWORD src1_sel:DWORD
	v_and_or_b32 v7, 0xffff, v6, v7
	v_cndmask_b32_e64 v7, v6, v7, s13
	v_perm_b32 v6, v6, v2, 0x3020107
	v_perm_b32 v9, 0, v7, 0xc0c0001
	v_cndmask_b32_e64 v2, v2, v6, s13
	v_and_or_b32 v9, 0xffff0000, v7, v9
	v_cndmask_b32_e64 v7, v7, v9, s17
	v_perm_b32 v9, v2, v2, 0x7050604
	v_lshrrev_b32_e32 v6, 16, v7
	v_cndmask_b32_e64 v2, v2, v9, s19
	v_perm_b32 v6, 0, v6, 0xc0c0001
	v_perm_b32 v9, v2, v2, 0x7060405
	v_lshlrev_b32_e32 v6, 16, v6
	v_cndmask_b32_e64 v2, v2, v9, s21
	v_and_or_b32 v6, 0xffff, v7, v6
	v_cndmask_b32_e64 v6, v7, v6, s23
	v_perm_b32 v7, v2, v2, 0x6070504
	v_perm_b32 v9, v6, v6, 0x7050604
	v_cndmask_b32_e64 v2, v2, v7, s24
	v_cndmask_b32_e64 v6, v6, v9, s25
	v_lshlrev_b16 v7, 8, v2
	v_and_b32_sdwa v9, v6, v23 dst_sel:DWORD dst_unused:UNUSED_PAD src0_sel:WORD_1 src1_sel:DWORD
	v_or_b32_sdwa v7, v9, v7 dst_sel:WORD_1 dst_unused:UNUSED_PAD src0_sel:DWORD src1_sel:DWORD
	v_and_or_b32 v7, 0xffff, v6, v7
	v_cndmask_b32_e64 v7, v6, v7, s22
	v_perm_b32 v6, v6, v2, 0x3020107
	v_perm_b32 v9, 0, v7, 0xc0c0001
	v_cndmask_b32_e64 v2, v2, v6, s22
	v_and_or_b32 v9, 0xffff0000, v7, v9
	v_perm_b32 v38, v2, v2, 0x7050604
	v_cndmask_b32_e64 v7, v7, v9, s27
	v_cndmask_b32_e64 v2, v2, v38, s26
	v_add_nc_u32_e32 v9, 1, v37
	v_lshrrev_b32_e32 v6, 16, v7
	v_perm_b32 v15, v2, v2, 0x7060405
	v_cndmask_b32_e64 v9, v37, v9, s33
	v_perm_b32 v6, 0, v6, 0xc0c0001
	v_cndmask_b32_e64 v2, v2, v15, s18
	v_cmp_lt_i32_e64 s0, v9, v10
	v_add_nc_u32_e32 v10, v0, v41
	v_and_b32_e32 v15, 0x60, v5
	v_lshlrev_b32_e32 v6, 16, v6
	s_and_b32 vcc_lo, s0, s1
	s_mov_b32 s0, exec_lo
	v_cndmask_b32_e32 v9, v13, v9, vcc_lo
	v_and_or_b32 v6, 0xffff, v7, v6
	v_add_nc_u32_e32 v13, v0, v29
	v_cndmask_b32_e64 v6, v7, v6, s20
	v_perm_b32 v7, v2, v2, 0x6070504
	v_perm_b32 v12, v6, v6, 0x7050604
	v_cndmask_b32_e64 v2, v2, v7, s4
	v_cndmask_b32_e64 v6, v6, v12, s6
	v_add_nc_u32_e32 v12, v0, v17
	v_add_nc_u32_e32 v17, v0, v20
	v_lshlrev_b16 v7, 8, v2
	v_and_b32_sdwa v20, v6, v23 dst_sel:DWORD dst_unused:UNUSED_PAD src0_sel:WORD_1 src1_sel:DWORD
	v_perm_b32 v21, v6, v2, 0x3020107
	v_add_nc_u32_e32 v23, v0, v34
	v_or_b32_sdwa v7, v20, v7 dst_sel:WORD_1 dst_unused:UNUSED_PAD src0_sel:DWORD src1_sel:DWORD
	v_cndmask_b32_e64 v2, v2, v21, s10
	v_lshlrev_b16 v21, 8, v24
	v_add_nc_u32_e32 v24, v0, v9
	v_cndmask_b32_e32 v20, v35, v40, vcc_lo
	v_and_or_b32 v7, 0xffff, v6, v7
	v_perm_b32 v8, v2, v2, 0x7050604
	v_cndmask_b32_e64 v6, v6, v7, s10
	v_cndmask_b32_e64 v7, v2, v8, s16
	ds_write_b64 v1, v[6:7]
	; wave barrier
	ds_read_u8 v2, v11
	ds_read_u8 v6, v12
	;; [unrolled: 1-line block ×8, first 2 shown]
	v_or_b32_e32 v13, 16, v15
	v_or_b32_sdwa v17, v18, v16 dst_sel:DWORD dst_unused:UNUSED_PAD src0_sel:BYTE_0 src1_sel:DWORD
	v_lshlrev_b16 v18, 8, v20
	v_or_b32_sdwa v20, v19, v21 dst_sel:WORD_1 dst_unused:UNUSED_PAD src0_sel:BYTE_0 src1_sel:DWORD
	v_and_b32_e32 v16, 24, v5
	v_sub_nc_u32_e32 v21, v13, v15
	v_or_b32_sdwa v22, v33, v14 dst_sel:DWORD dst_unused:UNUSED_PAD src0_sel:BYTE_0 src1_sel:DWORD
	v_or_b32_sdwa v18, v26, v18 dst_sel:WORD_1 dst_unused:UNUSED_PAD src0_sel:BYTE_0 src1_sel:DWORD
	v_or_b32_sdwa v17, v17, v20 dst_sel:DWORD dst_unused:UNUSED_PAD src0_sel:WORD_0 src1_sel:DWORD
	v_sub_nc_u32_e64 v19, v16, 16 clamp
	v_min_i32_e32 v14, v16, v21
	v_or_b32_sdwa v18, v22, v18 dst_sel:DWORD dst_unused:UNUSED_PAD src0_sel:WORD_0 src1_sel:DWORD
	; wave barrier
	ds_write_b64 v1, v[17:18]
	; wave barrier
	v_cmpx_lt_i32_e64 v19, v14
	s_cbranch_execz .LBB69_36
; %bb.33:
	v_add_nc_u32_e32 v17, v0, v15
	s_mov_b32 s1, 0
	v_add_nc_u32_e32 v18, v17, v16
	.p2align	6
.LBB69_34:                              ; =>This Inner Loop Header: Depth=1
	v_sub_nc_u32_e32 v20, v14, v19
	v_lshrrev_b32_e32 v20, 1, v20
	v_add_nc_u32_e32 v20, v20, v19
	v_add_nc_u32_e32 v21, v17, v20
	v_xad_u32 v22, v20, -1, v18
	v_add_nc_u32_e32 v23, 1, v20
	ds_read_i8 v21, v21
	ds_read_i8 v22, v22 offset:16
	s_waitcnt lgkmcnt(0)
	v_cmp_lt_i16_e32 vcc_lo, v22, v21
	v_cndmask_b32_e32 v14, v14, v20, vcc_lo
	v_cndmask_b32_e32 v19, v23, v19, vcc_lo
	v_cmp_ge_i32_e32 vcc_lo, v19, v14
	s_or_b32 s1, vcc_lo, s1
	s_andn2_b32 exec_lo, exec_lo, s1
	s_cbranch_execnz .LBB69_34
; %bb.35:
	s_or_b32 exec_lo, exec_lo, s1
.LBB69_36:
	s_or_b32 exec_lo, exec_lo, s0
	v_add_nc_u32_e32 v17, v15, v16
	v_add_nc_u32_e32 v14, v19, v15
	;; [unrolled: 1-line block ×4, first 2 shown]
	v_cmp_lt_i32_e32 vcc_lo, 15, v19
	v_sub_nc_u32_e32 v17, v17, v19
	v_add_nc_u32_e32 v20, v0, v14
	v_sub_nc_u32_e32 v16, v16, v19
                                        ; implicit-def: $vgpr19
	v_add_nc_u32_e32 v21, v0, v17
	ds_read_u8 v17, v20
	ds_read_u8 v18, v21 offset:16
	v_cmp_gt_i32_e64 s1, v15, v16
	s_waitcnt lgkmcnt(1)
	v_bfe_i32 v17, v17, 0, 8
	s_waitcnt lgkmcnt(0)
	v_bfe_i32 v18, v18, 0, 8
	v_cmp_lt_i16_e64 s0, v18, v17
	s_or_b32 s0, vcc_lo, s0
	s_and_b32 s0, s1, s0
	s_xor_b32 s1, s0, -1
	s_and_saveexec_b32 s2, s1
	s_xor_b32 s1, exec_lo, s2
; %bb.37:
	ds_read_u8 v19, v20 offset:1
                                        ; implicit-def: $vgpr21
; %bb.38:
	s_or_saveexec_b32 s1, s1
	v_mov_b32_e32 v20, v18
	s_xor_b32 exec_lo, exec_lo, s1
	s_cbranch_execz .LBB69_40
; %bb.39:
	ds_read_u8 v20, v21 offset:17
	s_waitcnt lgkmcnt(1)
	v_mov_b32_e32 v19, v17
.LBB69_40:
	s_or_b32 exec_lo, exec_lo, s1
	v_add_nc_u32_e32 v21, 1, v14
	v_add_nc_u32_e32 v22, 1, v16
	s_waitcnt lgkmcnt(0)
	v_cmp_lt_i16_sdwa s2, sext(v20), sext(v19) src0_sel:BYTE_0 src1_sel:BYTE_0
                                        ; implicit-def: $vgpr23
	v_cndmask_b32_e64 v21, v21, v14, s0
	v_cndmask_b32_e64 v22, v16, v22, s0
	v_cmp_ge_i32_e32 vcc_lo, v21, v13
	v_cmp_lt_i32_e64 s1, v22, v15
	s_or_b32 s2, vcc_lo, s2
	s_and_b32 s1, s1, s2
	s_xor_b32 s2, s1, -1
	s_and_saveexec_b32 s3, s2
	s_xor_b32 s2, exec_lo, s3
; %bb.41:
	v_add_nc_u32_e32 v23, v0, v21
	ds_read_u8 v23, v23 offset:1
; %bb.42:
	s_or_saveexec_b32 s2, s2
	v_mov_b32_e32 v24, v20
	s_xor_b32 exec_lo, exec_lo, s2
	s_cbranch_execz .LBB69_44
; %bb.43:
	s_waitcnt lgkmcnt(0)
	v_add_nc_u32_e32 v23, v0, v22
	ds_read_u8 v24, v23 offset:1
	v_mov_b32_e32 v23, v19
.LBB69_44:
	s_or_b32 exec_lo, exec_lo, s2
	v_add_nc_u32_e32 v25, 1, v21
	v_add_nc_u32_e32 v26, 1, v22
	s_waitcnt lgkmcnt(0)
	v_cmp_lt_i16_sdwa s3, sext(v24), sext(v23) src0_sel:BYTE_0 src1_sel:BYTE_0
                                        ; implicit-def: $vgpr27
	v_cndmask_b32_e64 v25, v25, v21, s1
	v_cndmask_b32_e64 v26, v22, v26, s1
	v_cmp_ge_i32_e32 vcc_lo, v25, v13
	v_cmp_lt_i32_e64 s2, v26, v15
	s_or_b32 s3, vcc_lo, s3
	s_and_b32 s2, s2, s3
	s_xor_b32 s3, s2, -1
	s_and_saveexec_b32 s4, s3
	s_xor_b32 s3, exec_lo, s4
; %bb.45:
	v_add_nc_u32_e32 v27, v0, v25
	ds_read_u8 v27, v27 offset:1
; %bb.46:
	s_or_saveexec_b32 s3, s3
	v_mov_b32_e32 v28, v24
	s_xor_b32 exec_lo, exec_lo, s3
	s_cbranch_execz .LBB69_48
; %bb.47:
	s_waitcnt lgkmcnt(0)
	v_add_nc_u32_e32 v27, v0, v26
	ds_read_u8 v28, v27 offset:1
	v_mov_b32_e32 v27, v23
.LBB69_48:
	s_or_b32 exec_lo, exec_lo, s3
	v_add_nc_u32_e32 v29, 1, v25
	v_add_nc_u32_e32 v30, 1, v26
	s_waitcnt lgkmcnt(0)
	v_cmp_lt_i16_sdwa s4, sext(v28), sext(v27) src0_sel:BYTE_0 src1_sel:BYTE_0
                                        ; implicit-def: $vgpr31
	v_cndmask_b32_e64 v29, v29, v25, s2
	v_cndmask_b32_e64 v30, v26, v30, s2
	v_cmp_ge_i32_e32 vcc_lo, v29, v13
	v_cmp_lt_i32_e64 s3, v30, v15
	s_or_b32 s4, vcc_lo, s4
	s_and_b32 s3, s3, s4
	s_xor_b32 s4, s3, -1
	s_and_saveexec_b32 s5, s4
	s_xor_b32 s4, exec_lo, s5
; %bb.49:
	v_add_nc_u32_e32 v31, v0, v29
	ds_read_u8 v31, v31 offset:1
; %bb.50:
	s_or_saveexec_b32 s4, s4
	v_mov_b32_e32 v32, v28
	s_xor_b32 exec_lo, exec_lo, s4
	s_cbranch_execz .LBB69_52
; %bb.51:
	s_waitcnt lgkmcnt(0)
	v_add_nc_u32_e32 v31, v0, v30
	ds_read_u8 v32, v31 offset:1
	v_mov_b32_e32 v31, v27
.LBB69_52:
	s_or_b32 exec_lo, exec_lo, s4
	v_add_nc_u32_e32 v33, 1, v29
	v_add_nc_u32_e32 v34, 1, v30
	s_waitcnt lgkmcnt(0)
	v_cmp_lt_i16_sdwa s5, sext(v32), sext(v31) src0_sel:BYTE_0 src1_sel:BYTE_0
                                        ; implicit-def: $vgpr35
	v_cndmask_b32_e64 v33, v33, v29, s3
	v_cndmask_b32_e64 v34, v30, v34, s3
	v_cmp_ge_i32_e32 vcc_lo, v33, v13
	v_cmp_lt_i32_e64 s4, v34, v15
	s_or_b32 s5, vcc_lo, s5
	s_and_b32 s4, s4, s5
	s_xor_b32 s5, s4, -1
	s_and_saveexec_b32 s6, s5
	s_xor_b32 s5, exec_lo, s6
; %bb.53:
	v_add_nc_u32_e32 v35, v0, v33
	ds_read_u8 v35, v35 offset:1
; %bb.54:
	s_or_saveexec_b32 s5, s5
	v_mov_b32_e32 v36, v32
	s_xor_b32 exec_lo, exec_lo, s5
	s_cbranch_execz .LBB69_56
; %bb.55:
	s_waitcnt lgkmcnt(0)
	v_add_nc_u32_e32 v35, v0, v34
	ds_read_u8 v36, v35 offset:1
	v_mov_b32_e32 v35, v31
.LBB69_56:
	s_or_b32 exec_lo, exec_lo, s5
	v_add_nc_u32_e32 v37, 1, v33
	v_add_nc_u32_e32 v38, 1, v34
	s_waitcnt lgkmcnt(0)
	v_cmp_lt_i16_sdwa s6, sext(v36), sext(v35) src0_sel:BYTE_0 src1_sel:BYTE_0
                                        ; implicit-def: $vgpr39
	v_cndmask_b32_e64 v37, v37, v33, s4
	v_cndmask_b32_e64 v38, v34, v38, s4
	v_cmp_ge_i32_e32 vcc_lo, v37, v13
	v_cmp_lt_i32_e64 s5, v38, v15
	s_or_b32 s6, vcc_lo, s6
	s_and_b32 vcc_lo, s5, s6
	s_xor_b32 s5, vcc_lo, -1
	s_and_saveexec_b32 s6, s5
	s_xor_b32 s5, exec_lo, s6
; %bb.57:
	v_add_nc_u32_e32 v39, v0, v37
	ds_read_u8 v39, v39 offset:1
; %bb.58:
	s_or_saveexec_b32 s5, s5
	v_mov_b32_e32 v41, v36
	s_xor_b32 exec_lo, exec_lo, s5
	s_cbranch_execz .LBB69_60
; %bb.59:
	s_waitcnt lgkmcnt(0)
	v_add_nc_u32_e32 v39, v0, v38
	ds_read_u8 v41, v39 offset:1
	v_mov_b32_e32 v39, v35
.LBB69_60:
	s_or_b32 exec_lo, exec_lo, s5
	v_add_nc_u32_e32 v40, 1, v37
	v_add_nc_u32_e32 v42, 1, v38
	s_waitcnt lgkmcnt(0)
	v_cmp_lt_i16_sdwa s7, sext(v41), sext(v39) src0_sel:BYTE_0 src1_sel:BYTE_0
	v_cndmask_b32_e32 v43, v40, v37, vcc_lo
	v_cndmask_b32_e32 v44, v38, v42, vcc_lo
                                        ; implicit-def: $vgpr40
	v_cmp_ge_i32_e64 s5, v43, v13
	v_cmp_lt_i32_e64 s6, v44, v15
	s_or_b32 s5, s5, s7
	s_and_b32 s5, s6, s5
	s_xor_b32 s6, s5, -1
	s_and_saveexec_b32 s7, s6
	s_xor_b32 s6, exec_lo, s7
; %bb.61:
	v_add_nc_u32_e32 v40, v0, v43
	ds_read_u8 v40, v40 offset:1
; %bb.62:
	s_or_saveexec_b32 s6, s6
	v_mov_b32_e32 v42, v41
	s_xor_b32 exec_lo, exec_lo, s6
	s_cbranch_execz .LBB69_64
; %bb.63:
	s_waitcnt lgkmcnt(0)
	v_add_nc_u32_e32 v40, v0, v44
	ds_read_u8 v42, v40 offset:1
	v_mov_b32_e32 v40, v39
.LBB69_64:
	s_or_b32 exec_lo, exec_lo, s6
	v_add_nc_u32_e32 v45, 1, v44
	v_add_nc_u32_e32 v46, 1, v43
	v_cndmask_b32_e64 v39, v39, v41, s5
	v_perm_b32 v9, v9, v10, 0xc0c0004
	v_perm_b32 v10, v11, v12, 0xc0c0004
	v_cndmask_b32_e64 v41, v44, v45, s5
	v_cndmask_b32_e64 v45, v46, v43, s5
	v_perm_b32 v2, v2, v6, 0xc0c0004
	v_perm_b32 v6, v7, v8, 0xc0c0004
	v_cndmask_b32_sdwa v35, v35, v36, vcc_lo dst_sel:BYTE_1 dst_unused:UNUSED_PAD src0_sel:DWORD src1_sel:DWORD
	v_cndmask_b32_e32 v36, v37, v38, vcc_lo
	v_cndmask_b32_e64 v23, v23, v24, s2
	v_cndmask_b32_e64 v24, v25, v26, s2
	v_cmp_ge_i32_e32 vcc_lo, v45, v13
	s_waitcnt lgkmcnt(0)
	v_cmp_lt_i16_sdwa s2, sext(v42), sext(v40) src0_sel:BYTE_0 src1_sel:BYTE_0
	v_cndmask_b32_e64 v19, v19, v20, s1
	v_cndmask_b32_e64 v20, v21, v22, s1
	v_cmp_lt_i32_e64 s1, v41, v15
	v_cndmask_b32_e64 v8, v14, v16, s0
	v_lshl_or_b32 v7, v10, 16, v9
	v_lshl_or_b32 v6, v6, 16, v2
	v_cndmask_b32_e64 v18, v17, v18, s0
	s_or_b32 s0, vcc_lo, s2
	v_cndmask_b32_e64 v27, v27, v28, s3
	v_cndmask_b32_e64 v28, v29, v30, s3
	s_and_b32 vcc_lo, s1, s0
	v_cndmask_b32_e64 v43, v43, v44, s5
	v_cndmask_b32_e64 v31, v31, v32, s4
	;; [unrolled: 1-line block ×3, first 2 shown]
	v_cndmask_b32_e32 v2, v45, v41, vcc_lo
	; wave barrier
	ds_write_b64 v1, v[6:7]
	v_add_nc_u32_e32 v6, v0, v8
	v_add_nc_u32_e32 v7, v0, v20
	;; [unrolled: 1-line block ×7, first 2 shown]
	; wave barrier
	v_add_nc_u32_e32 v13, v0, v2
	ds_read_u8 v2, v6
	ds_read_u8 v6, v7
	;; [unrolled: 1-line block ×8, first 2 shown]
	v_cndmask_b32_e32 v14, v40, v42, vcc_lo
	v_and_b32_e32 v17, 64, v5
	v_lshlrev_b16 v15, 8, v19
	v_lshlrev_b16 v16, 8, v27
	v_and_b32_e32 v5, 56, v5
	v_lshlrev_b16 v14, 8, v14
	v_or_b32_e32 v13, 32, v17
	v_or_b32_sdwa v15, v18, v15 dst_sel:DWORD dst_unused:UNUSED_PAD src0_sel:BYTE_0 src1_sel:DWORD
	v_or_b32_sdwa v16, v23, v16 dst_sel:WORD_1 dst_unused:UNUSED_PAD src0_sel:BYTE_0 src1_sel:DWORD
	v_or_b32_sdwa v20, v31, v35 dst_sel:DWORD dst_unused:UNUSED_PAD src0_sel:BYTE_0 src1_sel:DWORD
	v_or_b32_sdwa v21, v39, v14 dst_sel:WORD_1 dst_unused:UNUSED_PAD src0_sel:BYTE_0 src1_sel:DWORD
	v_sub_nc_u32_e32 v19, v13, v17
	v_sub_nc_u32_e64 v18, v5, 32 clamp
	v_or_b32_sdwa v15, v15, v16 dst_sel:DWORD dst_unused:UNUSED_PAD src0_sel:WORD_0 src1_sel:DWORD
	s_mov_b32 s0, exec_lo
	v_or_b32_sdwa v16, v20, v21 dst_sel:DWORD dst_unused:UNUSED_PAD src0_sel:WORD_0 src1_sel:DWORD
	v_min_i32_e32 v14, v5, v19
	; wave barrier
	ds_write_b64 v1, v[15:16]
	; wave barrier
	v_cmpx_lt_i32_e64 v18, v14
	s_cbranch_execz .LBB69_68
; %bb.65:
	v_add_nc_u32_e32 v15, v0, v17
	s_mov_b32 s1, 0
	v_add_nc_u32_e32 v16, v15, v5
	.p2align	6
.LBB69_66:                              ; =>This Inner Loop Header: Depth=1
	v_sub_nc_u32_e32 v19, v14, v18
	v_lshrrev_b32_e32 v19, 1, v19
	v_add_nc_u32_e32 v19, v19, v18
	v_add_nc_u32_e32 v20, v15, v19
	v_xad_u32 v21, v19, -1, v16
	v_add_nc_u32_e32 v22, 1, v19
	ds_read_i8 v20, v20
	ds_read_i8 v21, v21 offset:32
	s_waitcnt lgkmcnt(0)
	v_cmp_lt_i16_e32 vcc_lo, v21, v20
	v_cndmask_b32_e32 v14, v14, v19, vcc_lo
	v_cndmask_b32_e32 v18, v22, v18, vcc_lo
	v_cmp_ge_i32_e32 vcc_lo, v18, v14
	s_or_b32 s1, vcc_lo, s1
	s_andn2_b32 exec_lo, exec_lo, s1
	s_cbranch_execnz .LBB69_66
; %bb.67:
	s_or_b32 exec_lo, exec_lo, s1
.LBB69_68:
	s_or_b32 exec_lo, exec_lo, s0
	v_add_nc_u32_e32 v15, v17, v5
	v_add_nc_u32_e32 v14, v18, v17
	;; [unrolled: 1-line block ×4, first 2 shown]
	v_cmp_lt_i32_e32 vcc_lo, 31, v18
	v_sub_nc_u32_e32 v15, v15, v18
	v_add_nc_u32_e32 v19, v0, v14
	v_sub_nc_u32_e32 v17, v21, v18
                                        ; implicit-def: $vgpr18
	v_add_nc_u32_e32 v20, v0, v15
	ds_read_u8 v15, v19
	ds_read_u8 v16, v20 offset:32
	v_cmp_gt_i32_e64 s1, v5, v17
	s_waitcnt lgkmcnt(1)
	v_bfe_i32 v15, v15, 0, 8
	s_waitcnt lgkmcnt(0)
	v_bfe_i32 v16, v16, 0, 8
	v_cmp_lt_i16_e64 s0, v16, v15
	s_or_b32 s0, vcc_lo, s0
	s_and_b32 s0, s1, s0
	s_xor_b32 s1, s0, -1
	s_and_saveexec_b32 s2, s1
	s_xor_b32 s1, exec_lo, s2
; %bb.69:
	ds_read_u8 v18, v19 offset:1
                                        ; implicit-def: $vgpr20
; %bb.70:
	s_or_saveexec_b32 s1, s1
	v_mov_b32_e32 v19, v16
	s_xor_b32 exec_lo, exec_lo, s1
	s_cbranch_execz .LBB69_72
; %bb.71:
	ds_read_u8 v19, v20 offset:33
	s_waitcnt lgkmcnt(1)
	v_mov_b32_e32 v18, v15
.LBB69_72:
	s_or_b32 exec_lo, exec_lo, s1
	v_add_nc_u32_e32 v20, 1, v14
	v_add_nc_u32_e32 v21, 1, v17
	s_waitcnt lgkmcnt(0)
	v_cmp_lt_i16_sdwa s2, sext(v19), sext(v18) src0_sel:BYTE_0 src1_sel:BYTE_0
                                        ; implicit-def: $vgpr22
	v_cndmask_b32_e64 v20, v20, v14, s0
	v_cndmask_b32_e64 v21, v17, v21, s0
	v_cmp_ge_i32_e32 vcc_lo, v20, v13
	v_cmp_lt_i32_e64 s1, v21, v5
	s_or_b32 s2, vcc_lo, s2
	s_and_b32 s1, s1, s2
	s_xor_b32 s2, s1, -1
	s_and_saveexec_b32 s3, s2
	s_xor_b32 s2, exec_lo, s3
; %bb.73:
	v_add_nc_u32_e32 v22, v0, v20
	ds_read_u8 v22, v22 offset:1
; %bb.74:
	s_or_saveexec_b32 s2, s2
	v_mov_b32_e32 v23, v19
	s_xor_b32 exec_lo, exec_lo, s2
	s_cbranch_execz .LBB69_76
; %bb.75:
	s_waitcnt lgkmcnt(0)
	v_add_nc_u32_e32 v22, v0, v21
	ds_read_u8 v23, v22 offset:1
	v_mov_b32_e32 v22, v18
.LBB69_76:
	s_or_b32 exec_lo, exec_lo, s2
	v_add_nc_u32_e32 v24, 1, v20
	v_add_nc_u32_e32 v26, 1, v21
	s_waitcnt lgkmcnt(0)
	v_cmp_lt_i16_sdwa s3, sext(v23), sext(v22) src0_sel:BYTE_0 src1_sel:BYTE_0
                                        ; implicit-def: $vgpr28
	v_cndmask_b32_e64 v25, v24, v20, s1
	v_cndmask_b32_e64 v26, v21, v26, s1
	v_cmp_ge_i32_e32 vcc_lo, v25, v13
	v_cmp_lt_i32_e64 s2, v26, v5
	s_or_b32 s3, vcc_lo, s3
	s_and_b32 s2, s2, s3
	s_xor_b32 s3, s2, -1
	s_and_saveexec_b32 s4, s3
	s_xor_b32 s3, exec_lo, s4
; %bb.77:
	v_add_nc_u32_e32 v24, v0, v25
	ds_read_u8 v28, v24 offset:1
; %bb.78:
	s_or_saveexec_b32 s3, s3
	v_mov_b32_e32 v29, v23
	s_xor_b32 exec_lo, exec_lo, s3
	s_cbranch_execz .LBB69_80
; %bb.79:
	v_add_nc_u32_e32 v24, v0, v26
	s_waitcnt lgkmcnt(0)
	v_mov_b32_e32 v28, v22
	ds_read_u8 v29, v24 offset:1
.LBB69_80:
	s_or_b32 exec_lo, exec_lo, s3
	v_add_nc_u32_e32 v24, 1, v25
	v_add_nc_u32_e32 v27, 1, v26
	s_waitcnt lgkmcnt(0)
	v_cmp_lt_i16_sdwa s4, sext(v29), sext(v28) src0_sel:BYTE_0 src1_sel:BYTE_0
	v_cndmask_b32_e64 v30, v24, v25, s2
	v_cndmask_b32_e64 v31, v26, v27, s2
                                        ; implicit-def: $vgpr24
	v_cmp_ge_i32_e32 vcc_lo, v30, v13
	v_cmp_lt_i32_e64 s3, v31, v5
	s_or_b32 s4, vcc_lo, s4
	s_and_b32 s4, s3, s4
	s_xor_b32 s3, s4, -1
	s_and_saveexec_b32 s5, s3
	s_xor_b32 s3, exec_lo, s5
; %bb.81:
	v_add_nc_u32_e32 v24, v0, v30
	ds_read_u8 v24, v24 offset:1
; %bb.82:
	s_or_saveexec_b32 s3, s3
	v_mov_b32_e32 v27, v29
	s_xor_b32 exec_lo, exec_lo, s3
	s_cbranch_execz .LBB69_84
; %bb.83:
	s_waitcnt lgkmcnt(0)
	v_add_nc_u32_e32 v24, v0, v31
	ds_read_u8 v27, v24 offset:1
	v_mov_b32_e32 v24, v28
.LBB69_84:
	s_or_b32 exec_lo, exec_lo, s3
	v_add_nc_u32_e32 v32, 1, v30
	v_add_nc_u32_e32 v33, 1, v31
	s_waitcnt lgkmcnt(0)
	v_cmp_lt_i16_sdwa s5, sext(v27), sext(v24) src0_sel:BYTE_0 src1_sel:BYTE_0
                                        ; implicit-def: $vgpr34
	v_cndmask_b32_e64 v32, v32, v30, s4
	v_cndmask_b32_e64 v33, v31, v33, s4
	v_cmp_ge_i32_e32 vcc_lo, v32, v13
	v_cmp_lt_i32_e64 s3, v33, v5
	s_or_b32 s5, vcc_lo, s5
	s_and_b32 s3, s3, s5
	s_xor_b32 s5, s3, -1
	s_and_saveexec_b32 s6, s5
	s_xor_b32 s5, exec_lo, s6
; %bb.85:
	v_add_nc_u32_e32 v34, v0, v32
	ds_read_u8 v34, v34 offset:1
; %bb.86:
	s_or_saveexec_b32 s5, s5
	v_mov_b32_e32 v35, v27
	s_xor_b32 exec_lo, exec_lo, s5
	s_cbranch_execz .LBB69_88
; %bb.87:
	s_waitcnt lgkmcnt(0)
	v_add_nc_u32_e32 v34, v0, v33
	ds_read_u8 v35, v34 offset:1
	v_mov_b32_e32 v34, v24
.LBB69_88:
	s_or_b32 exec_lo, exec_lo, s5
	v_add_nc_u32_e32 v36, 1, v32
	v_add_nc_u32_e32 v37, 1, v33
	s_waitcnt lgkmcnt(0)
	v_cmp_lt_i16_sdwa s6, sext(v35), sext(v34) src0_sel:BYTE_0 src1_sel:BYTE_0
                                        ; implicit-def: $vgpr38
	v_cndmask_b32_e64 v36, v36, v32, s3
	v_cndmask_b32_e64 v37, v33, v37, s3
	v_cmp_ge_i32_e32 vcc_lo, v36, v13
	v_cmp_lt_i32_e64 s5, v37, v5
	s_or_b32 s6, vcc_lo, s6
	s_and_b32 vcc_lo, s5, s6
	s_xor_b32 s5, vcc_lo, -1
	s_and_saveexec_b32 s6, s5
	s_xor_b32 s5, exec_lo, s6
; %bb.89:
	v_add_nc_u32_e32 v38, v0, v36
	ds_read_u8 v38, v38 offset:1
; %bb.90:
	s_or_saveexec_b32 s5, s5
	v_mov_b32_e32 v40, v35
	s_xor_b32 exec_lo, exec_lo, s5
	s_cbranch_execz .LBB69_92
; %bb.91:
	s_waitcnt lgkmcnt(0)
	v_add_nc_u32_e32 v38, v0, v37
	ds_read_u8 v40, v38 offset:1
	v_mov_b32_e32 v38, v34
.LBB69_92:
	s_or_b32 exec_lo, exec_lo, s5
	v_add_nc_u32_e32 v39, 1, v36
	v_add_nc_u32_e32 v41, 1, v37
	s_waitcnt lgkmcnt(0)
	v_cmp_lt_i16_sdwa s7, sext(v40), sext(v38) src0_sel:BYTE_0 src1_sel:BYTE_0
	v_cndmask_b32_e32 v42, v39, v36, vcc_lo
	v_cndmask_b32_e32 v43, v37, v41, vcc_lo
                                        ; implicit-def: $vgpr39
	v_cmp_ge_i32_e64 s5, v42, v13
	v_cmp_lt_i32_e64 s6, v43, v5
	s_or_b32 s5, s5, s7
	s_and_b32 s5, s6, s5
	s_xor_b32 s6, s5, -1
	s_and_saveexec_b32 s7, s6
	s_xor_b32 s6, exec_lo, s7
; %bb.93:
	v_add_nc_u32_e32 v39, v0, v42
	ds_read_u8 v39, v39 offset:1
; %bb.94:
	s_or_saveexec_b32 s6, s6
	v_mov_b32_e32 v41, v40
	s_xor_b32 exec_lo, exec_lo, s6
	s_cbranch_execz .LBB69_96
; %bb.95:
	s_waitcnt lgkmcnt(0)
	v_add_nc_u32_e32 v39, v0, v43
	ds_read_u8 v41, v39 offset:1
	v_mov_b32_e32 v39, v38
.LBB69_96:
	s_or_b32 exec_lo, exec_lo, s6
	v_add_nc_u32_e32 v44, 1, v43
	v_add_nc_u32_e32 v45, 1, v42
	v_cndmask_b32_e64 v38, v38, v40, s5
	v_perm_b32 v9, v9, v10, 0xc0c0004
	v_perm_b32 v10, v11, v12, 0xc0c0004
	v_cndmask_b32_e64 v40, v43, v44, s5
	v_cndmask_b32_e64 v44, v45, v42, s5
	v_perm_b32 v2, v2, v6, 0xc0c0004
	v_perm_b32 v7, v7, v8, 0xc0c0004
	v_cndmask_b32_sdwa v34, v34, v35, vcc_lo dst_sel:BYTE_1 dst_unused:UNUSED_PAD src0_sel:DWORD src1_sel:DWORD
	v_cndmask_b32_e32 v35, v36, v37, vcc_lo
	v_cndmask_b32_e64 v18, v18, v19, s1
	v_cndmask_b32_e64 v19, v20, v21, s1
	v_cmp_ge_i32_e32 vcc_lo, v44, v13
	s_waitcnt lgkmcnt(0)
	v_cmp_lt_i16_sdwa s1, sext(v41), sext(v39) src0_sel:BYTE_0 src1_sel:BYTE_0
	v_cndmask_b32_e64 v15, v15, v16, s0
	v_cndmask_b32_e64 v14, v14, v17, s0
	v_cmp_lt_i32_e64 s0, v40, v5
	v_add_nc_u32_e32 v16, v0, v4
	v_lshl_or_b32 v6, v10, 16, v9
	v_lshl_or_b32 v5, v7, 16, v2
	s_or_b32 s1, vcc_lo, s1
	v_cndmask_b32_e64 v22, v22, v23, s2
	v_cndmask_b32_e64 v23, v25, v26, s2
	;; [unrolled: 1-line block ×4, first 2 shown]
	s_and_b32 vcc_lo, s0, s1
	v_cndmask_b32_e64 v42, v42, v43, s5
	v_cndmask_b32_e64 v32, v32, v33, s3
	v_cndmask_b32_e32 v2, v44, v40, vcc_lo
	; wave barrier
	ds_write_b64 v16, v[5:6]
	v_add_nc_u32_e32 v5, v0, v14
	v_add_nc_u32_e32 v6, v0, v19
	;; [unrolled: 1-line block ×7, first 2 shown]
	; wave barrier
	v_add_nc_u32_e32 v13, v0, v2
	ds_read_u8 v2, v5
	ds_read_u8 v5, v6
	;; [unrolled: 1-line block ×8, first 2 shown]
	v_cndmask_b32_e32 v12, v39, v41, vcc_lo
	v_lshlrev_b16 v13, 8, v18
	v_lshlrev_b16 v14, 8, v28
	v_cndmask_b32_e64 v17, v24, v27, s3
	s_mov_b32 s0, exec_lo
	v_lshlrev_b16 v12, 8, v12
	v_or_b32_sdwa v15, v15, v13 dst_sel:DWORD dst_unused:UNUSED_PAD src0_sel:BYTE_0 src1_sel:DWORD
	v_or_b32_sdwa v14, v22, v14 dst_sel:WORD_1 dst_unused:UNUSED_PAD src0_sel:BYTE_0 src1_sel:DWORD
	v_or_b32_sdwa v17, v17, v34 dst_sel:DWORD dst_unused:UNUSED_PAD src0_sel:BYTE_0 src1_sel:DWORD
	v_min_u32_e32 v13, 64, v4
	v_or_b32_sdwa v18, v38, v12 dst_sel:WORD_1 dst_unused:UNUSED_PAD src0_sel:BYTE_0 src1_sel:DWORD
	v_sub_nc_u32_e64 v12, v4, 64 clamp
	v_or_b32_sdwa v14, v15, v14 dst_sel:DWORD dst_unused:UNUSED_PAD src0_sel:WORD_0 src1_sel:DWORD
	; wave barrier
	v_or_b32_sdwa v15, v17, v18 dst_sel:DWORD dst_unused:UNUSED_PAD src0_sel:WORD_0 src1_sel:DWORD
	ds_write_b64 v16, v[14:15]
	; wave barrier
	v_cmpx_lt_u32_e64 v12, v13
	s_cbranch_execz .LBB69_100
; %bb.97:
	s_mov_b32 s1, 0
	.p2align	6
.LBB69_98:                              ; =>This Inner Loop Header: Depth=1
	v_sub_nc_u32_e32 v14, v13, v12
	v_lshrrev_b32_e32 v14, 1, v14
	v_add_nc_u32_e32 v14, v14, v12
	v_add_nc_u32_e32 v15, v0, v14
	v_xad_u32 v16, v14, -1, v1
	v_add_nc_u32_e32 v17, 1, v14
	ds_read_i8 v15, v15
	ds_read_i8 v16, v16 offset:64
	s_waitcnt lgkmcnt(0)
	v_cmp_lt_i16_e32 vcc_lo, v16, v15
	v_cndmask_b32_e32 v13, v13, v14, vcc_lo
	v_cndmask_b32_e32 v12, v17, v12, vcc_lo
	v_cmp_ge_i32_e32 vcc_lo, v12, v13
	s_or_b32 s1, vcc_lo, s1
	s_andn2_b32 exec_lo, exec_lo, s1
	s_cbranch_execnz .LBB69_98
; %bb.99:
	s_or_b32 exec_lo, exec_lo, s1
.LBB69_100:
	s_or_b32 exec_lo, exec_lo, s0
	v_sub_nc_u32_e32 v14, v4, v12
	v_add_nc_u32_e32 v15, v0, v12
	v_cmp_lt_i32_e32 vcc_lo, 63, v12
	v_add_nc_u32_e32 v17, v0, v14
	v_add_nc_u32_e32 v16, 64, v14
                                        ; implicit-def: $vgpr14
	ds_read_u8 v4, v15
	ds_read_u8 v13, v17 offset:64
	v_cmp_gt_i32_e64 s1, 0x80, v16
	s_waitcnt lgkmcnt(1)
	v_bfe_i32 v4, v4, 0, 8
	s_waitcnt lgkmcnt(0)
	v_bfe_i32 v13, v13, 0, 8
	v_cmp_lt_i16_e64 s0, v13, v4
	s_or_b32 s0, vcc_lo, s0
	s_and_b32 vcc_lo, s1, s0
	s_xor_b32 s0, vcc_lo, -1
	s_and_saveexec_b32 s1, s0
	s_xor_b32 s0, exec_lo, s1
; %bb.101:
	ds_read_u8 v14, v15 offset:1
                                        ; implicit-def: $vgpr17
; %bb.102:
	s_or_saveexec_b32 s0, s0
	v_mov_b32_e32 v15, v13
	s_xor_b32 exec_lo, exec_lo, s0
	s_cbranch_execz .LBB69_104
; %bb.103:
	ds_read_u8 v15, v17 offset:65
	s_waitcnt lgkmcnt(1)
	v_mov_b32_e32 v14, v4
.LBB69_104:
	s_or_b32 exec_lo, exec_lo, s0
	v_add_nc_u32_e32 v17, 1, v12
	v_add_nc_u32_e32 v18, 1, v16
	s_waitcnt lgkmcnt(0)
	v_cmp_lt_i16_sdwa s2, sext(v15), sext(v14) src0_sel:BYTE_0 src1_sel:BYTE_0
	v_cndmask_b32_e32 v20, v17, v12, vcc_lo
	v_cndmask_b32_e32 v21, v16, v18, vcc_lo
                                        ; implicit-def: $vgpr17
	v_cmp_lt_i32_e64 s0, 63, v20
	v_cmp_gt_i32_e64 s1, 0x80, v21
	s_or_b32 s0, s0, s2
	s_and_b32 s0, s1, s0
	s_xor_b32 s1, s0, -1
	s_and_saveexec_b32 s2, s1
	s_xor_b32 s1, exec_lo, s2
; %bb.105:
	v_add_nc_u32_e32 v17, v0, v20
	ds_read_u8 v17, v17 offset:1
; %bb.106:
	s_or_saveexec_b32 s1, s1
	v_mov_b32_e32 v18, v15
	s_xor_b32 exec_lo, exec_lo, s1
	s_cbranch_execz .LBB69_108
; %bb.107:
	s_waitcnt lgkmcnt(0)
	v_add_nc_u32_e32 v17, v0, v21
	ds_read_u8 v18, v17 offset:1
	v_mov_b32_e32 v17, v14
.LBB69_108:
	s_or_b32 exec_lo, exec_lo, s1
	v_add_nc_u32_e32 v19, 1, v20
	v_add_nc_u32_e32 v22, 1, v21
	s_waitcnt lgkmcnt(0)
	v_cmp_lt_i16_sdwa s3, sext(v18), sext(v17) src0_sel:BYTE_0 src1_sel:BYTE_0
	v_cndmask_b32_e64 v24, v19, v20, s0
	v_cndmask_b32_e64 v25, v21, v22, s0
                                        ; implicit-def: $vgpr19
	v_cmp_lt_i32_e64 s1, 63, v24
	v_cmp_gt_i32_e64 s2, 0x80, v25
	s_or_b32 s1, s1, s3
	s_and_b32 s1, s2, s1
	s_xor_b32 s2, s1, -1
	s_and_saveexec_b32 s3, s2
	s_xor_b32 s2, exec_lo, s3
; %bb.109:
	v_add_nc_u32_e32 v19, v0, v24
	ds_read_u8 v19, v19 offset:1
; %bb.110:
	s_or_saveexec_b32 s2, s2
	v_mov_b32_e32 v22, v18
	s_xor_b32 exec_lo, exec_lo, s2
	s_cbranch_execz .LBB69_112
; %bb.111:
	s_waitcnt lgkmcnt(0)
	v_add_nc_u32_e32 v19, v0, v25
	ds_read_u8 v22, v19 offset:1
	v_mov_b32_e32 v19, v17
.LBB69_112:
	s_or_b32 exec_lo, exec_lo, s2
	v_add_nc_u32_e32 v23, 1, v24
	v_add_nc_u32_e32 v26, 1, v25
	s_waitcnt lgkmcnt(0)
	v_cmp_lt_i16_sdwa s4, sext(v22), sext(v19) src0_sel:BYTE_0 src1_sel:BYTE_0
	v_cndmask_b32_e64 v28, v23, v24, s1
	v_cndmask_b32_e64 v29, v25, v26, s1
                                        ; implicit-def: $vgpr23
	v_cmp_lt_i32_e64 s2, 63, v28
	v_cmp_gt_i32_e64 s3, 0x80, v29
	s_or_b32 s2, s2, s4
	s_and_b32 s2, s3, s2
	s_xor_b32 s3, s2, -1
	s_and_saveexec_b32 s4, s3
	s_xor_b32 s3, exec_lo, s4
; %bb.113:
	v_add_nc_u32_e32 v23, v0, v28
	ds_read_u8 v23, v23 offset:1
; %bb.114:
	s_or_saveexec_b32 s3, s3
	v_mov_b32_e32 v26, v22
	s_xor_b32 exec_lo, exec_lo, s3
	s_cbranch_execz .LBB69_116
; %bb.115:
	s_waitcnt lgkmcnt(0)
	v_add_nc_u32_e32 v23, v0, v29
	ds_read_u8 v26, v23 offset:1
	v_mov_b32_e32 v23, v19
.LBB69_116:
	s_or_b32 exec_lo, exec_lo, s3
	v_add_nc_u32_e32 v27, 1, v28
	v_add_nc_u32_e32 v30, 1, v29
	s_waitcnt lgkmcnt(0)
	v_cmp_lt_i16_sdwa s5, sext(v26), sext(v23) src0_sel:BYTE_0 src1_sel:BYTE_0
	v_cndmask_b32_e64 v31, v27, v28, s2
	v_cndmask_b32_e64 v32, v29, v30, s2
                                        ; implicit-def: $vgpr27
	v_cmp_lt_i32_e64 s3, 63, v31
	v_cmp_gt_i32_e64 s4, 0x80, v32
	s_or_b32 s3, s3, s5
	s_and_b32 s3, s4, s3
	s_xor_b32 s4, s3, -1
	s_and_saveexec_b32 s5, s4
	s_xor_b32 s4, exec_lo, s5
; %bb.117:
	v_add_nc_u32_e32 v27, v0, v31
	ds_read_u8 v27, v27 offset:1
; %bb.118:
	s_or_saveexec_b32 s4, s4
	v_mov_b32_e32 v30, v26
	s_xor_b32 exec_lo, exec_lo, s4
	s_cbranch_execz .LBB69_120
; %bb.119:
	s_waitcnt lgkmcnt(0)
	v_add_nc_u32_e32 v27, v0, v32
	ds_read_u8 v30, v27 offset:1
	v_mov_b32_e32 v27, v23
.LBB69_120:
	s_or_b32 exec_lo, exec_lo, s4
	v_add_nc_u32_e32 v33, 1, v31
	v_add_nc_u32_e32 v34, 1, v32
	s_waitcnt lgkmcnt(0)
	v_cmp_lt_i16_sdwa s6, sext(v30), sext(v27) src0_sel:BYTE_0 src1_sel:BYTE_0
                                        ; implicit-def: $vgpr39
	v_cndmask_b32_e64 v33, v33, v31, s3
	v_cndmask_b32_e64 v34, v32, v34, s3
	v_cmp_lt_i32_e64 s4, 63, v33
	v_cmp_gt_i32_e64 s5, 0x80, v34
	s_or_b32 s4, s4, s6
	s_and_b32 s4, s5, s4
	s_xor_b32 s5, s4, -1
	s_and_saveexec_b32 s6, s5
	s_xor_b32 s5, exec_lo, s6
; %bb.121:
	v_add_nc_u32_e32 v35, v0, v33
	ds_read_u8 v39, v35 offset:1
; %bb.122:
	s_or_saveexec_b32 s5, s5
	v_mov_b32_e32 v36, v30
	s_xor_b32 exec_lo, exec_lo, s5
	s_cbranch_execz .LBB69_124
; %bb.123:
	v_add_nc_u32_e32 v35, v0, v34
	s_waitcnt lgkmcnt(0)
	v_mov_b32_e32 v39, v27
	ds_read_u8 v36, v35 offset:1
.LBB69_124:
	s_or_b32 exec_lo, exec_lo, s5
	v_add_nc_u32_e32 v35, 1, v33
	v_add_nc_u32_e32 v37, 1, v34
	s_waitcnt lgkmcnt(0)
	v_cmp_ge_i16_sdwa s7, sext(v36), sext(v39) src0_sel:BYTE_0 src1_sel:BYTE_0
                                        ; implicit-def: $vgpr41
                                        ; implicit-def: $vgpr40
	v_cndmask_b32_e64 v42, v35, v33, s4
	v_cndmask_b32_e64 v37, v34, v37, s4
	v_cmp_gt_i32_e64 s5, 64, v42
	v_cmp_lt_i32_e64 s6, 0x7f, v37
	s_and_b32 s5, s5, s7
	s_or_b32 s5, s6, s5
	s_and_saveexec_b32 s6, s5
	s_xor_b32 s5, exec_lo, s6
; %bb.125:
	v_add_nc_u32_e32 v35, v0, v42
	v_add_nc_u32_e32 v40, 1, v42
	ds_read_u8 v41, v35 offset:1
; %bb.126:
	s_or_saveexec_b32 s5, s5
	v_mov_b32_e32 v35, v39
	v_mov_b32_e32 v38, v42
	s_xor_b32 exec_lo, exec_lo, s5
	s_cbranch_execz .LBB69_128
; %bb.127:
	v_add_nc_u32_e32 v35, v0, v37
	s_waitcnt lgkmcnt(0)
	v_add_nc_u32_e32 v41, 1, v37
	v_mov_b32_e32 v38, v37
	v_mov_b32_e32 v40, v42
	ds_read_u8 v43, v35 offset:1
	v_mov_b32_e32 v35, v36
	v_mov_b32_e32 v37, v41
	;; [unrolled: 1-line block ×3, first 2 shown]
	s_waitcnt lgkmcnt(0)
	v_mov_b32_e32 v36, v43
.LBB69_128:
	s_or_b32 exec_lo, exec_lo, s5
	v_cmp_lt_i32_e64 s5, 63, v40
	s_waitcnt lgkmcnt(0)
	v_cmp_lt_i16_sdwa s7, sext(v36), sext(v41) src0_sel:BYTE_0 src1_sel:BYTE_0
	v_perm_b32 v8, v8, v9, 0xc0c0004
	v_perm_b32 v9, v10, v11, 0xc0c0004
	v_perm_b32 v2, v2, v5, 0xc0c0004
	v_perm_b32 v5, v6, v7, 0xc0c0004
	v_cmp_gt_i32_e64 s6, 0x80, v37
	v_cndmask_b32_e32 v7, v12, v16, vcc_lo
	s_or_b32 s5, s5, s7
	v_lshl_or_b32 v6, v9, 16, v8
	v_lshl_or_b32 v5, v5, 16, v2
	v_cndmask_b32_e64 v20, v20, v21, s0
	v_cndmask_b32_e64 v24, v24, v25, s1
	s_and_b32 s5, s6, s5
	v_cndmask_b32_e64 v28, v28, v29, s2
	v_cndmask_b32_e64 v33, v33, v34, s4
	;; [unrolled: 1-line block ×4, first 2 shown]
	; wave barrier
	ds_write_b64 v1, v[5:6]
	v_add_nc_u32_e32 v1, v0, v7
	v_add_nc_u32_e32 v5, v0, v20
	;; [unrolled: 1-line block ×8, first 2 shown]
	; wave barrier
	ds_read_u8 v1, v1
	ds_read_u8 v5, v5
	;; [unrolled: 1-line block ×8, first 2 shown]
	v_cndmask_b32_e64 v2, v41, v36, s5
	v_cndmask_b32_e64 v11, v27, v30, s4
	v_cndmask_b32_e32 v4, v4, v13, vcc_lo
	v_cndmask_b32_e64 v12, v14, v15, s0
	v_cndmask_b32_e64 v13, v17, v18, s1
	;; [unrolled: 1-line block ×4, first 2 shown]
	s_add_u32 s0, s38, s40
	s_addc_u32 s1, s39, 0
	s_waitcnt lgkmcnt(7)
	v_add_nc_u16 v1, v1, v4
	s_waitcnt lgkmcnt(6)
	v_add_nc_u16 v4, v5, v12
	;; [unrolled: 2-line block ×8, first 2 shown]
	v_lshlrev_b16 v2, 8, v4
	v_lshlrev_b16 v4, 8, v6
	;; [unrolled: 1-line block ×4, first 2 shown]
	v_or_b32_sdwa v2, v1, v2 dst_sel:DWORD dst_unused:UNUSED_PAD src0_sel:BYTE_0 src1_sel:DWORD
	v_or_b32_sdwa v4, v5, v4 dst_sel:WORD_1 dst_unused:UNUSED_PAD src0_sel:BYTE_0 src1_sel:DWORD
	v_or_b32_sdwa v5, v7, v6 dst_sel:DWORD dst_unused:UNUSED_PAD src0_sel:BYTE_0 src1_sel:DWORD
	v_or_b32_sdwa v6, v9, v0 dst_sel:WORD_1 dst_unused:UNUSED_PAD src0_sel:BYTE_0 src1_sel:DWORD
	v_add_co_u32 v0, s0, s0, v3
	v_add_co_ci_u32_e64 v1, null, s1, 0, s0
	v_or_b32_sdwa v2, v2, v4 dst_sel:DWORD dst_unused:UNUSED_PAD src0_sel:WORD_0 src1_sel:DWORD
	v_or_b32_sdwa v3, v5, v6 dst_sel:DWORD dst_unused:UNUSED_PAD src0_sel:WORD_0 src1_sel:DWORD
	global_store_dwordx2 v[0:1], v[2:3], off
	s_endpgm
	.section	.rodata,"a",@progbits
	.p2align	6, 0x0
	.amdhsa_kernel _Z10sort_pairsILj256ELj16ELj8EaN10test_utils4lessEEvPKT2_PS2_T3_
		.amdhsa_group_segment_fixed_size 2064
		.amdhsa_private_segment_fixed_size 0
		.amdhsa_kernarg_size 20
		.amdhsa_user_sgpr_count 6
		.amdhsa_user_sgpr_private_segment_buffer 1
		.amdhsa_user_sgpr_dispatch_ptr 0
		.amdhsa_user_sgpr_queue_ptr 0
		.amdhsa_user_sgpr_kernarg_segment_ptr 1
		.amdhsa_user_sgpr_dispatch_id 0
		.amdhsa_user_sgpr_flat_scratch_init 0
		.amdhsa_user_sgpr_private_segment_size 0
		.amdhsa_wavefront_size32 1
		.amdhsa_uses_dynamic_stack 0
		.amdhsa_system_sgpr_private_segment_wavefront_offset 0
		.amdhsa_system_sgpr_workgroup_id_x 1
		.amdhsa_system_sgpr_workgroup_id_y 0
		.amdhsa_system_sgpr_workgroup_id_z 0
		.amdhsa_system_sgpr_workgroup_info 0
		.amdhsa_system_vgpr_workitem_id 0
		.amdhsa_next_free_vgpr 47
		.amdhsa_next_free_sgpr 41
		.amdhsa_reserve_vcc 1
		.amdhsa_reserve_flat_scratch 0
		.amdhsa_float_round_mode_32 0
		.amdhsa_float_round_mode_16_64 0
		.amdhsa_float_denorm_mode_32 3
		.amdhsa_float_denorm_mode_16_64 3
		.amdhsa_dx10_clamp 1
		.amdhsa_ieee_mode 1
		.amdhsa_fp16_overflow 0
		.amdhsa_workgroup_processor_mode 1
		.amdhsa_memory_ordered 1
		.amdhsa_forward_progress 1
		.amdhsa_shared_vgpr_count 0
		.amdhsa_exception_fp_ieee_invalid_op 0
		.amdhsa_exception_fp_denorm_src 0
		.amdhsa_exception_fp_ieee_div_zero 0
		.amdhsa_exception_fp_ieee_overflow 0
		.amdhsa_exception_fp_ieee_underflow 0
		.amdhsa_exception_fp_ieee_inexact 0
		.amdhsa_exception_int_div_zero 0
	.end_amdhsa_kernel
	.section	.text._Z10sort_pairsILj256ELj16ELj8EaN10test_utils4lessEEvPKT2_PS2_T3_,"axG",@progbits,_Z10sort_pairsILj256ELj16ELj8EaN10test_utils4lessEEvPKT2_PS2_T3_,comdat
.Lfunc_end69:
	.size	_Z10sort_pairsILj256ELj16ELj8EaN10test_utils4lessEEvPKT2_PS2_T3_, .Lfunc_end69-_Z10sort_pairsILj256ELj16ELj8EaN10test_utils4lessEEvPKT2_PS2_T3_
                                        ; -- End function
	.set _Z10sort_pairsILj256ELj16ELj8EaN10test_utils4lessEEvPKT2_PS2_T3_.num_vgpr, 47
	.set _Z10sort_pairsILj256ELj16ELj8EaN10test_utils4lessEEvPKT2_PS2_T3_.num_agpr, 0
	.set _Z10sort_pairsILj256ELj16ELj8EaN10test_utils4lessEEvPKT2_PS2_T3_.numbered_sgpr, 41
	.set _Z10sort_pairsILj256ELj16ELj8EaN10test_utils4lessEEvPKT2_PS2_T3_.num_named_barrier, 0
	.set _Z10sort_pairsILj256ELj16ELj8EaN10test_utils4lessEEvPKT2_PS2_T3_.private_seg_size, 0
	.set _Z10sort_pairsILj256ELj16ELj8EaN10test_utils4lessEEvPKT2_PS2_T3_.uses_vcc, 1
	.set _Z10sort_pairsILj256ELj16ELj8EaN10test_utils4lessEEvPKT2_PS2_T3_.uses_flat_scratch, 0
	.set _Z10sort_pairsILj256ELj16ELj8EaN10test_utils4lessEEvPKT2_PS2_T3_.has_dyn_sized_stack, 0
	.set _Z10sort_pairsILj256ELj16ELj8EaN10test_utils4lessEEvPKT2_PS2_T3_.has_recursion, 0
	.set _Z10sort_pairsILj256ELj16ELj8EaN10test_utils4lessEEvPKT2_PS2_T3_.has_indirect_call, 0
	.section	.AMDGPU.csdata,"",@progbits
; Kernel info:
; codeLenInByte = 8392
; TotalNumSgprs: 43
; NumVgprs: 47
; ScratchSize: 0
; MemoryBound: 0
; FloatMode: 240
; IeeeMode: 1
; LDSByteSize: 2064 bytes/workgroup (compile time only)
; SGPRBlocks: 0
; VGPRBlocks: 5
; NumSGPRsForWavesPerEU: 43
; NumVGPRsForWavesPerEU: 47
; Occupancy: 16
; WaveLimiterHint : 0
; COMPUTE_PGM_RSRC2:SCRATCH_EN: 0
; COMPUTE_PGM_RSRC2:USER_SGPR: 6
; COMPUTE_PGM_RSRC2:TRAP_HANDLER: 0
; COMPUTE_PGM_RSRC2:TGID_X_EN: 1
; COMPUTE_PGM_RSRC2:TGID_Y_EN: 0
; COMPUTE_PGM_RSRC2:TGID_Z_EN: 0
; COMPUTE_PGM_RSRC2:TIDIG_COMP_CNT: 0
	.section	.text._Z19sort_keys_segmentedILj256ELj16ELj8EaN10test_utils4lessEEvPKT2_PS2_PKjT3_,"axG",@progbits,_Z19sort_keys_segmentedILj256ELj16ELj8EaN10test_utils4lessEEvPKT2_PS2_PKjT3_,comdat
	.protected	_Z19sort_keys_segmentedILj256ELj16ELj8EaN10test_utils4lessEEvPKT2_PS2_PKjT3_ ; -- Begin function _Z19sort_keys_segmentedILj256ELj16ELj8EaN10test_utils4lessEEvPKT2_PS2_PKjT3_
	.globl	_Z19sort_keys_segmentedILj256ELj16ELj8EaN10test_utils4lessEEvPKT2_PS2_PKjT3_
	.p2align	8
	.type	_Z19sort_keys_segmentedILj256ELj16ELj8EaN10test_utils4lessEEvPKT2_PS2_PKjT3_,@function
_Z19sort_keys_segmentedILj256ELj16ELj8EaN10test_utils4lessEEvPKT2_PS2_PKjT3_: ; @_Z19sort_keys_segmentedILj256ELj16ELj8EaN10test_utils4lessEEvPKT2_PS2_PKjT3_
; %bb.0:
	s_clause 0x1
	s_load_dwordx2 s[0:1], s[4:5], 0x10
	s_load_dwordx4 s[16:19], s[4:5], 0x0
	v_lshrrev_b32_e32 v8, 4, v0
	v_mov_b32_e32 v1, 0
	v_mov_b32_e32 v9, 0
	;; [unrolled: 1-line block ×4, first 2 shown]
	v_lshl_or_b32 v0, s6, 4, v8
	v_mov_b32_e32 v12, 0
	v_mov_b32_e32 v10, 0
	v_lshlrev_b64 v[2:3], 2, v[0:1]
	v_lshlrev_b32_e32 v4, 7, v0
	v_mov_b32_e32 v0, 0
	s_waitcnt lgkmcnt(0)
	v_add_co_u32 v2, vcc_lo, s0, v2
	v_add_co_ci_u32_e64 v3, null, s1, v3, vcc_lo
	global_load_dword v6, v[2:3], off
	v_mbcnt_lo_u32_b32 v2, -1, 0
	v_lshlrev_b32_e32 v7, 3, v2
	v_add_co_u32 v2, s0, s16, v4
	v_add_co_ci_u32_e64 v3, null, s17, 0, s0
	v_and_b32_e32 v5, 0x78, v7
	v_add_co_u32 v2, vcc_lo, v2, v5
	v_add_co_ci_u32_e64 v3, null, 0, v3, vcc_lo
	s_waitcnt vmcnt(0)
	v_cmp_lt_u32_e64 s0, v5, v6
	s_and_saveexec_b32 s1, s0
	s_cbranch_execz .LBB70_2
; %bb.1:
	global_load_ubyte v9, v[2:3], off
	v_mov_b32_e32 v13, 0
	v_mov_b32_e32 v11, 0
	;; [unrolled: 1-line block ×5, first 2 shown]
.LBB70_2:
	s_or_b32 exec_lo, exec_lo, s1
	v_or_b32_e32 v14, 1, v5
	v_mov_b32_e32 v15, v1
	v_cmp_lt_u32_e64 s1, v14, v6
	s_and_saveexec_b32 s2, s1
	s_cbranch_execz .LBB70_4
; %bb.3:
	global_load_ubyte v15, v[2:3], off offset:1
.LBB70_4:
	s_or_b32 exec_lo, exec_lo, s2
	v_or_b32_e32 v16, 2, v5
	v_cmp_lt_u32_e64 s2, v16, v6
	s_and_saveexec_b32 s3, s2
	s_cbranch_execz .LBB70_6
; %bb.5:
	global_load_ubyte v1, v[2:3], off offset:2
.LBB70_6:
	s_or_b32 exec_lo, exec_lo, s3
	v_or_b32_e32 v17, 3, v5
	;; [unrolled: 8-line block ×6, first 2 shown]
	v_cmp_lt_u32_e64 s7, v21, v6
	s_and_saveexec_b32 s8, s7
	s_cbranch_execz .LBB70_16
; %bb.15:
	global_load_ubyte v10, v[2:3], off offset:7
.LBB70_16:
	s_or_b32 exec_lo, exec_lo, s8
	s_waitcnt vmcnt(0)
	v_perm_b32 v1, v1, v13, 0xc0c0004
	v_mov_b32_e32 v2, 0x7f00
	v_perm_b32 v3, v9, v15, 0xc0c0004
	v_cmp_lt_i32_e32 vcc_lo, v14, v6
	v_perm_b32 v11, v11, v12, 0xc0c0004
	v_lshlrev_b32_e32 v1, 16, v1
	v_or_b32_sdwa v9, v9, v2 dst_sel:DWORD dst_unused:UNUSED_PAD src0_sel:BYTE_0 src1_sel:DWORD
	v_mov_b32_e32 v12, 0x7f
	v_perm_b32 v0, v0, v10, 0xc0c0004
	v_and_b32_e32 v14, 0xffffff00, v11
	v_or_b32_e32 v13, v3, v1
	v_or_b32_sdwa v1, v9, v1 dst_sel:DWORD dst_unused:UNUSED_PAD src0_sel:WORD_0 src1_sel:DWORD
	v_mov_b32_e32 v9, 0xffffff00
	v_lshl_or_b32 v0, v0, 16, v11
	v_or_b32_e32 v10, 0x7f, v14
	v_cmp_lt_i32_e64 s8, v17, v6
	v_cndmask_b32_e32 v1, v1, v13, vcc_lo
	v_cmp_lt_i32_e32 vcc_lo, v16, v6
	s_mov_b32 s9, exec_lo
	v_and_b32_e32 v10, 0xffff, v10
	v_and_b32_sdwa v3, v1, v9 dst_sel:DWORD dst_unused:UNUSED_PAD src0_sel:WORD_1 src1_sel:DWORD
	v_and_or_b32 v10, 0xffff0000, v0, v10
	v_or_b32_sdwa v3, v3, v12 dst_sel:WORD_1 dst_unused:UNUSED_PAD src0_sel:DWORD src1_sel:DWORD
	v_and_or_b32 v1, 0xffff, v1, v3
	v_mov_b32_e32 v3, 0xff
	v_cndmask_b32_e32 v1, v1, v13, vcc_lo
	v_cmp_lt_i32_e32 vcc_lo, v18, v6
	v_and_b32_sdwa v11, v1, v3 dst_sel:DWORD dst_unused:UNUSED_PAD src0_sel:WORD_1 src1_sel:DWORD
	v_cndmask_b32_e32 v10, v10, v0, vcc_lo
	v_or_b32_sdwa v11, v11, v2 dst_sel:WORD_1 dst_unused:UNUSED_PAD src0_sel:DWORD src1_sel:DWORD
	v_or_b32_sdwa v14, v10, v2 dst_sel:DWORD dst_unused:UNUSED_PAD src0_sel:BYTE_0 src1_sel:DWORD
	v_and_or_b32 v1, 0xffff, v1, v11
	v_and_b32_e32 v11, 0xffff, v14
	v_cndmask_b32_e64 v1, v1, v13, s8
	v_and_or_b32 v10, 0xffff0000, v10, v11
	v_cmp_lt_i32_e64 s8, v21, v6
	v_cndmask_b32_e32 v1, v1, v13, vcc_lo
	v_cmp_lt_i32_e32 vcc_lo, v19, v6
	v_cndmask_b32_e32 v11, v1, v13, vcc_lo
	v_cndmask_b32_e32 v1, v10, v0, vcc_lo
	v_cmp_lt_i32_e32 vcc_lo, v20, v6
	v_and_b32_sdwa v9, v1, v9 dst_sel:DWORD dst_unused:UNUSED_PAD src0_sel:WORD_1 src1_sel:DWORD
	v_or_b32_sdwa v9, v9, v12 dst_sel:WORD_1 dst_unused:UNUSED_PAD src0_sel:DWORD src1_sel:DWORD
	v_and_or_b32 v1, 0xffff, v1, v9
	v_cndmask_b32_e32 v1, v1, v0, vcc_lo
	v_cndmask_b32_e32 v0, v11, v13, vcc_lo
	v_cmpx_ge_i32_e64 v21, v6
; %bb.17:
	v_and_b32_sdwa v3, v1, v3 dst_sel:DWORD dst_unused:UNUSED_PAD src0_sel:WORD_1 src1_sel:DWORD
	v_cmp_lt_i32_e32 vcc_lo, v5, v6
	s_andn2_b32 s8, s8, exec_lo
	v_or_b32_sdwa v2, v3, v2 dst_sel:WORD_1 dst_unused:UNUSED_PAD src0_sel:DWORD src1_sel:DWORD
	s_and_b32 s10, vcc_lo, exec_lo
	s_or_b32 s8, s8, s10
	v_and_or_b32 v1, 0xffff, v1, v2
; %bb.18:
	s_or_b32 exec_lo, exec_lo, s9
	s_and_saveexec_b32 s10, s8
	s_cbranch_execz .LBB70_22
; %bb.19:
	v_lshrrev_b32_e32 v2, 8, v0
	v_perm_b32 v3, 0, v0, 0xc0c0001
	v_bfe_i32 v9, v0, 0, 8
	v_bfe_i32 v16, v1, 0, 8
	v_perm_b32 v17, v1, v1, 0x7060405
	v_bfe_i32 v10, v2, 0, 8
	v_and_or_b32 v2, 0xffff0000, v0, v3
	v_mov_b32_e32 v18, 0xff
	v_cmp_lt_i16_e32 vcc_lo, v10, v9
	v_max_i16 v14, v10, v9
	v_min_i16 v9, v10, v9
	v_cndmask_b32_e32 v0, v0, v2, vcc_lo
	v_lshrrev_b32_e32 v2, 16, v0
	v_lshrrev_b32_e32 v3, 24, v0
	v_perm_b32 v11, 0, v2, 0xc0c0001
	v_bfe_i32 v3, v3, 0, 8
	v_bfe_i32 v12, v2, 0, 8
	v_lshlrev_b32_e32 v2, 16, v11
	v_min_i16 v11, v3, v12
	v_cmp_lt_i16_e32 vcc_lo, v3, v12
	v_max_i16 v3, v3, v12
	v_and_or_b32 v2, 0xffff, v0, v2
	v_lshlrev_b16 v13, 8, v11
	v_min_i16 v20, v11, v14
	v_cndmask_b32_e32 v0, v0, v2, vcc_lo
	v_cmp_lt_i16_e32 vcc_lo, v11, v14
	v_or_b32_sdwa v2, v0, v13 dst_sel:DWORD dst_unused:UNUSED_PAD src0_sel:BYTE_0 src1_sel:DWORD
	v_lshrrev_b32_e32 v13, 8, v1
	v_perm_b32 v15, v14, v0, 0xc0c0304
	v_max_i16 v14, v11, v14
	v_and_b32_e32 v2, 0xffff, v2
	v_bfe_i32 v13, v13, 0, 8
	v_lshl_or_b32 v15, v15, 16, v2
	v_min_i16 v19, v13, v16
	v_max_i16 v10, v13, v16
	v_mov_b32_e32 v2, 0xffffff00
	v_cndmask_b32_e32 v0, v0, v15, vcc_lo
	v_cmp_lt_i16_e32 vcc_lo, v13, v16
	v_lshlrev_b16 v13, 8, v19
	v_and_b32_sdwa v15, v0, v18 dst_sel:DWORD dst_unused:UNUSED_PAD src0_sel:WORD_1 src1_sel:DWORD
	v_cndmask_b32_e32 v1, v1, v17, vcc_lo
	v_lshlrev_b16 v17, 8, v9
	v_cmp_lt_i16_e32 vcc_lo, v19, v3
	v_or_b32_sdwa v13, v15, v13 dst_sel:WORD_1 dst_unused:UNUSED_PAD src0_sel:DWORD src1_sel:DWORD
	v_lshrrev_b32_e32 v16, 24, v1
	v_lshrrev_b32_e32 v21, 16, v1
	v_or_b32_sdwa v17, v20, v17 dst_sel:DWORD dst_unused:UNUSED_PAD src0_sel:BYTE_0 src1_sel:DWORD
	v_perm_b32 v15, v1, v1, 0x6070504
	v_and_or_b32 v12, 0xffff, v0, v13
	v_bfe_i32 v16, v16, 0, 8
	v_bfe_i32 v13, v21, 0, 8
	v_and_b32_e32 v17, 0xffff, v17
	v_lshlrev_b16 v21, 8, v14
	v_cndmask_b32_e32 v0, v0, v12, vcc_lo
	v_min_i16 v12, v19, v3
	v_cmp_lt_i16_e64 s8, v16, v13
	v_cmp_lt_i16_e64 s9, v12, v14
	v_cndmask_b32_e64 v1, v1, v15, s8
	v_and_or_b32 v15, 0xffff0000, v0, v17
	v_cmp_lt_i16_e64 s8, v11, v9
	v_max_i16 v17, v16, v13
	v_min_i16 v13, v16, v13
	v_or_b32_sdwa v16, v12, v21 dst_sel:WORD_1 dst_unused:UNUSED_PAD src0_sel:BYTE_0 src1_sel:DWORD
	v_perm_b32 v11, v3, v1, 0x3020104
	v_cndmask_b32_e64 v0, v0, v15, s8
	v_min_i16 v15, v12, v14
	v_max_i16 v3, v19, v3
	v_cndmask_b32_e64 v24, v20, v9, s8
	v_cndmask_b32_e32 v1, v1, v11, vcc_lo
	v_and_or_b32 v16, 0xffff, v0, v16
	v_lshlrev_b16 v23, 8, v15
	v_lshlrev_b16 v19, 8, v13
	v_min_i16 v22, v13, v10
	v_and_b32_sdwa v27, v1, v2 dst_sel:DWORD dst_unused:UNUSED_PAD src0_sel:WORD_1 src1_sel:DWORD
	v_cndmask_b32_e64 v0, v0, v16, s9
	v_lshlrev_b16 v16, 8, v3
	v_or_b32_sdwa v19, v1, v19 dst_sel:DWORD dst_unused:UNUSED_PAD src0_sel:BYTE_0 src1_sel:DWORD
	v_cmp_lt_i16_e32 vcc_lo, v15, v24
	v_or_b32_sdwa v27, v10, v27 dst_sel:WORD_1 dst_unused:UNUSED_PAD src0_sel:BYTE_0 src1_sel:DWORD
	v_or_b32_sdwa v23, v0, v23 dst_sel:DWORD dst_unused:UNUSED_PAD src0_sel:BYTE_0 src1_sel:DWORD
	v_perm_b32 v11, v24, v0, 0xc0c0304
	v_or_b32_sdwa v16, v22, v16 dst_sel:DWORD dst_unused:UNUSED_PAD src0_sel:BYTE_0 src1_sel:DWORD
	v_min_i16 v25, v22, v3
	v_max_i16 v21, v13, v10
	v_and_b32_e32 v23, 0xffff, v23
	v_cndmask_b32_e64 v9, v9, v20, s8
	v_max_i16 v12, v12, v14
	v_lshlrev_b16 v28, 8, v25
	v_lshlrev_b16 v26, 8, v21
	v_lshl_or_b32 v11, v11, 16, v23
	v_cmp_gt_i16_e64 s8, v10, v17
	v_max_i16 v14, v22, v3
	v_max_i16 v23, v25, v12
	v_or_b32_sdwa v26, v17, v26 dst_sel:WORD_1 dst_unused:UNUSED_PAD src0_sel:BYTE_0 src1_sel:DWORD
	v_cndmask_b32_e32 v0, v0, v11, vcc_lo
	v_and_b32_e32 v11, 0xffff, v16
	v_or_b32_sdwa v16, v19, v27 dst_sel:DWORD dst_unused:UNUSED_PAD src0_sel:WORD_0 src1_sel:DWORD
	v_cmp_lt_i16_e32 vcc_lo, v13, v10
	v_min_i16 v19, v15, v24
	v_and_b32_sdwa v20, v0, v18 dst_sel:DWORD dst_unused:UNUSED_PAD src0_sel:WORD_1 src1_sel:DWORD
	v_lshlrev_b16 v27, 8, v9
	v_max_i16 v15, v15, v24
	v_cndmask_b32_e32 v1, v1, v16, vcc_lo
	v_cmp_lt_i16_e32 vcc_lo, v22, v3
	v_or_b32_sdwa v16, v20, v28 dst_sel:WORD_1 dst_unused:UNUSED_PAD src0_sel:DWORD src1_sel:DWORD
	v_or_b32_sdwa v20, v19, v27 dst_sel:DWORD dst_unused:UNUSED_PAD src0_sel:BYTE_0 src1_sel:DWORD
	v_min_i16 v13, v25, v12
	v_and_or_b32 v11, 0xffff0000, v1, v11
	v_lshlrev_b16 v3, 8, v15
	v_and_or_b32 v16, 0xffff, v0, v16
	v_and_b32_e32 v20, 0xffff, v20
	v_cmp_lt_i16_e64 s9, v19, v9
	v_cndmask_b32_e32 v1, v1, v11, vcc_lo
	v_cmp_lt_i16_e32 vcc_lo, v25, v12
	v_or_b32_sdwa v3, v13, v3 dst_sel:WORD_1 dst_unused:UNUSED_PAD src0_sel:BYTE_0 src1_sel:DWORD
	v_min_i16 v22, v13, v15
	v_lshlrev_b16 v27, 8, v23
	v_max_i16 v11, v19, v9
	v_cndmask_b32_e32 v0, v0, v16, vcc_lo
	v_and_or_b32 v16, 0xffff, v1, v26
	v_lshlrev_b16 v10, 8, v22
	v_min_i16 v9, v19, v9
	v_min_i16 v19, v22, v11
	v_and_or_b32 v20, 0xffff0000, v0, v20
	v_cndmask_b32_e64 v1, v1, v16, s8
	v_max_i16 v16, v22, v11
	v_cndmask_b32_e64 v0, v0, v20, s9
	v_perm_b32 v12, v12, v1, 0x3020104
	v_cndmask_b32_e64 v20, v21, v17, s8
	v_cndmask_b32_e64 v17, v17, v21, s8
	v_and_or_b32 v3, 0xffff, v0, v3
	v_cndmask_b32_e32 v1, v1, v12, vcc_lo
	v_cmp_lt_i16_e32 vcc_lo, v13, v15
	v_lshlrev_b16 v12, 8, v20
	v_min_i16 v21, v20, v14
	v_and_b32_sdwa v24, v1, v2 dst_sel:DWORD dst_unused:UNUSED_PAD src0_sel:WORD_1 src1_sel:DWORD
	v_cndmask_b32_e32 v0, v0, v3, vcc_lo
	v_or_b32_sdwa v12, v1, v12 dst_sel:DWORD dst_unused:UNUSED_PAD src0_sel:BYTE_0 src1_sel:DWORD
	v_or_b32_sdwa v26, v21, v27 dst_sel:DWORD dst_unused:UNUSED_PAD src0_sel:BYTE_0 src1_sel:DWORD
	v_cmp_lt_i16_e32 vcc_lo, v20, v14
	v_or_b32_sdwa v24, v14, v24 dst_sel:WORD_1 dst_unused:UNUSED_PAD src0_sel:BYTE_0 src1_sel:DWORD
	v_or_b32_sdwa v10, v0, v10 dst_sel:DWORD dst_unused:UNUSED_PAD src0_sel:BYTE_0 src1_sel:DWORD
	v_perm_b32 v25, v11, v0, 0xc0c0304
	v_max_i16 v27, v20, v14
	v_lshlrev_b16 v3, 8, v9
	v_or_b32_sdwa v12, v12, v24 dst_sel:DWORD dst_unused:UNUSED_PAD src0_sel:WORD_0 src1_sel:DWORD
	v_and_b32_e32 v10, 0xffff, v10
	v_min_i16 v24, v21, v23
	v_or_b32_sdwa v3, v19, v3 dst_sel:DWORD dst_unused:UNUSED_PAD src0_sel:BYTE_0 src1_sel:DWORD
	v_cndmask_b32_e32 v1, v1, v12, vcc_lo
	v_lshl_or_b32 v10, v25, 16, v10
	v_and_b32_e32 v25, 0xffff, v26
	v_cmp_lt_i16_e32 vcc_lo, v22, v11
	v_lshlrev_b16 v12, 8, v24
	v_and_b32_e32 v3, 0xffff, v3
	v_and_or_b32 v11, 0xffff0000, v1, v25
	v_cndmask_b32_e32 v0, v0, v10, vcc_lo
	v_lshlrev_b16 v10, 8, v27
	v_cmp_lt_i16_e32 vcc_lo, v21, v23
	v_and_b32_sdwa v14, v0, v18 dst_sel:DWORD dst_unused:UNUSED_PAD src0_sel:WORD_1 src1_sel:DWORD
	v_or_b32_sdwa v10, v17, v10 dst_sel:WORD_1 dst_unused:UNUSED_PAD src0_sel:BYTE_0 src1_sel:DWORD
	v_cndmask_b32_e32 v1, v1, v11, vcc_lo
	v_max_i16 v11, v13, v15
	v_cmp_lt_i16_e32 vcc_lo, v17, v27
	v_or_b32_sdwa v12, v14, v12 dst_sel:WORD_1 dst_unused:UNUSED_PAD src0_sel:DWORD src1_sel:DWORD
	v_max_i16 v15, v17, v27
	v_and_or_b32 v10, 0xffff, v1, v10
	v_lshlrev_b16 v13, 8, v16
	v_max_i16 v14, v21, v23
	v_and_or_b32 v12, 0xffff, v0, v12
	v_cndmask_b32_e32 v1, v1, v10, vcc_lo
	v_cmp_lt_i16_e32 vcc_lo, v24, v11
	v_min_i16 v10, v17, v27
	v_perm_b32 v17, v11, v1, 0x3020104
	v_cndmask_b32_e32 v0, v0, v12, vcc_lo
	v_min_i16 v12, v24, v11
	v_max_i16 v11, v24, v11
	v_lshlrev_b16 v20, 8, v10
	v_cndmask_b32_e32 v1, v1, v17, vcc_lo
	v_and_or_b32 v3, 0xffff0000, v0, v3
	v_cmp_lt_i16_e32 vcc_lo, v22, v9
	v_or_b32_sdwa v13, v12, v13 dst_sel:WORD_1 dst_unused:UNUSED_PAD src0_sel:BYTE_0 src1_sel:DWORD
	v_min_i16 v17, v10, v14
	v_and_b32_sdwa v21, v1, v2 dst_sel:DWORD dst_unused:UNUSED_PAD src0_sel:WORD_1 src1_sel:DWORD
	v_lshlrev_b16 v22, 8, v11
	v_cndmask_b32_e32 v0, v0, v3, vcc_lo
	v_min_i16 v3, v12, v16
	v_or_b32_sdwa v20, v1, v20 dst_sel:DWORD dst_unused:UNUSED_PAD src0_sel:BYTE_0 src1_sel:DWORD
	v_or_b32_sdwa v21, v14, v21 dst_sel:WORD_1 dst_unused:UNUSED_PAD src0_sel:BYTE_0 src1_sel:DWORD
	v_cmp_lt_i16_e64 s8, v12, v16
	v_and_or_b32 v13, 0xffff, v0, v13
	v_lshlrev_b16 v23, 8, v3
	v_cndmask_b32_e32 v9, v19, v9, vcc_lo
	v_or_b32_sdwa v20, v20, v21 dst_sel:DWORD dst_unused:UNUSED_PAD src0_sel:WORD_0 src1_sel:DWORD
	v_cmp_lt_i16_e32 vcc_lo, v10, v14
	v_cndmask_b32_e64 v0, v0, v13, s8
	v_or_b32_sdwa v13, v17, v22 dst_sel:DWORD dst_unused:UNUSED_PAD src0_sel:BYTE_0 src1_sel:DWORD
	v_max_i16 v22, v10, v14
	v_min_i16 v21, v17, v11
	v_cndmask_b32_e32 v1, v1, v20, vcc_lo
	v_or_b32_sdwa v19, v0, v23 dst_sel:DWORD dst_unused:UNUSED_PAD src0_sel:BYTE_0 src1_sel:DWORD
	v_and_b32_e32 v13, 0xffff, v13
	v_perm_b32 v10, v9, v0, 0xc0c0304
	v_cmp_lt_i16_e32 vcc_lo, v17, v11
	v_lshlrev_b16 v20, 8, v22
	v_and_b32_e32 v19, 0xffff, v19
	v_and_or_b32 v13, 0xffff0000, v1, v13
	v_max_i16 v12, v12, v16
	v_lshl_or_b32 v10, v10, 16, v19
	v_cndmask_b32_e32 v1, v1, v13, vcc_lo
	v_cmp_lt_i16_e32 vcc_lo, v3, v9
	v_or_b32_sdwa v19, v15, v20 dst_sel:WORD_1 dst_unused:UNUSED_PAD src0_sel:BYTE_0 src1_sel:DWORD
	v_lshlrev_b16 v3, 8, v21
	v_cmp_lt_i16_e64 s8, v21, v12
	v_cndmask_b32_e32 v0, v0, v10, vcc_lo
	v_and_or_b32 v9, 0xffff, v1, v19
	v_cmp_gt_i16_e32 vcc_lo, v14, v15
	v_and_b32_sdwa v10, v0, v18 dst_sel:DWORD dst_unused:UNUSED_PAD src0_sel:WORD_1 src1_sel:DWORD
	v_cndmask_b32_e32 v1, v1, v9, vcc_lo
	v_or_b32_sdwa v9, v10, v3 dst_sel:WORD_1 dst_unused:UNUSED_PAD src0_sel:DWORD src1_sel:DWORD
	v_max_i16 v3, v17, v11
	v_perm_b32 v10, v12, v1, 0x3020104
	v_and_or_b32 v11, 0xffff, v0, v9
	v_cndmask_b32_e32 v9, v22, v15, vcc_lo
	v_cndmask_b32_e64 v1, v1, v10, s8
	v_cndmask_b32_e64 v0, v0, v11, s8
	s_mov_b32 s8, exec_lo
	v_cmpx_lt_i16_e64 v9, v3
; %bb.20:
	v_and_b32_sdwa v2, v1, v2 dst_sel:DWORD dst_unused:UNUSED_PAD src0_sel:WORD_1 src1_sel:DWORD
	v_lshlrev_b16 v9, 8, v9
	v_or_b32_sdwa v2, v3, v2 dst_sel:WORD_1 dst_unused:UNUSED_PAD src0_sel:BYTE_0 src1_sel:DWORD
	v_or_b32_sdwa v1, v1, v9 dst_sel:DWORD dst_unused:UNUSED_PAD src0_sel:BYTE_0 src1_sel:DWORD
	v_or_b32_sdwa v1, v1, v2 dst_sel:DWORD dst_unused:UNUSED_PAD src0_sel:WORD_0 src1_sel:DWORD
; %bb.21:
	s_or_b32 exec_lo, exec_lo, s8
.LBB70_22:
	s_or_b32 exec_lo, exec_lo, s10
	v_and_b32_e32 v2, 0x70, v7
	v_and_b32_e32 v11, 8, v7
	v_mad_u32_u24 v14, 0x81, v8, v5
	s_mov_b32 s9, 0
	s_mov_b32 s8, exec_lo
	v_min_i32_e32 v10, v6, v2
	v_min_i32_e32 v11, v6, v11
	; wave barrier
	ds_write_b64 v14, v[0:1]
	v_add_nc_u32_e32 v2, 8, v10
	; wave barrier
	v_min_i32_e32 v3, v6, v2
	v_add_nc_u32_e32 v2, 8, v3
	v_sub_nc_u32_e32 v13, v3, v10
	v_min_i32_e32 v9, v6, v2
	v_min_i32_e32 v13, v11, v13
	v_sub_nc_u32_e32 v2, v9, v3
	v_sub_nc_u32_e32 v12, v11, v2
	v_cmp_ge_i32_e32 vcc_lo, v11, v2
	v_mul_u32_u24_e32 v2, 0x81, v8
	v_cndmask_b32_e32 v12, 0, v12, vcc_lo
	v_cmpx_lt_i32_e64 v12, v13
	s_cbranch_execz .LBB70_26
; %bb.23:
	v_add_nc_u32_e32 v0, v2, v10
	v_add3_u32 v1, v2, v3, v11
	.p2align	6
.LBB70_24:                              ; =>This Inner Loop Header: Depth=1
	v_sub_nc_u32_e32 v8, v13, v12
	v_lshrrev_b32_e32 v8, 1, v8
	v_add_nc_u32_e32 v8, v8, v12
	v_add_nc_u32_e32 v14, v0, v8
	v_xad_u32 v15, v8, -1, v1
	v_add_nc_u32_e32 v16, 1, v8
	ds_read_i8 v14, v14
	ds_read_i8 v15, v15
	s_waitcnt lgkmcnt(0)
	v_cmp_lt_i16_e32 vcc_lo, v15, v14
	v_cndmask_b32_e32 v13, v13, v8, vcc_lo
	v_cndmask_b32_e32 v12, v16, v12, vcc_lo
	v_cmp_ge_i32_e32 vcc_lo, v12, v13
	s_or_b32 s9, vcc_lo, s9
	s_andn2_b32 exec_lo, exec_lo, s9
	s_cbranch_execnz .LBB70_24
; %bb.25:
	s_or_b32 exec_lo, exec_lo, s9
.LBB70_26:
	s_or_b32 exec_lo, exec_lo, s8
	v_add_nc_u32_e32 v0, v3, v11
	v_add_nc_u32_e32 v11, v12, v10
                                        ; implicit-def: $vgpr8
	v_sub_nc_u32_e32 v12, v0, v12
	v_add_nc_u32_e32 v10, v2, v11
	v_cmp_le_i32_e32 vcc_lo, v3, v11
	v_add_nc_u32_e32 v13, v2, v12
	v_cmp_gt_i32_e64 s9, v9, v12
	ds_read_u8 v0, v10
	ds_read_u8 v1, v13
	s_waitcnt lgkmcnt(1)
	v_bfe_i32 v0, v0, 0, 8
	s_waitcnt lgkmcnt(0)
	v_bfe_i32 v1, v1, 0, 8
	v_cmp_lt_i16_e64 s8, v1, v0
	s_or_b32 s8, vcc_lo, s8
	s_and_b32 s8, s9, s8
	s_xor_b32 s9, s8, -1
	s_and_saveexec_b32 s10, s9
	s_xor_b32 s9, exec_lo, s10
; %bb.27:
	ds_read_u8 v8, v10 offset:1
                                        ; implicit-def: $vgpr13
; %bb.28:
	s_or_saveexec_b32 s9, s9
	v_mov_b32_e32 v10, v1
	s_xor_b32 exec_lo, exec_lo, s9
	s_cbranch_execz .LBB70_30
; %bb.29:
	ds_read_u8 v10, v13 offset:1
	s_waitcnt lgkmcnt(1)
	v_mov_b32_e32 v8, v0
.LBB70_30:
	s_or_b32 exec_lo, exec_lo, s9
	v_add_nc_u32_e32 v13, 1, v11
	v_add_nc_u32_e32 v15, 1, v12
	s_waitcnt lgkmcnt(0)
	v_cmp_lt_i16_sdwa s10, sext(v10), sext(v8) src0_sel:BYTE_0 src1_sel:BYTE_0
	v_cndmask_b32_e64 v14, v13, v11, s8
	v_cndmask_b32_e64 v13, v12, v15, s8
                                        ; implicit-def: $vgpr11
	v_cmp_ge_i32_e32 vcc_lo, v14, v3
	v_cmp_lt_i32_e64 s9, v13, v9
	s_or_b32 s10, vcc_lo, s10
	s_and_b32 s9, s9, s10
	s_xor_b32 s10, s9, -1
	s_and_saveexec_b32 s11, s10
	s_xor_b32 s10, exec_lo, s11
; %bb.31:
	v_add_nc_u32_e32 v11, v2, v14
	ds_read_u8 v11, v11 offset:1
; %bb.32:
	s_or_saveexec_b32 s10, s10
	v_mov_b32_e32 v12, v10
	s_xor_b32 exec_lo, exec_lo, s10
	s_cbranch_execz .LBB70_34
; %bb.33:
	s_waitcnt lgkmcnt(0)
	v_add_nc_u32_e32 v11, v2, v13
	ds_read_u8 v12, v11 offset:1
	v_mov_b32_e32 v11, v8
.LBB70_34:
	s_or_b32 exec_lo, exec_lo, s10
	v_add_nc_u32_e32 v15, 1, v14
	v_add_nc_u32_e32 v17, 1, v13
	s_waitcnt lgkmcnt(0)
	v_cmp_lt_i16_sdwa s11, sext(v12), sext(v11) src0_sel:BYTE_0 src1_sel:BYTE_0
	v_cndmask_b32_e64 v16, v15, v14, s9
	v_cndmask_b32_e64 v15, v13, v17, s9
                                        ; implicit-def: $vgpr13
	v_cmp_ge_i32_e32 vcc_lo, v16, v3
	v_cmp_lt_i32_e64 s10, v15, v9
	s_or_b32 s11, vcc_lo, s11
	s_and_b32 s10, s10, s11
	s_xor_b32 s11, s10, -1
	s_and_saveexec_b32 s12, s11
	s_xor_b32 s11, exec_lo, s12
; %bb.35:
	v_add_nc_u32_e32 v13, v2, v16
	ds_read_u8 v13, v13 offset:1
; %bb.36:
	s_or_saveexec_b32 s11, s11
	v_mov_b32_e32 v14, v12
	s_xor_b32 exec_lo, exec_lo, s11
	s_cbranch_execz .LBB70_38
; %bb.37:
	s_waitcnt lgkmcnt(0)
	v_add_nc_u32_e32 v13, v2, v15
	ds_read_u8 v14, v13 offset:1
	v_mov_b32_e32 v13, v11
.LBB70_38:
	s_or_b32 exec_lo, exec_lo, s11
	v_add_nc_u32_e32 v17, 1, v16
	v_add_nc_u32_e32 v19, 1, v15
	s_waitcnt lgkmcnt(0)
	v_cmp_lt_i16_sdwa s12, sext(v14), sext(v13) src0_sel:BYTE_0 src1_sel:BYTE_0
	v_cndmask_b32_e64 v18, v17, v16, s10
	v_cndmask_b32_e64 v17, v15, v19, s10
                                        ; implicit-def: $vgpr15
	v_cmp_ge_i32_e32 vcc_lo, v18, v3
	v_cmp_lt_i32_e64 s11, v17, v9
	s_or_b32 s12, vcc_lo, s12
	s_and_b32 s11, s11, s12
	s_xor_b32 s12, s11, -1
	s_and_saveexec_b32 s13, s12
	s_xor_b32 s12, exec_lo, s13
; %bb.39:
	v_add_nc_u32_e32 v15, v2, v18
	ds_read_u8 v15, v15 offset:1
; %bb.40:
	s_or_saveexec_b32 s12, s12
	v_mov_b32_e32 v16, v14
	s_xor_b32 exec_lo, exec_lo, s12
	s_cbranch_execz .LBB70_42
; %bb.41:
	s_waitcnt lgkmcnt(0)
	v_add_nc_u32_e32 v15, v2, v17
	ds_read_u8 v16, v15 offset:1
	v_mov_b32_e32 v15, v13
.LBB70_42:
	s_or_b32 exec_lo, exec_lo, s12
	v_add_nc_u32_e32 v19, 1, v18
	v_add_nc_u32_e32 v21, 1, v17
	s_waitcnt lgkmcnt(0)
	v_cmp_lt_i16_sdwa s13, sext(v16), sext(v15) src0_sel:BYTE_0 src1_sel:BYTE_0
	v_cndmask_b32_e64 v20, v19, v18, s11
	v_cndmask_b32_e64 v19, v17, v21, s11
                                        ; implicit-def: $vgpr17
	v_cmp_ge_i32_e32 vcc_lo, v20, v3
	v_cmp_lt_i32_e64 s12, v19, v9
	s_or_b32 s13, vcc_lo, s13
	s_and_b32 s12, s12, s13
	s_xor_b32 s13, s12, -1
	s_and_saveexec_b32 s14, s13
	s_xor_b32 s13, exec_lo, s14
; %bb.43:
	v_add_nc_u32_e32 v17, v2, v20
	ds_read_u8 v17, v17 offset:1
; %bb.44:
	s_or_saveexec_b32 s13, s13
	v_mov_b32_e32 v18, v16
	s_xor_b32 exec_lo, exec_lo, s13
	s_cbranch_execz .LBB70_46
; %bb.45:
	s_waitcnt lgkmcnt(0)
	v_add_nc_u32_e32 v17, v2, v19
	ds_read_u8 v18, v17 offset:1
	v_mov_b32_e32 v17, v15
.LBB70_46:
	s_or_b32 exec_lo, exec_lo, s13
	v_add_nc_u32_e32 v21, 1, v20
	v_add_nc_u32_e32 v22, 1, v19
	s_waitcnt lgkmcnt(0)
	v_cmp_lt_i16_sdwa s14, sext(v18), sext(v17) src0_sel:BYTE_0 src1_sel:BYTE_0
	v_cndmask_b32_e64 v21, v21, v20, s12
	v_cndmask_b32_e64 v22, v19, v22, s12
                                        ; implicit-def: $vgpr19
	v_cmp_ge_i32_e32 vcc_lo, v21, v3
	v_cmp_lt_i32_e64 s13, v22, v9
	s_or_b32 s14, vcc_lo, s14
	s_and_b32 vcc_lo, s13, s14
	s_xor_b32 s13, vcc_lo, -1
	s_and_saveexec_b32 s14, s13
	s_xor_b32 s13, exec_lo, s14
; %bb.47:
	v_add_nc_u32_e32 v19, v2, v21
	ds_read_u8 v19, v19 offset:1
; %bb.48:
	s_or_saveexec_b32 s13, s13
	v_mov_b32_e32 v20, v18
	s_xor_b32 exec_lo, exec_lo, s13
	s_cbranch_execz .LBB70_50
; %bb.49:
	s_waitcnt lgkmcnt(0)
	v_add_nc_u32_e32 v19, v2, v22
	ds_read_u8 v20, v19 offset:1
	v_mov_b32_e32 v19, v17
.LBB70_50:
	s_or_b32 exec_lo, exec_lo, s13
	v_add_nc_u32_e32 v23, 1, v21
	v_add_nc_u32_e32 v24, 1, v22
	s_waitcnt lgkmcnt(0)
	v_cmp_lt_i16_sdwa s15, sext(v20), sext(v19) src0_sel:BYTE_0 src1_sel:BYTE_0
	v_cndmask_b32_e32 v21, v23, v21, vcc_lo
	v_cndmask_b32_e32 v22, v22, v24, vcc_lo
                                        ; implicit-def: $vgpr23
	v_cmp_ge_i32_e64 s13, v21, v3
	v_cmp_lt_i32_e64 s14, v22, v9
	s_or_b32 s13, s13, s15
	s_and_b32 s13, s14, s13
	s_xor_b32 s14, s13, -1
	s_and_saveexec_b32 s15, s14
	s_xor_b32 s14, exec_lo, s15
; %bb.51:
	v_add_nc_u32_e32 v23, v2, v21
	ds_read_u8 v23, v23 offset:1
; %bb.52:
	s_or_saveexec_b32 s14, s14
	v_mov_b32_e32 v24, v20
	s_xor_b32 exec_lo, exec_lo, s14
	s_cbranch_execz .LBB70_54
; %bb.53:
	s_waitcnt lgkmcnt(0)
	v_add_nc_u32_e32 v23, v2, v22
	ds_read_u8 v24, v23 offset:1
	v_mov_b32_e32 v23, v19
.LBB70_54:
	s_or_b32 exec_lo, exec_lo, s14
	v_and_b32_e32 v25, 0x60, v7
	v_cndmask_b32_e64 v20, v19, v20, s13
	v_add_nc_u32_e32 v27, 1, v21
	v_add_nc_u32_e32 v26, 1, v22
	v_cndmask_b32_e64 v8, v8, v10, s9
	v_min_i32_e32 v19, v6, v25
	v_cndmask_b32_e64 v10, v0, v1, s8
	v_cndmask_b32_e64 v15, v15, v16, s12
	;; [unrolled: 1-line block ×4, first 2 shown]
	v_add_nc_u32_e32 v1, 16, v19
	v_cndmask_b32_e64 v12, v22, v26, s13
	s_waitcnt lgkmcnt(0)
	v_cmp_lt_i16_sdwa s10, sext(v24), sext(v23) src0_sel:BYTE_0 src1_sel:BYTE_0
	v_cmp_ge_i32_e64 s9, v16, v3
	v_cndmask_b32_sdwa v17, v17, v18, vcc_lo dst_sel:BYTE_1 dst_unused:UNUSED_PAD src0_sel:DWORD src1_sel:DWORD
	v_min_i32_e32 v1, v6, v1
	v_cmp_lt_i32_e64 s8, v12, v9
	s_mov_b32 vcc_lo, s11
	s_or_b32 s9, s9, s10
	v_cndmask_b32_sdwa v9, v13, v14, vcc_lo dst_sel:BYTE_1 dst_unused:UNUSED_PAD src0_sel:DWORD src1_sel:DWORD
	v_add_nc_u32_e32 v3, 16, v1
	s_and_b32 vcc_lo, s8, s9
	v_and_b32_e32 v21, 24, v7
	v_cndmask_b32_e32 v12, v23, v24, vcc_lo
	v_lshlrev_b16 v13, 8, v8
	v_min_i32_e32 v3, v6, v3
	v_or_b32_sdwa v9, v11, v9 dst_sel:WORD_1 dst_unused:UNUSED_PAD src0_sel:BYTE_0 src1_sel:DWORD
	v_min_i32_e32 v8, v6, v21
	v_lshlrev_b16 v11, 8, v12
	v_or_b32_sdwa v10, v10, v13 dst_sel:DWORD dst_unused:UNUSED_PAD src0_sel:BYTE_0 src1_sel:DWORD
	v_sub_nc_u32_e32 v14, v3, v1
	v_or_b32_sdwa v12, v15, v17 dst_sel:DWORD dst_unused:UNUSED_PAD src0_sel:BYTE_0 src1_sel:DWORD
	v_sub_nc_u32_e32 v15, v1, v19
	v_or_b32_sdwa v16, v20, v11 dst_sel:WORD_1 dst_unused:UNUSED_PAD src0_sel:BYTE_0 src1_sel:DWORD
	v_add_nc_u32_e32 v0, v2, v5
	v_sub_nc_u32_e32 v13, v8, v14
	v_cmp_ge_i32_e32 vcc_lo, v8, v14
	v_or_b32_sdwa v11, v10, v9 dst_sel:DWORD dst_unused:UNUSED_PAD src0_sel:WORD_0 src1_sel:DWORD
	v_min_i32_e32 v10, v8, v15
	v_or_b32_sdwa v12, v12, v16 dst_sel:DWORD dst_unused:UNUSED_PAD src0_sel:WORD_0 src1_sel:DWORD
	s_mov_b32 s9, 0
	v_cndmask_b32_e32 v9, 0, v13, vcc_lo
	s_mov_b32 s8, exec_lo
	; wave barrier
	ds_write_b64 v0, v[11:12]
	; wave barrier
	v_cmpx_lt_i32_e64 v9, v10
	s_cbranch_execz .LBB70_58
; %bb.55:
	v_add_nc_u32_e32 v11, v2, v19
	v_add3_u32 v12, v2, v1, v8
	.p2align	6
.LBB70_56:                              ; =>This Inner Loop Header: Depth=1
	v_sub_nc_u32_e32 v13, v10, v9
	v_lshrrev_b32_e32 v13, 1, v13
	v_add_nc_u32_e32 v13, v13, v9
	v_add_nc_u32_e32 v14, v11, v13
	v_xad_u32 v15, v13, -1, v12
	v_add_nc_u32_e32 v16, 1, v13
	ds_read_i8 v14, v14
	ds_read_i8 v15, v15
	s_waitcnt lgkmcnt(0)
	v_cmp_lt_i16_e32 vcc_lo, v15, v14
	v_cndmask_b32_e32 v10, v10, v13, vcc_lo
	v_cndmask_b32_e32 v9, v16, v9, vcc_lo
	v_cmp_ge_i32_e32 vcc_lo, v9, v10
	s_or_b32 s9, vcc_lo, s9
	s_andn2_b32 exec_lo, exec_lo, s9
	s_cbranch_execnz .LBB70_56
; %bb.57:
	s_or_b32 exec_lo, exec_lo, s9
.LBB70_58:
	s_or_b32 exec_lo, exec_lo, s8
	v_add_nc_u32_e32 v8, v1, v8
	v_add_nc_u32_e32 v12, v9, v19
                                        ; implicit-def: $vgpr10
	v_sub_nc_u32_e32 v13, v8, v9
	v_add_nc_u32_e32 v11, v2, v12
	v_cmp_le_i32_e32 vcc_lo, v1, v12
	v_add_nc_u32_e32 v14, v2, v13
	v_cmp_gt_i32_e64 s9, v3, v13
	ds_read_u8 v8, v11
	ds_read_u8 v9, v14
	s_waitcnt lgkmcnt(1)
	v_bfe_i32 v8, v8, 0, 8
	s_waitcnt lgkmcnt(0)
	v_bfe_i32 v9, v9, 0, 8
	v_cmp_lt_i16_e64 s8, v9, v8
	s_or_b32 s8, vcc_lo, s8
	s_and_b32 s8, s9, s8
	s_xor_b32 s9, s8, -1
	s_and_saveexec_b32 s10, s9
	s_xor_b32 s9, exec_lo, s10
; %bb.59:
	ds_read_u8 v10, v11 offset:1
                                        ; implicit-def: $vgpr14
; %bb.60:
	s_or_saveexec_b32 s9, s9
	v_mov_b32_e32 v11, v9
	s_xor_b32 exec_lo, exec_lo, s9
	s_cbranch_execz .LBB70_62
; %bb.61:
	ds_read_u8 v11, v14 offset:1
	s_waitcnt lgkmcnt(1)
	v_mov_b32_e32 v10, v8
.LBB70_62:
	s_or_b32 exec_lo, exec_lo, s9
	v_add_nc_u32_e32 v14, 1, v12
	v_add_nc_u32_e32 v16, 1, v13
	s_waitcnt lgkmcnt(0)
	v_cmp_lt_i16_sdwa s10, sext(v11), sext(v10) src0_sel:BYTE_0 src1_sel:BYTE_0
	v_cndmask_b32_e64 v15, v14, v12, s8
	v_cndmask_b32_e64 v14, v13, v16, s8
                                        ; implicit-def: $vgpr12
	v_cmp_ge_i32_e32 vcc_lo, v15, v1
	v_cmp_lt_i32_e64 s9, v14, v3
	s_or_b32 s10, vcc_lo, s10
	s_and_b32 s9, s9, s10
	s_xor_b32 s10, s9, -1
	s_and_saveexec_b32 s11, s10
	s_xor_b32 s10, exec_lo, s11
; %bb.63:
	v_add_nc_u32_e32 v12, v2, v15
	ds_read_u8 v12, v12 offset:1
; %bb.64:
	s_or_saveexec_b32 s10, s10
	v_mov_b32_e32 v13, v11
	s_xor_b32 exec_lo, exec_lo, s10
	s_cbranch_execz .LBB70_66
; %bb.65:
	s_waitcnt lgkmcnt(0)
	v_add_nc_u32_e32 v12, v2, v14
	ds_read_u8 v13, v12 offset:1
	v_mov_b32_e32 v12, v10
.LBB70_66:
	s_or_b32 exec_lo, exec_lo, s10
	v_add_nc_u32_e32 v16, 1, v15
	v_add_nc_u32_e32 v18, 1, v14
	s_waitcnt lgkmcnt(0)
	v_cmp_lt_i16_sdwa s11, sext(v13), sext(v12) src0_sel:BYTE_0 src1_sel:BYTE_0
	v_cndmask_b32_e64 v17, v16, v15, s9
	v_cndmask_b32_e64 v16, v14, v18, s9
                                        ; implicit-def: $vgpr14
	v_cmp_ge_i32_e32 vcc_lo, v17, v1
	v_cmp_lt_i32_e64 s10, v16, v3
	s_or_b32 s11, vcc_lo, s11
	s_and_b32 s10, s10, s11
	s_xor_b32 s11, s10, -1
	s_and_saveexec_b32 s12, s11
	s_xor_b32 s11, exec_lo, s12
; %bb.67:
	v_add_nc_u32_e32 v14, v2, v17
	ds_read_u8 v14, v14 offset:1
; %bb.68:
	s_or_saveexec_b32 s11, s11
	v_mov_b32_e32 v15, v13
	s_xor_b32 exec_lo, exec_lo, s11
	s_cbranch_execz .LBB70_70
; %bb.69:
	s_waitcnt lgkmcnt(0)
	v_add_nc_u32_e32 v14, v2, v16
	ds_read_u8 v15, v14 offset:1
	v_mov_b32_e32 v14, v12
.LBB70_70:
	s_or_b32 exec_lo, exec_lo, s11
	v_add_nc_u32_e32 v18, 1, v17
	v_add_nc_u32_e32 v20, 1, v16
	s_waitcnt lgkmcnt(0)
	v_cmp_lt_i16_sdwa s12, sext(v15), sext(v14) src0_sel:BYTE_0 src1_sel:BYTE_0
	v_cndmask_b32_e64 v19, v18, v17, s10
	v_cndmask_b32_e64 v18, v16, v20, s10
                                        ; implicit-def: $vgpr16
	v_cmp_ge_i32_e32 vcc_lo, v19, v1
	v_cmp_lt_i32_e64 s11, v18, v3
	s_or_b32 s12, vcc_lo, s12
	s_and_b32 s11, s11, s12
	s_xor_b32 s12, s11, -1
	s_and_saveexec_b32 s13, s12
	s_xor_b32 s12, exec_lo, s13
; %bb.71:
	v_add_nc_u32_e32 v16, v2, v19
	ds_read_u8 v16, v16 offset:1
; %bb.72:
	s_or_saveexec_b32 s12, s12
	v_mov_b32_e32 v17, v15
	s_xor_b32 exec_lo, exec_lo, s12
	s_cbranch_execz .LBB70_74
; %bb.73:
	s_waitcnt lgkmcnt(0)
	v_add_nc_u32_e32 v16, v2, v18
	ds_read_u8 v17, v16 offset:1
	v_mov_b32_e32 v16, v14
.LBB70_74:
	s_or_b32 exec_lo, exec_lo, s12
	v_add_nc_u32_e32 v20, 1, v19
	v_add_nc_u32_e32 v22, 1, v18
	s_waitcnt lgkmcnt(0)
	v_cmp_lt_i16_sdwa s13, sext(v17), sext(v16) src0_sel:BYTE_0 src1_sel:BYTE_0
	v_cndmask_b32_e64 v21, v20, v19, s11
	v_cndmask_b32_e64 v20, v18, v22, s11
                                        ; implicit-def: $vgpr18
	v_cmp_ge_i32_e32 vcc_lo, v21, v1
	v_cmp_lt_i32_e64 s12, v20, v3
	s_or_b32 s13, vcc_lo, s13
	s_and_b32 s12, s12, s13
	s_xor_b32 s13, s12, -1
	s_and_saveexec_b32 s14, s13
	s_xor_b32 s13, exec_lo, s14
; %bb.75:
	v_add_nc_u32_e32 v18, v2, v21
	ds_read_u8 v18, v18 offset:1
; %bb.76:
	s_or_saveexec_b32 s13, s13
	v_mov_b32_e32 v19, v17
	s_xor_b32 exec_lo, exec_lo, s13
	s_cbranch_execz .LBB70_78
; %bb.77:
	s_waitcnt lgkmcnt(0)
	v_add_nc_u32_e32 v18, v2, v20
	ds_read_u8 v19, v18 offset:1
	v_mov_b32_e32 v18, v16
.LBB70_78:
	s_or_b32 exec_lo, exec_lo, s13
	v_add_nc_u32_e32 v22, 1, v21
	v_add_nc_u32_e32 v23, 1, v20
	s_waitcnt lgkmcnt(0)
	v_cmp_lt_i16_sdwa s14, sext(v19), sext(v18) src0_sel:BYTE_0 src1_sel:BYTE_0
	v_cndmask_b32_e64 v22, v22, v21, s12
	v_cndmask_b32_e64 v23, v20, v23, s12
                                        ; implicit-def: $vgpr20
	v_cmp_ge_i32_e32 vcc_lo, v22, v1
	v_cmp_lt_i32_e64 s13, v23, v3
	s_or_b32 s14, vcc_lo, s14
	s_and_b32 vcc_lo, s13, s14
	s_xor_b32 s13, vcc_lo, -1
	s_and_saveexec_b32 s14, s13
	s_xor_b32 s13, exec_lo, s14
; %bb.79:
	v_add_nc_u32_e32 v20, v2, v22
	ds_read_u8 v20, v20 offset:1
; %bb.80:
	s_or_saveexec_b32 s13, s13
	v_mov_b32_e32 v21, v19
	s_xor_b32 exec_lo, exec_lo, s13
	s_cbranch_execz .LBB70_82
; %bb.81:
	s_waitcnt lgkmcnt(0)
	v_add_nc_u32_e32 v20, v2, v23
	ds_read_u8 v21, v20 offset:1
	v_mov_b32_e32 v20, v18
.LBB70_82:
	s_or_b32 exec_lo, exec_lo, s13
	v_add_nc_u32_e32 v24, 1, v22
	v_add_nc_u32_e32 v25, 1, v23
	s_waitcnt lgkmcnt(0)
	v_cmp_lt_i16_sdwa s15, sext(v21), sext(v20) src0_sel:BYTE_0 src1_sel:BYTE_0
	v_cndmask_b32_e32 v22, v24, v22, vcc_lo
	v_cndmask_b32_e32 v23, v23, v25, vcc_lo
                                        ; implicit-def: $vgpr24
	v_cmp_ge_i32_e64 s13, v22, v1
	v_cmp_lt_i32_e64 s14, v23, v3
	s_or_b32 s13, s13, s15
	s_and_b32 s13, s14, s13
	s_xor_b32 s14, s13, -1
	s_and_saveexec_b32 s15, s14
	s_xor_b32 s14, exec_lo, s15
; %bb.83:
	v_add_nc_u32_e32 v24, v2, v22
	ds_read_u8 v24, v24 offset:1
; %bb.84:
	s_or_saveexec_b32 s14, s14
	v_mov_b32_e32 v25, v21
	s_xor_b32 exec_lo, exec_lo, s14
	s_cbranch_execz .LBB70_86
; %bb.85:
	s_waitcnt lgkmcnt(0)
	v_add_nc_u32_e32 v24, v2, v23
	ds_read_u8 v25, v24 offset:1
	v_mov_b32_e32 v24, v20
.LBB70_86:
	s_or_b32 exec_lo, exec_lo, s14
	v_and_b32_e32 v26, 64, v7
	v_cndmask_b32_e64 v21, v20, v21, s13
	v_add_nc_u32_e32 v27, 1, v23
	v_cndmask_b32_e64 v10, v10, v11, s9
	v_cndmask_b32_e64 v16, v16, v17, s12
	v_min_i32_e32 v20, v6, v26
	v_add_nc_u32_e32 v26, 1, v22
	v_cndmask_b32_e64 v12, v12, v13, s10
	v_cndmask_b32_e64 v13, v23, v27, s13
	;; [unrolled: 1-line block ×3, first 2 shown]
	v_add_nc_u32_e32 v11, 32, v20
	v_cndmask_b32_e64 v17, v26, v22, s13
	s_waitcnt lgkmcnt(0)
	v_cmp_lt_i16_sdwa s10, sext(v25), sext(v24) src0_sel:BYTE_0 src1_sel:BYTE_0
	v_cmp_lt_i32_e64 s8, v13, v3
	v_and_b32_e32 v7, 56, v7
	v_min_i32_e32 v8, v6, v11
	v_cmp_ge_i32_e64 s9, v17, v1
	v_cndmask_b32_sdwa v11, v18, v19, vcc_lo dst_sel:BYTE_1 dst_unused:UNUSED_PAD src0_sel:DWORD src1_sel:DWORD
	s_mov_b32 vcc_lo, s11
	v_lshlrev_b16 v10, 8, v10
	v_add_nc_u32_e32 v1, 32, v8
	s_or_b32 s9, s9, s10
	v_cndmask_b32_sdwa v13, v14, v15, vcc_lo dst_sel:BYTE_1 dst_unused:UNUSED_PAD src0_sel:DWORD src1_sel:DWORD
	s_and_b32 vcc_lo, s8, s9
	v_min_i32_e32 v3, v6, v7
	v_min_i32_e32 v1, v6, v1
	v_cndmask_b32_e32 v14, v24, v25, vcc_lo
	v_or_b32_sdwa v12, v12, v13 dst_sel:WORD_1 dst_unused:UNUSED_PAD src0_sel:BYTE_0 src1_sel:DWORD
	v_or_b32_sdwa v9, v9, v10 dst_sel:DWORD dst_unused:UNUSED_PAD src0_sel:BYTE_0 src1_sel:DWORD
	v_or_b32_sdwa v11, v16, v11 dst_sel:DWORD dst_unused:UNUSED_PAD src0_sel:BYTE_0 src1_sel:DWORD
	v_sub_nc_u32_e32 v7, v1, v8
	v_lshlrev_b16 v13, 8, v14
	v_sub_nc_u32_e32 v15, v8, v20
	v_or_b32_sdwa v10, v9, v12 dst_sel:DWORD dst_unused:UNUSED_PAD src0_sel:WORD_0 src1_sel:DWORD
	s_mov_b32 s9, 0
	v_sub_nc_u32_e32 v14, v3, v7
	v_or_b32_sdwa v13, v21, v13 dst_sel:WORD_1 dst_unused:UNUSED_PAD src0_sel:BYTE_0 src1_sel:DWORD
	v_cmp_ge_i32_e32 vcc_lo, v3, v7
	v_min_i32_e32 v9, v3, v15
	s_mov_b32 s8, exec_lo
	v_or_b32_sdwa v11, v11, v13 dst_sel:DWORD dst_unused:UNUSED_PAD src0_sel:WORD_0 src1_sel:DWORD
	v_cndmask_b32_e32 v7, 0, v14, vcc_lo
	; wave barrier
	ds_write_b64 v0, v[10:11]
	; wave barrier
	v_cmpx_lt_i32_e64 v7, v9
	s_cbranch_execz .LBB70_90
; %bb.87:
	v_add_nc_u32_e32 v10, v2, v20
	v_add3_u32 v11, v2, v8, v3
	.p2align	6
.LBB70_88:                              ; =>This Inner Loop Header: Depth=1
	v_sub_nc_u32_e32 v12, v9, v7
	v_lshrrev_b32_e32 v12, 1, v12
	v_add_nc_u32_e32 v12, v12, v7
	v_add_nc_u32_e32 v13, v10, v12
	v_xad_u32 v14, v12, -1, v11
	v_add_nc_u32_e32 v15, 1, v12
	ds_read_i8 v13, v13
	ds_read_i8 v14, v14
	s_waitcnt lgkmcnt(0)
	v_cmp_lt_i16_e32 vcc_lo, v14, v13
	v_cndmask_b32_e32 v9, v9, v12, vcc_lo
	v_cndmask_b32_e32 v7, v15, v7, vcc_lo
	v_cmp_ge_i32_e32 vcc_lo, v7, v9
	s_or_b32 s9, vcc_lo, s9
	s_andn2_b32 exec_lo, exec_lo, s9
	s_cbranch_execnz .LBB70_88
; %bb.89:
	s_or_b32 exec_lo, exec_lo, s9
.LBB70_90:
	s_or_b32 exec_lo, exec_lo, s8
	v_add_nc_u32_e32 v9, v8, v3
	v_add_nc_u32_e32 v3, v7, v20
                                        ; implicit-def: $vgpr10
	v_sub_nc_u32_e32 v12, v9, v7
	v_add_nc_u32_e32 v11, v2, v3
	v_cmp_le_i32_e32 vcc_lo, v8, v3
	v_add_nc_u32_e32 v13, v2, v12
	v_cmp_gt_i32_e64 s9, v1, v12
	ds_read_u8 v7, v11
	ds_read_u8 v9, v13
	s_waitcnt lgkmcnt(1)
	v_bfe_i32 v7, v7, 0, 8
	s_waitcnt lgkmcnt(0)
	v_bfe_i32 v9, v9, 0, 8
	v_cmp_lt_i16_e64 s8, v9, v7
	s_or_b32 s8, vcc_lo, s8
	s_and_b32 s8, s9, s8
	s_xor_b32 s9, s8, -1
	s_and_saveexec_b32 s10, s9
	s_xor_b32 s9, exec_lo, s10
; %bb.91:
	ds_read_u8 v10, v11 offset:1
                                        ; implicit-def: $vgpr13
; %bb.92:
	s_or_saveexec_b32 s9, s9
	v_mov_b32_e32 v11, v9
	s_xor_b32 exec_lo, exec_lo, s9
	s_cbranch_execz .LBB70_94
; %bb.93:
	ds_read_u8 v11, v13 offset:1
	s_waitcnt lgkmcnt(1)
	v_mov_b32_e32 v10, v7
.LBB70_94:
	s_or_b32 exec_lo, exec_lo, s9
	v_add_nc_u32_e32 v13, 1, v3
	v_add_nc_u32_e32 v15, 1, v12
	s_waitcnt lgkmcnt(0)
	v_cmp_lt_i16_sdwa s10, sext(v11), sext(v10) src0_sel:BYTE_0 src1_sel:BYTE_0
	v_cndmask_b32_e64 v14, v13, v3, s8
	v_cndmask_b32_e64 v3, v12, v15, s8
                                        ; implicit-def: $vgpr12
	v_cmp_ge_i32_e32 vcc_lo, v14, v8
	v_cmp_lt_i32_e64 s9, v3, v1
	s_or_b32 s10, vcc_lo, s10
	s_and_b32 s9, s9, s10
	s_xor_b32 s10, s9, -1
	s_and_saveexec_b32 s11, s10
	s_xor_b32 s10, exec_lo, s11
; %bb.95:
	v_add_nc_u32_e32 v12, v2, v14
	ds_read_u8 v12, v12 offset:1
; %bb.96:
	s_or_saveexec_b32 s10, s10
	v_mov_b32_e32 v13, v11
	s_xor_b32 exec_lo, exec_lo, s10
	s_cbranch_execz .LBB70_98
; %bb.97:
	s_waitcnt lgkmcnt(0)
	v_add_nc_u32_e32 v12, v2, v3
	ds_read_u8 v13, v12 offset:1
	v_mov_b32_e32 v12, v10
.LBB70_98:
	s_or_b32 exec_lo, exec_lo, s10
	v_add_nc_u32_e32 v15, 1, v14
	v_add_nc_u32_e32 v17, 1, v3
	s_waitcnt lgkmcnt(0)
	v_cmp_lt_i16_sdwa s11, sext(v13), sext(v12) src0_sel:BYTE_0 src1_sel:BYTE_0
	v_cndmask_b32_e64 v16, v15, v14, s9
	v_cndmask_b32_e64 v3, v3, v17, s9
                                        ; implicit-def: $vgpr14
	v_cmp_ge_i32_e32 vcc_lo, v16, v8
	v_cmp_lt_i32_e64 s10, v3, v1
	s_or_b32 s11, vcc_lo, s11
	s_and_b32 s10, s10, s11
	s_xor_b32 s11, s10, -1
	s_and_saveexec_b32 s12, s11
	s_xor_b32 s11, exec_lo, s12
; %bb.99:
	v_add_nc_u32_e32 v14, v2, v16
	ds_read_u8 v14, v14 offset:1
; %bb.100:
	s_or_saveexec_b32 s11, s11
	v_mov_b32_e32 v15, v13
	s_xor_b32 exec_lo, exec_lo, s11
	s_cbranch_execz .LBB70_102
; %bb.101:
	s_waitcnt lgkmcnt(0)
	v_add_nc_u32_e32 v14, v2, v3
	ds_read_u8 v15, v14 offset:1
	v_mov_b32_e32 v14, v12
.LBB70_102:
	s_or_b32 exec_lo, exec_lo, s11
	v_add_nc_u32_e32 v17, 1, v16
	v_add_nc_u32_e32 v19, 1, v3
	s_waitcnt lgkmcnt(0)
	v_cmp_lt_i16_sdwa s12, sext(v15), sext(v14) src0_sel:BYTE_0 src1_sel:BYTE_0
	v_cndmask_b32_e64 v18, v17, v16, s10
	v_cndmask_b32_e64 v17, v3, v19, s10
                                        ; implicit-def: $vgpr3
	v_cmp_ge_i32_e32 vcc_lo, v18, v8
	v_cmp_lt_i32_e64 s11, v17, v1
	s_or_b32 s12, vcc_lo, s12
	s_and_b32 s11, s11, s12
	s_xor_b32 s12, s11, -1
	s_and_saveexec_b32 s13, s12
	s_xor_b32 s12, exec_lo, s13
; %bb.103:
	v_add_nc_u32_e32 v3, v2, v18
	ds_read_u8 v3, v3 offset:1
; %bb.104:
	s_or_saveexec_b32 s12, s12
	v_mov_b32_e32 v16, v15
	s_xor_b32 exec_lo, exec_lo, s12
	s_cbranch_execz .LBB70_106
; %bb.105:
	s_waitcnt lgkmcnt(0)
	v_add_nc_u32_e32 v3, v2, v17
	ds_read_u8 v16, v3 offset:1
	v_mov_b32_e32 v3, v14
.LBB70_106:
	s_or_b32 exec_lo, exec_lo, s12
	v_add_nc_u32_e32 v19, 1, v18
	v_add_nc_u32_e32 v21, 1, v17
	s_waitcnt lgkmcnt(0)
	v_cmp_lt_i16_sdwa s13, sext(v16), sext(v3) src0_sel:BYTE_0 src1_sel:BYTE_0
	v_cndmask_b32_e64 v20, v19, v18, s11
	v_cndmask_b32_e64 v19, v17, v21, s11
                                        ; implicit-def: $vgpr17
	v_cmp_ge_i32_e32 vcc_lo, v20, v8
	v_cmp_lt_i32_e64 s12, v19, v1
	s_or_b32 s13, vcc_lo, s13
	s_and_b32 s12, s12, s13
	s_xor_b32 s13, s12, -1
	s_and_saveexec_b32 s14, s13
	s_xor_b32 s13, exec_lo, s14
; %bb.107:
	v_add_nc_u32_e32 v17, v2, v20
	ds_read_u8 v17, v17 offset:1
; %bb.108:
	s_or_saveexec_b32 s13, s13
	v_mov_b32_e32 v18, v16
	s_xor_b32 exec_lo, exec_lo, s13
	s_cbranch_execz .LBB70_110
; %bb.109:
	s_waitcnt lgkmcnt(0)
	v_add_nc_u32_e32 v17, v2, v19
	ds_read_u8 v18, v17 offset:1
	v_mov_b32_e32 v17, v3
.LBB70_110:
	s_or_b32 exec_lo, exec_lo, s13
	v_add_nc_u32_e32 v21, 1, v20
	v_add_nc_u32_e32 v23, 1, v19
	s_waitcnt lgkmcnt(0)
	v_cmp_lt_i16_sdwa s14, sext(v18), sext(v17) src0_sel:BYTE_0 src1_sel:BYTE_0
	v_cndmask_b32_e64 v22, v21, v20, s12
	v_cndmask_b32_e64 v20, v19, v23, s12
                                        ; implicit-def: $vgpr19
	v_cmp_ge_i32_e32 vcc_lo, v22, v8
	v_cmp_lt_i32_e64 s13, v20, v1
	s_or_b32 s14, vcc_lo, s14
	s_and_b32 vcc_lo, s13, s14
	s_xor_b32 s13, vcc_lo, -1
	s_and_saveexec_b32 s14, s13
	s_xor_b32 s13, exec_lo, s14
; %bb.111:
	v_add_nc_u32_e32 v19, v2, v22
	ds_read_u8 v19, v19 offset:1
; %bb.112:
	s_or_saveexec_b32 s13, s13
	v_mov_b32_e32 v21, v18
	s_xor_b32 exec_lo, exec_lo, s13
	s_cbranch_execz .LBB70_114
; %bb.113:
	s_waitcnt lgkmcnt(0)
	v_add_nc_u32_e32 v19, v2, v20
	ds_read_u8 v21, v19 offset:1
	v_mov_b32_e32 v19, v17
.LBB70_114:
	s_or_b32 exec_lo, exec_lo, s13
	v_add_nc_u32_e32 v23, 1, v22
	v_add_nc_u32_e32 v24, 1, v20
	s_waitcnt lgkmcnt(0)
	v_cmp_lt_i16_sdwa s15, sext(v21), sext(v19) src0_sel:BYTE_0 src1_sel:BYTE_0
	v_cndmask_b32_e32 v22, v23, v22, vcc_lo
	v_cndmask_b32_e32 v24, v20, v24, vcc_lo
                                        ; implicit-def: $vgpr23
	v_cmp_ge_i32_e64 s13, v22, v8
	v_cmp_lt_i32_e64 s14, v24, v1
	s_or_b32 s13, s13, s15
	s_and_b32 s13, s14, s13
	s_xor_b32 s14, s13, -1
	s_and_saveexec_b32 s15, s14
	s_xor_b32 s14, exec_lo, s15
; %bb.115:
	v_add_nc_u32_e32 v20, v2, v22
	ds_read_u8 v23, v20 offset:1
; %bb.116:
	s_or_saveexec_b32 s14, s14
	v_mov_b32_e32 v25, v21
	s_xor_b32 exec_lo, exec_lo, s14
	s_cbranch_execz .LBB70_118
; %bb.117:
	v_add_nc_u32_e32 v20, v2, v24
	s_waitcnt lgkmcnt(0)
	v_mov_b32_e32 v23, v19
	ds_read_u8 v25, v20 offset:1
.LBB70_118:
	s_or_b32 exec_lo, exec_lo, s14
	v_min_i32_e32 v20, 0, v6
	v_cndmask_b32_e64 v19, v19, v21, s13
	v_add_nc_u32_e32 v21, 1, v24
	v_add_nc_u32_e32 v26, 1, v22
	v_cndmask_b32_sdwa v17, v17, v18, vcc_lo dst_sel:BYTE_1 dst_unused:UNUSED_PAD src0_sel:DWORD src1_sel:DWORD
	v_add_nc_u32_e32 v27, 64, v20
	s_mov_b32 vcc_lo, s11
	v_cndmask_b32_e64 v18, v24, v21, s13
	v_cndmask_b32_e64 v21, v26, v22, s13
	;; [unrolled: 1-line block ×3, first 2 shown]
	v_min_i32_e32 v3, v6, v27
	v_cndmask_b32_sdwa v14, v14, v15, vcc_lo dst_sel:BYTE_1 dst_unused:UNUSED_PAD src0_sel:DWORD src1_sel:DWORD
	s_waitcnt lgkmcnt(0)
	v_cmp_lt_i16_sdwa s11, sext(v25), sext(v23) src0_sel:BYTE_0 src1_sel:BYTE_0
	v_cmp_ge_i32_e32 vcc_lo, v21, v8
	v_cndmask_b32_e64 v8, v10, v11, s9
	v_cmp_lt_i32_e64 s9, v18, v1
	v_add_nc_u32_e32 v10, 64, v3
	v_cndmask_b32_e64 v9, v7, v9, s8
	s_or_b32 s8, vcc_lo, s11
	v_lshlrev_b16 v8, 8, v8
	s_and_b32 vcc_lo, s9, s8
	v_min_i32_e32 v7, v6, v10
	v_cndmask_b32_e32 v10, v23, v25, vcc_lo
	v_cndmask_b32_e64 v11, v12, v13, s10
	v_min_i32_e32 v1, v6, v5
	v_or_b32_sdwa v8, v9, v8 dst_sel:DWORD dst_unused:UNUSED_PAD src0_sel:BYTE_0 src1_sel:DWORD
	v_sub_nc_u32_e32 v6, v7, v3
	v_lshlrev_b16 v9, 8, v10
	v_or_b32_sdwa v10, v11, v14 dst_sel:WORD_1 dst_unused:UNUSED_PAD src0_sel:BYTE_0 src1_sel:DWORD
	v_or_b32_sdwa v11, v16, v17 dst_sel:DWORD dst_unused:UNUSED_PAD src0_sel:BYTE_0 src1_sel:DWORD
	v_sub_nc_u32_e32 v13, v3, v20
	v_sub_nc_u32_e32 v12, v1, v6
	v_or_b32_sdwa v14, v19, v9 dst_sel:WORD_1 dst_unused:UNUSED_PAD src0_sel:BYTE_0 src1_sel:DWORD
	v_cmp_ge_i32_e32 vcc_lo, v1, v6
	v_or_b32_sdwa v9, v8, v10 dst_sel:DWORD dst_unused:UNUSED_PAD src0_sel:WORD_0 src1_sel:DWORD
	v_min_i32_e32 v8, v1, v13
	s_mov_b32 s9, 0
	v_or_b32_sdwa v10, v11, v14 dst_sel:DWORD dst_unused:UNUSED_PAD src0_sel:WORD_0 src1_sel:DWORD
	v_cndmask_b32_e32 v6, 0, v12, vcc_lo
	s_mov_b32 s8, exec_lo
	; wave barrier
	ds_write_b64 v0, v[9:10]
	; wave barrier
	v_cmpx_lt_i32_e64 v6, v8
	s_cbranch_execz .LBB70_122
; %bb.119:
	v_add_nc_u32_e32 v0, v2, v20
	v_add3_u32 v9, v2, v3, v1
	.p2align	6
.LBB70_120:                             ; =>This Inner Loop Header: Depth=1
	v_sub_nc_u32_e32 v10, v8, v6
	v_lshrrev_b32_e32 v10, 1, v10
	v_add_nc_u32_e32 v10, v10, v6
	v_add_nc_u32_e32 v11, v0, v10
	v_xad_u32 v12, v10, -1, v9
	v_add_nc_u32_e32 v13, 1, v10
	ds_read_i8 v11, v11
	ds_read_i8 v12, v12
	s_waitcnt lgkmcnt(0)
	v_cmp_lt_i16_e32 vcc_lo, v12, v11
	v_cndmask_b32_e32 v8, v8, v10, vcc_lo
	v_cndmask_b32_e32 v6, v13, v6, vcc_lo
	v_cmp_ge_i32_e32 vcc_lo, v6, v8
	s_or_b32 s9, vcc_lo, s9
	s_andn2_b32 exec_lo, exec_lo, s9
	s_cbranch_execnz .LBB70_120
; %bb.121:
	s_or_b32 exec_lo, exec_lo, s9
.LBB70_122:
	s_or_b32 exec_lo, exec_lo, s8
	v_add_nc_u32_e32 v1, v3, v1
	v_add_nc_u32_e32 v0, v6, v20
                                        ; implicit-def: $vgpr9
	v_sub_nc_u32_e32 v1, v1, v6
	v_add_nc_u32_e32 v10, v2, v0
	v_cmp_le_i32_e32 vcc_lo, v3, v0
	v_add_nc_u32_e32 v11, v2, v1
	v_cmp_gt_i32_e64 s9, v7, v1
	ds_read_u8 v6, v10
	ds_read_u8 v8, v11
	s_waitcnt lgkmcnt(1)
	v_bfe_i32 v6, v6, 0, 8
	s_waitcnt lgkmcnt(0)
	v_bfe_i32 v8, v8, 0, 8
	v_cmp_lt_i16_e64 s8, v8, v6
	s_or_b32 s8, vcc_lo, s8
	s_and_b32 vcc_lo, s9, s8
	s_xor_b32 s8, vcc_lo, -1
	s_and_saveexec_b32 s9, s8
	s_xor_b32 s8, exec_lo, s9
; %bb.123:
	ds_read_u8 v9, v10 offset:1
                                        ; implicit-def: $vgpr11
; %bb.124:
	s_or_saveexec_b32 s8, s8
	v_mov_b32_e32 v10, v8
	s_xor_b32 exec_lo, exec_lo, s8
	s_cbranch_execz .LBB70_126
; %bb.125:
	ds_read_u8 v10, v11 offset:1
	s_waitcnt lgkmcnt(1)
	v_mov_b32_e32 v9, v6
.LBB70_126:
	s_or_b32 exec_lo, exec_lo, s8
	v_add_nc_u32_e32 v11, 1, v0
	v_add_nc_u32_e32 v12, 1, v1
	s_waitcnt lgkmcnt(0)
	v_cmp_lt_i16_sdwa s10, sext(v10), sext(v9) src0_sel:BYTE_0 src1_sel:BYTE_0
	v_cndmask_b32_e32 v13, v11, v0, vcc_lo
	v_cndmask_b32_e32 v0, v1, v12, vcc_lo
                                        ; implicit-def: $vgpr11
	v_cmp_ge_i32_e64 s8, v13, v3
	v_cmp_lt_i32_e64 s9, v0, v7
	s_or_b32 s8, s8, s10
	s_and_b32 s8, s9, s8
	s_xor_b32 s9, s8, -1
	s_and_saveexec_b32 s10, s9
	s_xor_b32 s9, exec_lo, s10
; %bb.127:
	v_add_nc_u32_e32 v1, v2, v13
	ds_read_u8 v11, v1 offset:1
; %bb.128:
	s_or_saveexec_b32 s9, s9
	v_mov_b32_e32 v12, v10
	s_xor_b32 exec_lo, exec_lo, s9
	s_cbranch_execz .LBB70_130
; %bb.129:
	v_add_nc_u32_e32 v1, v2, v0
	s_waitcnt lgkmcnt(0)
	v_mov_b32_e32 v11, v9
	ds_read_u8 v12, v1 offset:1
.LBB70_130:
	s_or_b32 exec_lo, exec_lo, s9
	v_add_nc_u32_e32 v1, 1, v13
	v_add_nc_u32_e32 v14, 1, v0
	s_waitcnt lgkmcnt(0)
	v_cmp_lt_i16_sdwa s11, sext(v12), sext(v11) src0_sel:BYTE_0 src1_sel:BYTE_0
	v_cndmask_b32_e64 v1, v1, v13, s8
	v_cndmask_b32_e64 v0, v0, v14, s8
                                        ; implicit-def: $vgpr13
	v_cmp_ge_i32_e64 s9, v1, v3
	v_cmp_lt_i32_e64 s10, v0, v7
	s_or_b32 s9, s9, s11
	s_and_b32 s9, s10, s9
	s_xor_b32 s10, s9, -1
	s_and_saveexec_b32 s11, s10
	s_xor_b32 s10, exec_lo, s11
; %bb.131:
	v_add_nc_u32_e32 v13, v2, v1
	ds_read_u8 v13, v13 offset:1
; %bb.132:
	s_or_saveexec_b32 s10, s10
	v_mov_b32_e32 v14, v12
	s_xor_b32 exec_lo, exec_lo, s10
	s_cbranch_execz .LBB70_134
; %bb.133:
	s_waitcnt lgkmcnt(0)
	v_add_nc_u32_e32 v13, v2, v0
	ds_read_u8 v14, v13 offset:1
	v_mov_b32_e32 v13, v11
.LBB70_134:
	s_or_b32 exec_lo, exec_lo, s10
	v_add_nc_u32_e32 v15, 1, v1
	v_add_nc_u32_e32 v16, 1, v0
	s_waitcnt lgkmcnt(0)
	v_cmp_lt_i16_sdwa s12, sext(v14), sext(v13) src0_sel:BYTE_0 src1_sel:BYTE_0
	v_cndmask_b32_e64 v1, v15, v1, s9
	v_cndmask_b32_e64 v0, v0, v16, s9
                                        ; implicit-def: $vgpr15
	v_cmp_ge_i32_e64 s10, v1, v3
	v_cmp_lt_i32_e64 s11, v0, v7
	s_or_b32 s10, s10, s12
	s_and_b32 s10, s11, s10
	s_xor_b32 s11, s10, -1
	s_and_saveexec_b32 s12, s11
	s_xor_b32 s11, exec_lo, s12
; %bb.135:
	v_add_nc_u32_e32 v15, v2, v1
	ds_read_u8 v15, v15 offset:1
; %bb.136:
	s_or_saveexec_b32 s11, s11
	v_mov_b32_e32 v16, v14
	s_xor_b32 exec_lo, exec_lo, s11
	s_cbranch_execz .LBB70_138
; %bb.137:
	s_waitcnt lgkmcnt(0)
	v_add_nc_u32_e32 v15, v2, v0
	ds_read_u8 v16, v15 offset:1
	v_mov_b32_e32 v15, v13
.LBB70_138:
	s_or_b32 exec_lo, exec_lo, s11
	v_add_nc_u32_e32 v17, 1, v1
	v_add_nc_u32_e32 v18, 1, v0
	s_waitcnt lgkmcnt(0)
	v_cmp_lt_i16_sdwa s13, sext(v16), sext(v15) src0_sel:BYTE_0 src1_sel:BYTE_0
	v_cndmask_b32_e64 v1, v17, v1, s10
	v_cndmask_b32_e64 v0, v0, v18, s10
                                        ; implicit-def: $vgpr17
	v_cmp_ge_i32_e64 s11, v1, v3
	v_cmp_lt_i32_e64 s12, v0, v7
	s_or_b32 s11, s11, s13
	s_and_b32 s11, s12, s11
	s_xor_b32 s12, s11, -1
	s_and_saveexec_b32 s13, s12
	s_xor_b32 s12, exec_lo, s13
; %bb.139:
	v_add_nc_u32_e32 v17, v2, v1
	ds_read_u8 v17, v17 offset:1
; %bb.140:
	s_or_saveexec_b32 s12, s12
	v_mov_b32_e32 v18, v16
	s_xor_b32 exec_lo, exec_lo, s12
	s_cbranch_execz .LBB70_142
; %bb.141:
	s_waitcnt lgkmcnt(0)
	v_add_nc_u32_e32 v17, v2, v0
	ds_read_u8 v18, v17 offset:1
	v_mov_b32_e32 v17, v15
.LBB70_142:
	s_or_b32 exec_lo, exec_lo, s12
	v_add_nc_u32_e32 v19, 1, v1
	v_add_nc_u32_e32 v20, 1, v0
	s_waitcnt lgkmcnt(0)
	v_cmp_lt_i16_sdwa s14, sext(v18), sext(v17) src0_sel:BYTE_0 src1_sel:BYTE_0
	v_cndmask_b32_e64 v21, v19, v1, s11
	v_cndmask_b32_e64 v1, v0, v20, s11
                                        ; implicit-def: $vgpr19
	v_cmp_ge_i32_e64 s12, v21, v3
	v_cmp_lt_i32_e64 s13, v1, v7
	s_or_b32 s12, s12, s14
	s_and_b32 s12, s13, s12
	s_xor_b32 s13, s12, -1
	s_and_saveexec_b32 s14, s13
	s_xor_b32 s13, exec_lo, s14
; %bb.143:
	v_add_nc_u32_e32 v0, v2, v21
	ds_read_u8 v19, v0 offset:1
; %bb.144:
	s_or_saveexec_b32 s13, s13
	v_mov_b32_e32 v20, v18
	s_xor_b32 exec_lo, exec_lo, s13
	s_cbranch_execz .LBB70_146
; %bb.145:
	v_add_nc_u32_e32 v0, v2, v1
	s_waitcnt lgkmcnt(0)
	v_mov_b32_e32 v19, v17
	ds_read_u8 v20, v0 offset:1
.LBB70_146:
	s_or_b32 exec_lo, exec_lo, s13
	v_add_nc_u32_e32 v0, 1, v21
	v_add_nc_u32_e32 v22, 1, v1
	s_waitcnt lgkmcnt(0)
	v_cmp_lt_i16_sdwa s15, sext(v20), sext(v19) src0_sel:BYTE_0 src1_sel:BYTE_0
                                        ; implicit-def: $vgpr23
	v_cndmask_b32_e64 v0, v0, v21, s12
	v_cndmask_b32_e64 v21, v1, v22, s12
                                        ; implicit-def: $vgpr22
	v_cmp_ge_i32_e64 s13, v0, v3
	v_cmp_lt_i32_e64 s14, v21, v7
	s_or_b32 s13, s13, s15
	s_and_b32 s13, s14, s13
	s_xor_b32 s14, s13, -1
	s_and_saveexec_b32 s15, s14
	s_xor_b32 s14, exec_lo, s15
; %bb.147:
	v_add_nc_u32_e32 v1, v2, v0
	v_add_nc_u32_e32 v23, 1, v0
                                        ; implicit-def: $vgpr2
                                        ; implicit-def: $vgpr0
	ds_read_u8 v22, v1 offset:1
; %bb.148:
	s_or_saveexec_b32 s14, s14
	v_mov_b32_e32 v24, v20
	s_xor_b32 exec_lo, exec_lo, s14
	s_cbranch_execz .LBB70_150
; %bb.149:
	v_add_nc_u32_e32 v1, v2, v21
	v_add_nc_u32_e32 v21, 1, v21
	v_mov_b32_e32 v23, v0
	s_waitcnt lgkmcnt(0)
	v_mov_b32_e32 v22, v19
	ds_read_u8 v24, v1 offset:1
.LBB70_150:
	s_or_b32 exec_lo, exec_lo, s14
	v_add_co_u32 v0, s14, s18, v4
	v_add_co_ci_u32_e64 v1, null, s19, 0, s14
	v_add_co_u32 v0, s14, v0, v5
	v_add_co_ci_u32_e64 v1, null, 0, v1, s14
	s_and_saveexec_b32 s14, s0
	s_cbranch_execnz .LBB70_159
; %bb.151:
	s_or_b32 exec_lo, exec_lo, s14
	s_and_saveexec_b32 s0, s1
	s_cbranch_execnz .LBB70_160
.LBB70_152:
	s_or_b32 exec_lo, exec_lo, s0
	s_and_saveexec_b32 s0, s2
	s_cbranch_execnz .LBB70_161
.LBB70_153:
	s_or_b32 exec_lo, exec_lo, s0
	s_and_saveexec_b32 s0, s3
	s_cbranch_execnz .LBB70_162
.LBB70_154:
	s_or_b32 exec_lo, exec_lo, s0
	s_and_saveexec_b32 s0, s4
	s_cbranch_execnz .LBB70_163
.LBB70_155:
	s_or_b32 exec_lo, exec_lo, s0
	s_and_saveexec_b32 s0, s5
	s_cbranch_execnz .LBB70_164
.LBB70_156:
	s_or_b32 exec_lo, exec_lo, s0
	s_and_saveexec_b32 s0, s6
	s_cbranch_execnz .LBB70_165
.LBB70_157:
	s_or_b32 exec_lo, exec_lo, s0
	s_and_saveexec_b32 s0, s7
	s_cbranch_execnz .LBB70_166
.LBB70_158:
	s_endpgm
.LBB70_159:
	v_cndmask_b32_e32 v2, v6, v8, vcc_lo
	global_store_byte v[0:1], v2, off
	s_or_b32 exec_lo, exec_lo, s14
	s_and_saveexec_b32 s0, s1
	s_cbranch_execz .LBB70_152
.LBB70_160:
	v_cndmask_b32_e64 v2, v9, v10, s8
	global_store_byte v[0:1], v2, off offset:1
	s_or_b32 exec_lo, exec_lo, s0
	s_and_saveexec_b32 s0, s2
	s_cbranch_execz .LBB70_153
.LBB70_161:
	v_cndmask_b32_e64 v2, v11, v12, s9
	global_store_byte v[0:1], v2, off offset:2
	s_or_b32 exec_lo, exec_lo, s0
	s_and_saveexec_b32 s0, s3
	s_cbranch_execz .LBB70_154
.LBB70_162:
	v_cndmask_b32_e64 v2, v13, v14, s10
	global_store_byte v[0:1], v2, off offset:3
	s_or_b32 exec_lo, exec_lo, s0
	s_and_saveexec_b32 s0, s4
	s_cbranch_execz .LBB70_155
.LBB70_163:
	v_cndmask_b32_e64 v2, v15, v16, s11
	global_store_byte v[0:1], v2, off offset:4
	s_or_b32 exec_lo, exec_lo, s0
	s_and_saveexec_b32 s0, s5
	s_cbranch_execz .LBB70_156
.LBB70_164:
	v_cndmask_b32_e64 v2, v17, v18, s12
	global_store_byte v[0:1], v2, off offset:5
	s_or_b32 exec_lo, exec_lo, s0
	s_and_saveexec_b32 s0, s6
	s_cbranch_execz .LBB70_157
.LBB70_165:
	v_cndmask_b32_e64 v2, v19, v20, s13
	global_store_byte v[0:1], v2, off offset:6
	s_or_b32 exec_lo, exec_lo, s0
	s_and_saveexec_b32 s0, s7
	s_cbranch_execz .LBB70_158
.LBB70_166:
	v_cmp_ge_i32_e32 vcc_lo, v23, v3
	s_waitcnt lgkmcnt(0)
	v_cmp_lt_i16_sdwa s1, sext(v24), sext(v22) src0_sel:BYTE_0 src1_sel:BYTE_0
	v_cmp_lt_i32_e64 s0, v21, v7
	s_or_b32 s1, vcc_lo, s1
	s_and_b32 vcc_lo, s0, s1
	v_cndmask_b32_e32 v2, v22, v24, vcc_lo
	global_store_byte v[0:1], v2, off offset:7
	s_endpgm
	.section	.rodata,"a",@progbits
	.p2align	6, 0x0
	.amdhsa_kernel _Z19sort_keys_segmentedILj256ELj16ELj8EaN10test_utils4lessEEvPKT2_PS2_PKjT3_
		.amdhsa_group_segment_fixed_size 2064
		.amdhsa_private_segment_fixed_size 0
		.amdhsa_kernarg_size 28
		.amdhsa_user_sgpr_count 6
		.amdhsa_user_sgpr_private_segment_buffer 1
		.amdhsa_user_sgpr_dispatch_ptr 0
		.amdhsa_user_sgpr_queue_ptr 0
		.amdhsa_user_sgpr_kernarg_segment_ptr 1
		.amdhsa_user_sgpr_dispatch_id 0
		.amdhsa_user_sgpr_flat_scratch_init 0
		.amdhsa_user_sgpr_private_segment_size 0
		.amdhsa_wavefront_size32 1
		.amdhsa_uses_dynamic_stack 0
		.amdhsa_system_sgpr_private_segment_wavefront_offset 0
		.amdhsa_system_sgpr_workgroup_id_x 1
		.amdhsa_system_sgpr_workgroup_id_y 0
		.amdhsa_system_sgpr_workgroup_id_z 0
		.amdhsa_system_sgpr_workgroup_info 0
		.amdhsa_system_vgpr_workitem_id 0
		.amdhsa_next_free_vgpr 29
		.amdhsa_next_free_sgpr 20
		.amdhsa_reserve_vcc 1
		.amdhsa_reserve_flat_scratch 0
		.amdhsa_float_round_mode_32 0
		.amdhsa_float_round_mode_16_64 0
		.amdhsa_float_denorm_mode_32 3
		.amdhsa_float_denorm_mode_16_64 3
		.amdhsa_dx10_clamp 1
		.amdhsa_ieee_mode 1
		.amdhsa_fp16_overflow 0
		.amdhsa_workgroup_processor_mode 1
		.amdhsa_memory_ordered 1
		.amdhsa_forward_progress 1
		.amdhsa_shared_vgpr_count 0
		.amdhsa_exception_fp_ieee_invalid_op 0
		.amdhsa_exception_fp_denorm_src 0
		.amdhsa_exception_fp_ieee_div_zero 0
		.amdhsa_exception_fp_ieee_overflow 0
		.amdhsa_exception_fp_ieee_underflow 0
		.amdhsa_exception_fp_ieee_inexact 0
		.amdhsa_exception_int_div_zero 0
	.end_amdhsa_kernel
	.section	.text._Z19sort_keys_segmentedILj256ELj16ELj8EaN10test_utils4lessEEvPKT2_PS2_PKjT3_,"axG",@progbits,_Z19sort_keys_segmentedILj256ELj16ELj8EaN10test_utils4lessEEvPKT2_PS2_PKjT3_,comdat
.Lfunc_end70:
	.size	_Z19sort_keys_segmentedILj256ELj16ELj8EaN10test_utils4lessEEvPKT2_PS2_PKjT3_, .Lfunc_end70-_Z19sort_keys_segmentedILj256ELj16ELj8EaN10test_utils4lessEEvPKT2_PS2_PKjT3_
                                        ; -- End function
	.set _Z19sort_keys_segmentedILj256ELj16ELj8EaN10test_utils4lessEEvPKT2_PS2_PKjT3_.num_vgpr, 29
	.set _Z19sort_keys_segmentedILj256ELj16ELj8EaN10test_utils4lessEEvPKT2_PS2_PKjT3_.num_agpr, 0
	.set _Z19sort_keys_segmentedILj256ELj16ELj8EaN10test_utils4lessEEvPKT2_PS2_PKjT3_.numbered_sgpr, 20
	.set _Z19sort_keys_segmentedILj256ELj16ELj8EaN10test_utils4lessEEvPKT2_PS2_PKjT3_.num_named_barrier, 0
	.set _Z19sort_keys_segmentedILj256ELj16ELj8EaN10test_utils4lessEEvPKT2_PS2_PKjT3_.private_seg_size, 0
	.set _Z19sort_keys_segmentedILj256ELj16ELj8EaN10test_utils4lessEEvPKT2_PS2_PKjT3_.uses_vcc, 1
	.set _Z19sort_keys_segmentedILj256ELj16ELj8EaN10test_utils4lessEEvPKT2_PS2_PKjT3_.uses_flat_scratch, 0
	.set _Z19sort_keys_segmentedILj256ELj16ELj8EaN10test_utils4lessEEvPKT2_PS2_PKjT3_.has_dyn_sized_stack, 0
	.set _Z19sort_keys_segmentedILj256ELj16ELj8EaN10test_utils4lessEEvPKT2_PS2_PKjT3_.has_recursion, 0
	.set _Z19sort_keys_segmentedILj256ELj16ELj8EaN10test_utils4lessEEvPKT2_PS2_PKjT3_.has_indirect_call, 0
	.section	.AMDGPU.csdata,"",@progbits
; Kernel info:
; codeLenInByte = 7872
; TotalNumSgprs: 22
; NumVgprs: 29
; ScratchSize: 0
; MemoryBound: 0
; FloatMode: 240
; IeeeMode: 1
; LDSByteSize: 2064 bytes/workgroup (compile time only)
; SGPRBlocks: 0
; VGPRBlocks: 3
; NumSGPRsForWavesPerEU: 22
; NumVGPRsForWavesPerEU: 29
; Occupancy: 16
; WaveLimiterHint : 0
; COMPUTE_PGM_RSRC2:SCRATCH_EN: 0
; COMPUTE_PGM_RSRC2:USER_SGPR: 6
; COMPUTE_PGM_RSRC2:TRAP_HANDLER: 0
; COMPUTE_PGM_RSRC2:TGID_X_EN: 1
; COMPUTE_PGM_RSRC2:TGID_Y_EN: 0
; COMPUTE_PGM_RSRC2:TGID_Z_EN: 0
; COMPUTE_PGM_RSRC2:TIDIG_COMP_CNT: 0
	.section	.text._Z20sort_pairs_segmentedILj256ELj16ELj8EaN10test_utils4lessEEvPKT2_PS2_PKjT3_,"axG",@progbits,_Z20sort_pairs_segmentedILj256ELj16ELj8EaN10test_utils4lessEEvPKT2_PS2_PKjT3_,comdat
	.protected	_Z20sort_pairs_segmentedILj256ELj16ELj8EaN10test_utils4lessEEvPKT2_PS2_PKjT3_ ; -- Begin function _Z20sort_pairs_segmentedILj256ELj16ELj8EaN10test_utils4lessEEvPKT2_PS2_PKjT3_
	.globl	_Z20sort_pairs_segmentedILj256ELj16ELj8EaN10test_utils4lessEEvPKT2_PS2_PKjT3_
	.p2align	8
	.type	_Z20sort_pairs_segmentedILj256ELj16ELj8EaN10test_utils4lessEEvPKT2_PS2_PKjT3_,@function
_Z20sort_pairs_segmentedILj256ELj16ELj8EaN10test_utils4lessEEvPKT2_PS2_PKjT3_: ; @_Z20sort_pairs_segmentedILj256ELj16ELj8EaN10test_utils4lessEEvPKT2_PS2_PKjT3_
; %bb.0:
	s_clause 0x1
	s_load_dwordx2 s[0:1], s[4:5], 0x10
	s_load_dwordx4 s[16:19], s[4:5], 0x0
	v_lshrrev_b32_e32 v12, 4, v0
	v_mov_b32_e32 v1, 0
	v_mov_b32_e32 v6, 0
	;; [unrolled: 1-line block ×4, first 2 shown]
	v_lshl_or_b32 v0, s6, 4, v12
	v_mov_b32_e32 v13, 0
	v_mov_b32_e32 v5, 0
	v_lshlrev_b64 v[2:3], 2, v[0:1]
	v_lshlrev_b32_e32 v9, 7, v0
	s_waitcnt lgkmcnt(0)
	v_add_co_u32 v2, vcc_lo, s0, v2
	v_add_co_ci_u32_e64 v3, null, s1, v3, vcc_lo
	v_add_co_u32 v0, s0, s16, v9
	global_load_dword v10, v[2:3], off
	v_mbcnt_lo_u32_b32 v2, -1, 0
	v_add_co_ci_u32_e64 v3, null, s17, 0, s0
	v_lshlrev_b32_e32 v11, 3, v2
	v_and_b32_e32 v8, 0x78, v11
	v_add_co_u32 v2, vcc_lo, v0, v8
	v_add_co_ci_u32_e64 v3, null, 0, v3, vcc_lo
	v_mov_b32_e32 v0, 0
	s_waitcnt vmcnt(0)
	v_cmp_lt_u32_e64 s0, v8, v10
	s_and_saveexec_b32 s1, s0
	s_cbranch_execz .LBB71_2
; %bb.1:
	global_load_ubyte v6, v[2:3], off
	v_mov_b32_e32 v4, 0
	v_mov_b32_e32 v15, 0
	;; [unrolled: 1-line block ×5, first 2 shown]
.LBB71_2:
	s_or_b32 exec_lo, exec_lo, s1
	v_or_b32_e32 v7, 1, v8
	v_mov_b32_e32 v17, v1
	v_cmp_lt_u32_e64 s1, v7, v10
	s_and_saveexec_b32 s2, s1
	s_cbranch_execz .LBB71_4
; %bb.3:
	global_load_ubyte v17, v[2:3], off offset:1
.LBB71_4:
	s_or_b32 exec_lo, exec_lo, s2
	v_or_b32_e32 v14, 2, v8
	v_cmp_lt_u32_e64 s2, v14, v10
	s_and_saveexec_b32 s3, s2
	s_cbranch_execz .LBB71_6
; %bb.5:
	global_load_ubyte v1, v[2:3], off offset:2
.LBB71_6:
	s_or_b32 exec_lo, exec_lo, s3
	v_or_b32_e32 v16, 3, v8
	;; [unrolled: 8-line block ×6, first 2 shown]
	v_cmp_lt_u32_e64 s7, v21, v10
	s_and_saveexec_b32 s8, s7
	s_cbranch_execz .LBB71_16
; %bb.15:
	global_load_ubyte v0, v[2:3], off offset:7
.LBB71_16:
	s_or_b32 exec_lo, exec_lo, s8
	s_waitcnt vmcnt(0)
	v_add_nc_u16 v2, v6, 1
	v_mov_b32_e32 v3, 0xffff
	v_perm_b32 v22, v15, v13, 0xc0c0004
	v_add_nc_u16 v15, v15, 1
	v_perm_b32 v23, v5, v0, 0xc0c0004
	v_perm_b32 v24, v1, v4, 0xc0c0004
	v_and_b32_sdwa v2, v3, v2 dst_sel:DWORD dst_unused:UNUSED_PAD src0_sel:DWORD src1_sel:BYTE_0
	v_perm_b32 v3, v6, v17, 0xc0c0004
	v_perm_b32 v15, v15, 0, 0x3020104
	v_lshlrev_b16 v17, 8, v17
	v_lshlrev_b16 v13, 8, v13
	v_cndmask_b32_e64 v25, 0, v2, s0
	v_mov_b32_e32 v2, 0x7f00
	v_cndmask_b32_e64 v15, 0, v15, s4
	v_lshl_or_b32 v23, v23, 16, v22
	v_and_b32_e32 v22, 0xffffff00, v22
	v_or_b32_e32 v17, v17, v25
	v_lshlrev_b32_e32 v24, 16, v24
	v_or_b32_sdwa v6, v6, v2 dst_sel:DWORD dst_unused:UNUSED_PAD src0_sel:BYTE_0 src1_sel:DWORD
	v_or_b32_sdwa v13, v13, v15 dst_sel:DWORD dst_unused:UNUSED_PAD src0_sel:DWORD src1_sel:BYTE_0
	v_or_b32_e32 v22, 0x7f, v22
	v_add_nc_u16 v17, 0x100, v17
	v_or_b32_e32 v3, v3, v24
	v_or_b32_sdwa v6, v6, v24 dst_sel:DWORD dst_unused:UNUSED_PAD src0_sel:WORD_0 src1_sel:DWORD
	v_add_nc_u16 v13, 0x100, v13
	v_cmp_lt_i32_e32 vcc_lo, v7, v10
	v_mov_b32_e32 v26, 0xffffff00
	v_and_b32_e32 v17, 0xffff, v17
	v_and_b32_e32 v22, 0xffff, v22
	;; [unrolled: 1-line block ×3, first 2 shown]
	v_cndmask_b32_e32 v6, v6, v3, vcc_lo
	v_add_nc_u16 v1, v1, 1
	v_cndmask_b32_e64 v17, v25, v17, s1
	v_mov_b32_e32 v13, 0x7f
	v_and_or_b32 v22, 0xffff0000, v23, v22
	v_and_b32_sdwa v24, v6, v26 dst_sel:DWORD dst_unused:UNUSED_PAD src0_sel:WORD_1 src1_sel:DWORD
	v_and_or_b32 v7, 0xffff0000, v15, v7
	v_cmp_lt_i32_e32 vcc_lo, v18, v10
	v_perm_b32 v1, v1, v17, 0xc0c0304
	v_add_nc_u16 v5, v5, 1
	v_cmp_lt_i32_e64 s8, v14, v10
	v_cndmask_b32_e64 v7, v15, v7, s5
	v_cndmask_b32_e32 v18, v22, v23, vcc_lo
	v_or_b32_sdwa v15, v24, v13 dst_sel:WORD_1 dst_unused:UNUSED_PAD src0_sel:DWORD src1_sel:DWORD
	v_lshl_or_b32 v1, v1, 16, v17
	v_lshlrev_b16 v4, 8, v4
	v_perm_b32 v5, v7, v5, 0x7000504
	v_or_b32_sdwa v22, v18, v2 dst_sel:DWORD dst_unused:UNUSED_PAD src0_sel:BYTE_0 src1_sel:DWORD
	v_and_or_b32 v6, 0xffff, v6, v15
	v_cndmask_b32_e64 v1, v17, v1, s2
	v_mov_b32_e32 v17, 0xff
	v_cndmask_b32_e64 v7, v7, v5, s6
	v_and_b32_e32 v15, 0xffff, v22
	v_cndmask_b32_e64 v5, v6, v3, s8
	v_cmp_lt_i32_e64 s8, v19, v10
	v_and_b32_sdwa v22, v1, v17 dst_sel:DWORD dst_unused:UNUSED_PAD src0_sel:WORD_1 src1_sel:DWORD
	v_and_b32_sdwa v14, v7, v17 dst_sel:DWORD dst_unused:UNUSED_PAD src0_sel:WORD_1 src1_sel:DWORD
	v_and_or_b32 v6, 0xffff0000, v18, v15
	v_and_b32_sdwa v15, v5, v17 dst_sel:DWORD dst_unused:UNUSED_PAD src0_sel:WORD_1 src1_sel:DWORD
	v_lshlrev_b16 v0, 8, v0
	v_or_b32_e32 v4, v4, v22
	v_cmp_lt_i32_e64 s9, v16, v10
	v_cndmask_b32_e64 v6, v6, v23, s8
	v_or_b32_sdwa v15, v15, v2 dst_sel:WORD_1 dst_unused:UNUSED_PAD src0_sel:DWORD src1_sel:DWORD
	v_or_b32_e32 v0, v0, v14
	v_add_nc_u16 v4, 0x100, v4
	v_and_b32_sdwa v14, v6, v26 dst_sel:DWORD dst_unused:UNUSED_PAD src0_sel:WORD_1 src1_sel:DWORD
	v_and_or_b32 v5, 0xffff, v5, v15
	v_add_nc_u16 v0, 0x100, v0
	v_lshlrev_b32_e32 v4, 16, v4
	v_or_b32_sdwa v13, v14, v13 dst_sel:WORD_1 dst_unused:UNUSED_PAD src0_sel:DWORD src1_sel:DWORD
	v_cndmask_b32_e64 v5, v5, v3, s9
	v_cmp_lt_i32_e64 s9, v20, v10
	v_lshlrev_b32_e32 v0, 16, v0
	v_and_or_b32 v4, 0xffff, v1, v4
	v_and_or_b32 v6, 0xffff, v6, v13
	v_cndmask_b32_e32 v13, v5, v3, vcc_lo
	s_or_b32 vcc_lo, s9, s8
	v_and_or_b32 v14, 0xffff, v7, v0
	v_cndmask_b32_e64 v0, v1, v4, s3
	v_cndmask_b32_e64 v5, v6, v23, s9
	v_cndmask_b32_e32 v4, v13, v3, vcc_lo
	v_cmp_lt_i32_e64 s8, v21, v10
	v_cndmask_b32_e64 v1, v7, v14, s7
	s_mov_b32 s9, exec_lo
	v_lshrrev_b32_e32 v15, 24, v5
	v_lshrrev_b64 v[6:7], 24, v[4:5]
	v_lshrrev_b32_e32 v13, 16, v5
	v_lshrrev_b32_e32 v14, 8, v5
	;; [unrolled: 1-line block ×4, first 2 shown]
                                        ; implicit-def: $vgpr3
	v_cmpx_ge_i32_e64 v21, v10
	s_cbranch_execz .LBB71_18
; %bb.17:
	v_lshrrev_b32_e32 v14, 8, v5
	v_lshrrev_b32_e32 v13, 16, v5
	;; [unrolled: 1-line block ×3, first 2 shown]
	v_cmp_lt_i32_e32 vcc_lo, v8, v10
	v_lshrrev_b32_e32 v7, 8, v4
	v_lshlrev_b16 v3, 8, v14
	v_or_b32_sdwa v15, v13, v2 dst_sel:WORD_1 dst_unused:UNUSED_PAD src0_sel:BYTE_0 src1_sel:DWORD
	v_perm_b32 v2, v4, v16, 0x7000504
	s_andn2_b32 s8, s8, exec_lo
	s_and_b32 s10, vcc_lo, exec_lo
	v_or_b32_sdwa v3, v5, v3 dst_sel:DWORD dst_unused:UNUSED_PAD src0_sel:BYTE_0 src1_sel:DWORD
	s_or_b32 s8, s8, s10
	v_or_b32_sdwa v3, v3, v15 dst_sel:DWORD dst_unused:UNUSED_PAD src0_sel:WORD_0 src1_sel:DWORD
	v_mov_b32_e32 v15, 0x7f
.LBB71_18:
	s_or_b32 exec_lo, exec_lo, s9
	s_and_saveexec_b32 s9, s8
	s_cbranch_execz .LBB71_22
; %bb.19:
	v_perm_b32 v2, v16, v6, 0xc0c0004
	v_perm_b32 v3, 0, v0, 0xc0c0001
	;; [unrolled: 1-line block ×4, first 2 shown]
	v_cmp_lt_i16_sdwa vcc_lo, sext(v7), sext(v4) src0_sel:BYTE_0 src1_sel:BYTE_0
	v_lshlrev_b32_e32 v2, 16, v2
	v_and_or_b32 v3, 0xffff0000, v0, v3
	v_perm_b32 v4, v13, v15, 0xc0c0004
	v_perm_b32 v7, v1, v1, 0x7060405
	v_or_b32_e32 v6, v6, v2
	v_or_b32_e32 v2, v16, v2
	v_cndmask_b32_e32 v0, v0, v3, vcc_lo
	v_perm_b32 v3, v5, v14, 0xc0c0004
	v_cndmask_b32_e32 v2, v2, v6, vcc_lo
	v_lshrrev_b32_e32 v5, 16, v0
	v_lshl_or_b32 v3, v4, 16, v3
	v_lshrrev_b32_e32 v6, 16, v2
	v_perm_b32 v4, 0, v5, 0xc0c0001
	v_lshrrev_b32_e32 v13, 8, v3
	v_lshrrev_b32_e32 v14, 24, v2
	v_perm_b32 v15, v3, v3, 0x7060405
	v_perm_b32 v5, 0, v6, 0xc0c0001
	v_lshlrev_b32_e32 v4, 16, v4
	v_cmp_lt_i16_sdwa vcc_lo, sext(v13), sext(v3) src0_sel:BYTE_0 src1_sel:BYTE_0
	v_cmp_lt_i16_sdwa s8, sext(v14), sext(v6) src0_sel:BYTE_0 src1_sel:BYTE_0
	v_lshlrev_b32_e32 v5, 16, v5
	v_and_or_b32 v4, 0xffff, v0, v4
	v_cndmask_b32_e32 v3, v3, v15, vcc_lo
	v_cndmask_b32_e32 v1, v1, v7, vcc_lo
	v_and_or_b32 v5, 0xffff, v2, v5
	v_cndmask_b32_e64 v0, v0, v4, s8
	v_lshrrev_b32_e32 v4, 24, v3
	v_perm_b32 v6, v1, v1, 0x6070504
	v_perm_b32 v14, v3, v3, 0x6070504
	v_cndmask_b32_e64 v2, v2, v5, s8
	v_lshrrev_b32_e32 v5, 16, v3
	v_lshrrev_b32_e32 v7, 16, v2
	;; [unrolled: 1-line block ×3, first 2 shown]
	v_cmp_lt_i16_sdwa vcc_lo, sext(v4), sext(v5) src0_sel:BYTE_0 src1_sel:BYTE_0
	v_perm_b32 v4, v0, v0, 0x7050604
	v_perm_b32 v5, v2, v2, 0x7050604
	v_cmp_lt_i16_sdwa s8, sext(v7), sext(v13) src0_sel:BYTE_0 src1_sel:BYTE_0
	v_mov_b32_e32 v7, 0xff
	v_cndmask_b32_e32 v1, v1, v6, vcc_lo
	v_cndmask_b32_e32 v3, v3, v14, vcc_lo
	v_cndmask_b32_e64 v0, v0, v4, s8
	v_cndmask_b32_e64 v2, v2, v5, s8
	v_lshlrev_b16 v4, 8, v1
	v_lshlrev_b16 v5, 8, v3
	v_and_b32_sdwa v6, v0, v7 dst_sel:DWORD dst_unused:UNUSED_PAD src0_sel:WORD_1 src1_sel:DWORD
	v_and_b32_sdwa v13, v2, v7 dst_sel:DWORD dst_unused:UNUSED_PAD src0_sel:WORD_1 src1_sel:DWORD
	v_or_b32_sdwa v4, v6, v4 dst_sel:WORD_1 dst_unused:UNUSED_PAD src0_sel:DWORD src1_sel:DWORD
	v_or_b32_sdwa v5, v13, v5 dst_sel:WORD_1 dst_unused:UNUSED_PAD src0_sel:DWORD src1_sel:DWORD
	v_lshrrev_b32_e32 v6, 24, v2
	v_and_or_b32 v4, 0xffff, v0, v4
	v_and_or_b32 v5, 0xffff, v2, v5
	v_cmp_lt_i16_sdwa vcc_lo, sext(v3), sext(v6) src0_sel:BYTE_0 src1_sel:BYTE_0
	v_cndmask_b32_e32 v5, v2, v5, vcc_lo
	v_cndmask_b32_e32 v4, v0, v4, vcc_lo
	v_perm_b32 v2, v2, v3, 0x3020107
	v_perm_b32 v0, v0, v1, 0x3020107
	;; [unrolled: 1-line block ×3, first 2 shown]
	v_lshrrev_b32_e32 v14, 8, v5
	v_perm_b32 v6, 0, v4, 0xc0c0001
	v_cndmask_b32_e32 v2, v3, v2, vcc_lo
	v_cndmask_b32_e32 v0, v1, v0, vcc_lo
	v_and_or_b32 v3, 0xffff0000, v5, v13
	v_cmp_lt_i16_sdwa vcc_lo, sext(v14), sext(v5) src0_sel:BYTE_0 src1_sel:BYTE_0
	v_and_or_b32 v1, 0xffff0000, v4, v6
	v_lshrrev_b32_e32 v6, 16, v2
	v_lshrrev_b32_e32 v13, 8, v2
	v_cndmask_b32_e32 v3, v5, v3, vcc_lo
	v_cndmask_b32_e32 v1, v4, v1, vcc_lo
	v_perm_b32 v4, v2, v2, 0x7050604
	v_perm_b32 v5, v0, v0, 0x7050604
	v_cmp_lt_i16_sdwa vcc_lo, sext(v6), sext(v13) src0_sel:BYTE_0 src1_sel:BYTE_0
	v_lshrrev_b32_e32 v13, 16, v3
	v_lshrrev_b32_e32 v6, 16, v1
	v_lshrrev_b32_e32 v15, 24, v3
	v_cndmask_b32_e32 v0, v0, v5, vcc_lo
	v_cndmask_b32_e32 v2, v2, v4, vcc_lo
	v_perm_b32 v5, 0, v13, 0xc0c0001
	v_perm_b32 v4, 0, v6, 0xc0c0001
	v_cmp_lt_i16_sdwa s8, sext(v15), sext(v13) src0_sel:BYTE_0 src1_sel:BYTE_0
	v_perm_b32 v6, v0, v0, 0x7060405
	v_lshrrev_b32_e32 v14, 8, v2
	v_lshlrev_b32_e32 v5, 16, v5
	v_lshlrev_b32_e32 v4, 16, v4
	v_perm_b32 v16, v2, v2, 0x7060405
	v_cmp_lt_i16_sdwa vcc_lo, sext(v14), sext(v2) src0_sel:BYTE_0 src1_sel:BYTE_0
	v_and_or_b32 v5, 0xffff, v3, v5
	v_and_or_b32 v4, 0xffff, v1, v4
	v_cndmask_b32_e32 v2, v2, v16, vcc_lo
	v_cndmask_b32_e64 v3, v3, v5, s8
	v_cndmask_b32_e32 v0, v0, v6, vcc_lo
	v_cndmask_b32_e64 v1, v1, v4, s8
	v_lshrrev_b32_e32 v4, 24, v2
	v_lshrrev_b32_e32 v5, 16, v2
	;; [unrolled: 1-line block ×4, first 2 shown]
	v_perm_b32 v6, v0, v0, 0x6070504
	v_perm_b32 v15, v2, v2, 0x6070504
	v_cmp_lt_i16_sdwa vcc_lo, sext(v4), sext(v5) src0_sel:BYTE_0 src1_sel:BYTE_0
	v_perm_b32 v4, v1, v1, 0x7050604
	v_perm_b32 v5, v3, v3, 0x7050604
	v_cmp_lt_i16_sdwa s8, sext(v13), sext(v14) src0_sel:BYTE_0 src1_sel:BYTE_0
	v_cndmask_b32_e32 v0, v0, v6, vcc_lo
	v_cndmask_b32_e32 v2, v2, v15, vcc_lo
	v_cndmask_b32_e64 v1, v1, v4, s8
	v_cndmask_b32_e64 v3, v3, v5, s8
	v_lshlrev_b16 v4, 8, v0
	v_lshlrev_b16 v5, 8, v2
	v_and_b32_sdwa v6, v1, v7 dst_sel:DWORD dst_unused:UNUSED_PAD src0_sel:WORD_1 src1_sel:DWORD
	v_and_b32_sdwa v13, v3, v7 dst_sel:DWORD dst_unused:UNUSED_PAD src0_sel:WORD_1 src1_sel:DWORD
	v_or_b32_sdwa v4, v6, v4 dst_sel:WORD_1 dst_unused:UNUSED_PAD src0_sel:DWORD src1_sel:DWORD
	v_or_b32_sdwa v5, v13, v5 dst_sel:WORD_1 dst_unused:UNUSED_PAD src0_sel:DWORD src1_sel:DWORD
	v_lshrrev_b32_e32 v6, 24, v3
	v_and_or_b32 v4, 0xffff, v1, v4
	v_and_or_b32 v5, 0xffff, v3, v5
	v_cmp_lt_i16_sdwa vcc_lo, sext(v2), sext(v6) src0_sel:BYTE_0 src1_sel:BYTE_0
	v_cndmask_b32_e32 v5, v3, v5, vcc_lo
	v_cndmask_b32_e32 v4, v1, v4, vcc_lo
	v_perm_b32 v3, v3, v2, 0x3020107
	v_perm_b32 v1, v1, v0, 0x3020107
	;; [unrolled: 1-line block ×3, first 2 shown]
	v_lshrrev_b32_e32 v14, 8, v5
	v_perm_b32 v6, 0, v4, 0xc0c0001
	v_cndmask_b32_e32 v2, v2, v3, vcc_lo
	v_cndmask_b32_e32 v0, v0, v1, vcc_lo
	v_and_or_b32 v3, 0xffff0000, v5, v13
	v_cmp_lt_i16_sdwa vcc_lo, sext(v14), sext(v5) src0_sel:BYTE_0 src1_sel:BYTE_0
	v_and_or_b32 v1, 0xffff0000, v4, v6
	v_lshrrev_b32_e32 v6, 16, v2
	v_lshrrev_b32_e32 v13, 8, v2
	v_cndmask_b32_e32 v3, v5, v3, vcc_lo
	v_cndmask_b32_e32 v1, v4, v1, vcc_lo
	v_perm_b32 v4, v2, v2, 0x7050604
	v_perm_b32 v5, v0, v0, 0x7050604
	v_cmp_lt_i16_sdwa vcc_lo, sext(v6), sext(v13) src0_sel:BYTE_0 src1_sel:BYTE_0
	v_lshrrev_b32_e32 v13, 16, v3
	v_lshrrev_b32_e32 v6, 16, v1
	v_lshrrev_b32_e32 v15, 24, v3
	v_cndmask_b32_e32 v0, v0, v5, vcc_lo
	v_cndmask_b32_e32 v2, v2, v4, vcc_lo
	v_perm_b32 v5, 0, v13, 0xc0c0001
	v_perm_b32 v4, 0, v6, 0xc0c0001
	v_cmp_lt_i16_sdwa s8, sext(v15), sext(v13) src0_sel:BYTE_0 src1_sel:BYTE_0
	v_perm_b32 v6, v0, v0, 0x7060405
	v_lshrrev_b32_e32 v14, 8, v2
	v_lshlrev_b32_e32 v5, 16, v5
	v_lshlrev_b32_e32 v4, 16, v4
	v_perm_b32 v16, v2, v2, 0x7060405
	v_cmp_lt_i16_sdwa vcc_lo, sext(v14), sext(v2) src0_sel:BYTE_0 src1_sel:BYTE_0
	v_and_or_b32 v5, 0xffff, v3, v5
	v_and_or_b32 v4, 0xffff, v1, v4
	v_cndmask_b32_e32 v2, v2, v16, vcc_lo
	v_cndmask_b32_e64 v3, v3, v5, s8
	v_cndmask_b32_e32 v0, v0, v6, vcc_lo
	v_cndmask_b32_e64 v1, v1, v4, s8
	v_lshrrev_b32_e32 v4, 24, v2
	v_lshrrev_b32_e32 v5, 16, v2
	;; [unrolled: 1-line block ×4, first 2 shown]
	v_perm_b32 v6, v0, v0, 0x6070504
	v_perm_b32 v15, v2, v2, 0x6070504
	v_cmp_lt_i16_sdwa vcc_lo, sext(v4), sext(v5) src0_sel:BYTE_0 src1_sel:BYTE_0
	v_perm_b32 v4, v1, v1, 0x7050604
	v_perm_b32 v5, v3, v3, 0x7050604
	v_cmp_lt_i16_sdwa s8, sext(v13), sext(v14) src0_sel:BYTE_0 src1_sel:BYTE_0
	v_cndmask_b32_e32 v0, v0, v6, vcc_lo
	v_cndmask_b32_e32 v2, v2, v15, vcc_lo
	v_cndmask_b32_e64 v1, v1, v4, s8
	v_cndmask_b32_e64 v3, v3, v5, s8
	v_lshlrev_b16 v4, 8, v0
	v_lshlrev_b16 v5, 8, v2
	v_and_b32_sdwa v6, v1, v7 dst_sel:DWORD dst_unused:UNUSED_PAD src0_sel:WORD_1 src1_sel:DWORD
	v_and_b32_sdwa v13, v3, v7 dst_sel:DWORD dst_unused:UNUSED_PAD src0_sel:WORD_1 src1_sel:DWORD
	v_or_b32_sdwa v4, v6, v4 dst_sel:WORD_1 dst_unused:UNUSED_PAD src0_sel:DWORD src1_sel:DWORD
	v_or_b32_sdwa v5, v13, v5 dst_sel:WORD_1 dst_unused:UNUSED_PAD src0_sel:DWORD src1_sel:DWORD
	v_lshrrev_b32_e32 v6, 24, v3
	v_and_or_b32 v4, 0xffff, v1, v4
	v_and_or_b32 v5, 0xffff, v3, v5
	v_cmp_lt_i16_sdwa vcc_lo, sext(v2), sext(v6) src0_sel:BYTE_0 src1_sel:BYTE_0
	v_cndmask_b32_e32 v5, v3, v5, vcc_lo
	v_cndmask_b32_e32 v4, v1, v4, vcc_lo
	v_perm_b32 v3, v3, v2, 0x3020107
	v_perm_b32 v1, v1, v0, 0x3020107
	;; [unrolled: 1-line block ×3, first 2 shown]
	v_lshrrev_b32_e32 v14, 8, v5
	v_perm_b32 v6, 0, v4, 0xc0c0001
	v_cndmask_b32_e32 v2, v2, v3, vcc_lo
	v_cndmask_b32_e32 v0, v0, v1, vcc_lo
	v_and_or_b32 v3, 0xffff0000, v5, v13
	v_cmp_lt_i16_sdwa vcc_lo, sext(v14), sext(v5) src0_sel:BYTE_0 src1_sel:BYTE_0
	v_and_or_b32 v1, 0xffff0000, v4, v6
	v_lshrrev_b32_e32 v6, 16, v2
	v_lshrrev_b32_e32 v13, 8, v2
	v_cndmask_b32_e32 v3, v5, v3, vcc_lo
	v_cndmask_b32_e32 v1, v4, v1, vcc_lo
	v_perm_b32 v4, v2, v2, 0x7050604
	v_perm_b32 v5, v0, v0, 0x7050604
	v_cmp_lt_i16_sdwa vcc_lo, sext(v6), sext(v13) src0_sel:BYTE_0 src1_sel:BYTE_0
	v_lshrrev_b32_e32 v13, 16, v3
	v_lshrrev_b32_e32 v6, 16, v1
	;; [unrolled: 1-line block ×3, first 2 shown]
	v_cndmask_b32_e32 v0, v0, v5, vcc_lo
	v_cndmask_b32_e32 v2, v2, v4, vcc_lo
	v_perm_b32 v5, 0, v13, 0xc0c0001
	v_perm_b32 v4, 0, v6, 0xc0c0001
	v_cmp_lt_i16_sdwa s8, sext(v15), sext(v13) src0_sel:BYTE_0 src1_sel:BYTE_0
	v_perm_b32 v6, v0, v0, 0x7060405
	v_lshrrev_b32_e32 v14, 8, v2
	v_lshlrev_b32_e32 v5, 16, v5
	v_lshlrev_b32_e32 v4, 16, v4
	v_perm_b32 v16, v2, v2, 0x7060405
	v_cmp_lt_i16_sdwa vcc_lo, sext(v14), sext(v2) src0_sel:BYTE_0 src1_sel:BYTE_0
	v_and_or_b32 v5, 0xffff, v3, v5
	v_and_or_b32 v4, 0xffff, v1, v4
	v_cndmask_b32_e32 v2, v2, v16, vcc_lo
	v_cndmask_b32_e64 v3, v3, v5, s8
	v_cndmask_b32_e32 v0, v0, v6, vcc_lo
	v_cndmask_b32_e64 v1, v1, v4, s8
	v_lshrrev_b32_e32 v5, 24, v2
	v_lshrrev_b32_e32 v6, 16, v2
	;; [unrolled: 1-line block ×4, first 2 shown]
	v_perm_b32 v4, v0, v0, 0x6070504
	v_perm_b32 v15, v1, v1, 0x7050604
	v_cmp_lt_i16_sdwa vcc_lo, sext(v5), sext(v6) src0_sel:BYTE_0 src1_sel:BYTE_0
	v_perm_b32 v5, v2, v2, 0x6070504
	v_cmp_lt_i16_sdwa s8, sext(v13), sext(v14) src0_sel:BYTE_0 src1_sel:BYTE_0
	v_cndmask_b32_e32 v0, v0, v4, vcc_lo
	v_perm_b32 v4, v3, v3, 0x7050604
	v_cndmask_b32_e64 v1, v1, v15, s8
	v_cndmask_b32_e32 v2, v2, v5, vcc_lo
	v_lshlrev_b16 v6, 8, v0
	v_cndmask_b32_e64 v14, v3, v4, s8
	v_and_b32_sdwa v13, v1, v7 dst_sel:DWORD dst_unused:UNUSED_PAD src0_sel:WORD_1 src1_sel:DWORD
	v_lshlrev_b16 v5, 8, v2
	v_lshrrev_b32_e32 v4, 24, v14
	v_or_b32_sdwa v3, v13, v6 dst_sel:WORD_1 dst_unused:UNUSED_PAD src0_sel:DWORD src1_sel:DWORD
	v_and_b32_sdwa v6, v14, v7 dst_sel:DWORD dst_unused:UNUSED_PAD src0_sel:WORD_1 src1_sel:DWORD
	v_perm_b32 v7, v14, v2, 0x3020107
	v_cmp_lt_i16_sdwa vcc_lo, sext(v2), sext(v4) src0_sel:BYTE_0 src1_sel:BYTE_0
	v_and_or_b32 v3, 0xffff, v1, v3
	v_or_b32_sdwa v5, v6, v5 dst_sel:WORD_1 dst_unused:UNUSED_PAD src0_sel:DWORD src1_sel:DWORD
	v_cndmask_b32_e32 v4, v1, v3, vcc_lo
	v_cndmask_b32_e32 v3, v2, v7, vcc_lo
	v_and_or_b32 v2, 0xffff, v14, v5
	v_perm_b32 v1, v1, v0, 0x3020107
	v_lshrrev_b32_e32 v6, 16, v3
	v_lshrrev_b32_e32 v7, 8, v3
	v_cndmask_b32_e32 v5, v14, v2, vcc_lo
	v_cndmask_b32_e32 v1, v0, v1, vcc_lo
	v_perm_b32 v0, v4, v4, 0x3020104
	v_cmp_lt_i16_sdwa s10, sext(v6), sext(v7) src0_sel:BYTE_0 src1_sel:BYTE_0
	v_perm_b32 v2, v5, v5, 0x3020104
	s_and_saveexec_b32 s8, s10
; %bb.20:
	v_perm_b32 v1, v1, v1, 0x7050604
	v_perm_b32 v3, v3, v3, 0x7050604
	;; [unrolled: 1-line block ×4, first 2 shown]
; %bb.21:
	s_or_b32 exec_lo, exec_lo, s8
.LBB71_22:
	s_or_b32 exec_lo, exec_lo, s9
	v_and_b32_e32 v4, 0x70, v11
	v_and_b32_e32 v13, 8, v11
	v_mad_u32_u24 v16, 0x81, v12, v8
	s_mov_b32 s9, 0
	s_mov_b32 s8, exec_lo
	v_min_i32_e32 v7, v10, v4
	v_min_i32_e32 v13, v10, v13
	; wave barrier
	ds_write_b64 v16, v[2:3]
	v_add_nc_u32_e32 v4, 8, v7
	; wave barrier
	v_min_i32_e32 v6, v10, v4
	v_add_nc_u32_e32 v4, 8, v6
	v_sub_nc_u32_e32 v15, v6, v7
	v_min_i32_e32 v5, v10, v4
	v_min_i32_e32 v15, v13, v15
	v_sub_nc_u32_e32 v4, v5, v6
	v_sub_nc_u32_e32 v14, v13, v4
	v_cmp_ge_i32_e32 vcc_lo, v13, v4
	v_mul_u32_u24_e32 v4, 0x81, v12
	v_cndmask_b32_e32 v14, 0, v14, vcc_lo
	v_cmpx_lt_i32_e64 v14, v15
	s_cbranch_execz .LBB71_26
; %bb.23:
	v_add_nc_u32_e32 v2, v4, v7
	v_add3_u32 v3, v4, v6, v13
	.p2align	6
.LBB71_24:                              ; =>This Inner Loop Header: Depth=1
	v_sub_nc_u32_e32 v12, v15, v14
	v_lshrrev_b32_e32 v12, 1, v12
	v_add_nc_u32_e32 v12, v12, v14
	v_add_nc_u32_e32 v16, v2, v12
	v_xad_u32 v17, v12, -1, v3
	v_add_nc_u32_e32 v18, 1, v12
	ds_read_i8 v16, v16
	ds_read_i8 v17, v17
	s_waitcnt lgkmcnt(0)
	v_cmp_lt_i16_e32 vcc_lo, v17, v16
	v_cndmask_b32_e32 v15, v15, v12, vcc_lo
	v_cndmask_b32_e32 v14, v18, v14, vcc_lo
	v_cmp_ge_i32_e32 vcc_lo, v14, v15
	s_or_b32 s9, vcc_lo, s9
	s_andn2_b32 exec_lo, exec_lo, s9
	s_cbranch_execnz .LBB71_24
; %bb.25:
	s_or_b32 exec_lo, exec_lo, s9
.LBB71_26:
	s_or_b32 exec_lo, exec_lo, s8
	v_add_nc_u32_e32 v3, v6, v13
	v_add_nc_u32_e32 v2, v14, v7
                                        ; implicit-def: $vgpr13
	v_sub_nc_u32_e32 v3, v3, v14
	v_add_nc_u32_e32 v14, v4, v2
	v_cmp_le_i32_e32 vcc_lo, v6, v2
	v_add_nc_u32_e32 v15, v4, v3
	v_cmp_gt_i32_e64 s9, v5, v3
	ds_read_u8 v7, v14
	ds_read_u8 v12, v15
	s_waitcnt lgkmcnt(1)
	v_bfe_i32 v7, v7, 0, 8
	s_waitcnt lgkmcnt(0)
	v_bfe_i32 v12, v12, 0, 8
	v_cmp_lt_i16_e64 s8, v12, v7
	s_or_b32 s8, vcc_lo, s8
	s_and_b32 s8, s9, s8
	s_xor_b32 s9, s8, -1
	s_and_saveexec_b32 s10, s9
	s_xor_b32 s9, exec_lo, s10
; %bb.27:
	ds_read_u8 v13, v14 offset:1
                                        ; implicit-def: $vgpr15
; %bb.28:
	s_or_saveexec_b32 s9, s9
	v_mov_b32_e32 v14, v12
	s_xor_b32 exec_lo, exec_lo, s9
	s_cbranch_execz .LBB71_30
; %bb.29:
	ds_read_u8 v14, v15 offset:1
	s_waitcnt lgkmcnt(1)
	v_mov_b32_e32 v13, v7
.LBB71_30:
	s_or_b32 exec_lo, exec_lo, s9
	v_add_nc_u32_e32 v15, 1, v2
	v_add_nc_u32_e32 v16, 1, v3
	s_waitcnt lgkmcnt(0)
	v_cmp_lt_i16_sdwa s10, sext(v14), sext(v13) src0_sel:BYTE_0 src1_sel:BYTE_0
                                        ; implicit-def: $vgpr17
	v_cndmask_b32_e64 v15, v15, v2, s8
	v_cndmask_b32_e64 v16, v3, v16, s8
	v_cmp_ge_i32_e32 vcc_lo, v15, v6
	v_cmp_lt_i32_e64 s9, v16, v5
	s_or_b32 s10, vcc_lo, s10
	s_and_b32 s9, s9, s10
	s_xor_b32 s10, s9, -1
	s_and_saveexec_b32 s11, s10
	s_xor_b32 s10, exec_lo, s11
; %bb.31:
	v_add_nc_u32_e32 v17, v4, v15
	ds_read_u8 v17, v17 offset:1
; %bb.32:
	s_or_saveexec_b32 s10, s10
	v_mov_b32_e32 v18, v14
	s_xor_b32 exec_lo, exec_lo, s10
	s_cbranch_execz .LBB71_34
; %bb.33:
	s_waitcnt lgkmcnt(0)
	v_add_nc_u32_e32 v17, v4, v16
	ds_read_u8 v18, v17 offset:1
	v_mov_b32_e32 v17, v13
.LBB71_34:
	s_or_b32 exec_lo, exec_lo, s10
	v_add_nc_u32_e32 v19, 1, v15
	v_add_nc_u32_e32 v20, 1, v16
	s_waitcnt lgkmcnt(0)
	v_cmp_lt_i16_sdwa s11, sext(v18), sext(v17) src0_sel:BYTE_0 src1_sel:BYTE_0
                                        ; implicit-def: $vgpr21
	v_cndmask_b32_e64 v19, v19, v15, s9
	v_cndmask_b32_e64 v20, v16, v20, s9
	v_cmp_ge_i32_e32 vcc_lo, v19, v6
	v_cmp_lt_i32_e64 s10, v20, v5
	s_or_b32 s11, vcc_lo, s11
	s_and_b32 s10, s10, s11
	s_xor_b32 s11, s10, -1
	s_and_saveexec_b32 s12, s11
	s_xor_b32 s11, exec_lo, s12
; %bb.35:
	v_add_nc_u32_e32 v21, v4, v19
	ds_read_u8 v21, v21 offset:1
; %bb.36:
	s_or_saveexec_b32 s11, s11
	v_mov_b32_e32 v22, v18
	s_xor_b32 exec_lo, exec_lo, s11
	s_cbranch_execz .LBB71_38
; %bb.37:
	s_waitcnt lgkmcnt(0)
	v_add_nc_u32_e32 v21, v4, v20
	ds_read_u8 v22, v21 offset:1
	v_mov_b32_e32 v21, v17
.LBB71_38:
	s_or_b32 exec_lo, exec_lo, s11
	v_add_nc_u32_e32 v23, 1, v19
	v_add_nc_u32_e32 v24, 1, v20
	s_waitcnt lgkmcnt(0)
	v_cmp_lt_i16_sdwa s12, sext(v22), sext(v21) src0_sel:BYTE_0 src1_sel:BYTE_0
                                        ; implicit-def: $vgpr25
	v_cndmask_b32_e64 v23, v23, v19, s10
	v_cndmask_b32_e64 v24, v20, v24, s10
	v_cmp_ge_i32_e32 vcc_lo, v23, v6
	v_cmp_lt_i32_e64 s11, v24, v5
	s_or_b32 s12, vcc_lo, s12
	s_and_b32 s11, s11, s12
	s_xor_b32 s12, s11, -1
	s_and_saveexec_b32 s13, s12
	s_xor_b32 s12, exec_lo, s13
; %bb.39:
	v_add_nc_u32_e32 v25, v4, v23
	ds_read_u8 v25, v25 offset:1
; %bb.40:
	s_or_saveexec_b32 s12, s12
	v_mov_b32_e32 v26, v22
	s_xor_b32 exec_lo, exec_lo, s12
	s_cbranch_execz .LBB71_42
; %bb.41:
	s_waitcnt lgkmcnt(0)
	v_add_nc_u32_e32 v25, v4, v24
	ds_read_u8 v26, v25 offset:1
	v_mov_b32_e32 v25, v21
.LBB71_42:
	s_or_b32 exec_lo, exec_lo, s12
	v_add_nc_u32_e32 v27, 1, v23
	v_add_nc_u32_e32 v28, 1, v24
	s_waitcnt lgkmcnt(0)
	v_cmp_lt_i16_sdwa s13, sext(v26), sext(v25) src0_sel:BYTE_0 src1_sel:BYTE_0
                                        ; implicit-def: $vgpr29
	v_cndmask_b32_e64 v27, v27, v23, s11
	v_cndmask_b32_e64 v28, v24, v28, s11
	v_cmp_ge_i32_e32 vcc_lo, v27, v6
	v_cmp_lt_i32_e64 s12, v28, v5
	s_or_b32 s13, vcc_lo, s13
	s_and_b32 s12, s12, s13
	s_xor_b32 s13, s12, -1
	s_and_saveexec_b32 s14, s13
	s_xor_b32 s13, exec_lo, s14
; %bb.43:
	v_add_nc_u32_e32 v29, v4, v27
	ds_read_u8 v29, v29 offset:1
; %bb.44:
	s_or_saveexec_b32 s13, s13
	v_mov_b32_e32 v30, v26
	s_xor_b32 exec_lo, exec_lo, s13
	s_cbranch_execz .LBB71_46
; %bb.45:
	s_waitcnt lgkmcnt(0)
	v_add_nc_u32_e32 v29, v4, v28
	ds_read_u8 v30, v29 offset:1
	v_mov_b32_e32 v29, v25
.LBB71_46:
	s_or_b32 exec_lo, exec_lo, s13
	v_add_nc_u32_e32 v31, 1, v27
	v_add_nc_u32_e32 v33, 1, v28
	s_waitcnt lgkmcnt(0)
	v_cmp_lt_i16_sdwa s14, sext(v30), sext(v29) src0_sel:BYTE_0 src1_sel:BYTE_0
                                        ; implicit-def: $vgpr35
	v_cndmask_b32_e64 v32, v31, v27, s12
	v_cndmask_b32_e64 v33, v28, v33, s12
	v_cmp_ge_i32_e32 vcc_lo, v32, v6
	v_cmp_lt_i32_e64 s13, v33, v5
	s_or_b32 s14, vcc_lo, s14
	s_and_b32 vcc_lo, s13, s14
	s_xor_b32 s13, vcc_lo, -1
	s_and_saveexec_b32 s14, s13
	s_xor_b32 s13, exec_lo, s14
; %bb.47:
	v_add_nc_u32_e32 v31, v4, v32
	ds_read_u8 v35, v31 offset:1
; %bb.48:
	s_or_saveexec_b32 s13, s13
	v_mov_b32_e32 v36, v30
	s_xor_b32 exec_lo, exec_lo, s13
	s_cbranch_execz .LBB71_50
; %bb.49:
	v_add_nc_u32_e32 v31, v4, v33
	s_waitcnt lgkmcnt(0)
	v_mov_b32_e32 v35, v29
	ds_read_u8 v36, v31 offset:1
.LBB71_50:
	s_or_b32 exec_lo, exec_lo, s13
	v_add_nc_u32_e32 v31, 1, v32
	v_add_nc_u32_e32 v34, 1, v33
	s_waitcnt lgkmcnt(0)
	v_cmp_lt_i16_sdwa s15, sext(v36), sext(v35) src0_sel:BYTE_0 src1_sel:BYTE_0
	v_cndmask_b32_e32 v37, v31, v32, vcc_lo
	v_cndmask_b32_e32 v38, v33, v34, vcc_lo
                                        ; implicit-def: $vgpr31
	v_cmp_ge_i32_e64 s13, v37, v6
	v_cmp_lt_i32_e64 s14, v38, v5
	s_or_b32 s13, s13, s15
	s_and_b32 s13, s14, s13
	s_xor_b32 s14, s13, -1
	s_and_saveexec_b32 s15, s14
	s_xor_b32 s14, exec_lo, s15
; %bb.51:
	v_add_nc_u32_e32 v31, v4, v37
	ds_read_u8 v31, v31 offset:1
; %bb.52:
	s_or_saveexec_b32 s14, s14
	v_mov_b32_e32 v34, v36
	s_xor_b32 exec_lo, exec_lo, s14
	s_cbranch_execz .LBB71_54
; %bb.53:
	s_waitcnt lgkmcnt(0)
	v_add_nc_u32_e32 v31, v4, v38
	ds_read_u8 v34, v31 offset:1
	v_mov_b32_e32 v31, v35
.LBB71_54:
	s_or_b32 exec_lo, exec_lo, s14
	v_add_nc_u32_e32 v39, 1, v38
	v_add_nc_u32_e32 v40, 1, v37
	v_cndmask_b32_e64 v35, v35, v36, s13
	v_cndmask_b32_sdwa v29, v29, v30, vcc_lo dst_sel:BYTE_1 dst_unused:UNUSED_PAD src0_sel:DWORD src1_sel:DWORD
	v_cndmask_b32_e32 v30, v32, v33, vcc_lo
	v_cndmask_b32_e64 v36, v38, v39, s13
	v_cndmask_b32_e64 v39, v40, v37, s13
	;; [unrolled: 1-line block ×4, first 2 shown]
	v_add_nc_u32_e32 v2, v4, v8
	v_cmp_ge_i32_e32 vcc_lo, v39, v6
	v_cndmask_b32_e64 v6, v15, v16, s9
	v_cmp_lt_i32_e64 s9, v36, v5
	v_and_b32_e32 v5, 0x60, v11
	; wave barrier
	ds_write_b64 v2, v[0:1]
	v_cndmask_b32_e64 v18, v17, v18, s10
	v_cndmask_b32_e64 v17, v19, v20, s10
	v_min_i32_e32 v16, v10, v5
	s_waitcnt lgkmcnt(1)
	v_cmp_lt_i16_sdwa s10, sext(v34), sext(v31) src0_sel:BYTE_0 src1_sel:BYTE_0
	v_add_nc_u32_e32 v1, v4, v3
	v_add_nc_u32_e32 v3, v4, v6
	v_cndmask_b32_e64 v21, v21, v22, s11
	v_add_nc_u32_e32 v0, 16, v16
	s_or_b32 s10, vcc_lo, s10
	v_cndmask_b32_e64 v22, v23, v24, s11
	s_and_b32 vcc_lo, s9, s10
	v_cndmask_b32_e64 v25, v25, v26, s12
	v_min_i32_e32 v6, v10, v0
	v_cndmask_b32_e64 v26, v27, v28, s12
	v_cndmask_b32_e64 v37, v37, v38, s13
	v_cndmask_b32_e32 v5, v39, v36, vcc_lo
	v_cndmask_b32_e64 v19, v7, v12, s8
	v_add_nc_u32_e32 v0, 16, v6
	v_add_nc_u32_e32 v7, v4, v17
	;; [unrolled: 1-line block ×4, first 2 shown]
	; wave barrier
	v_add_nc_u32_e32 v17, v4, v30
	v_add_nc_u32_e32 v22, v4, v37
	;; [unrolled: 1-line block ×3, first 2 shown]
	v_lshlrev_b16 v24, 8, v13
	v_min_i32_e32 v15, v10, v0
	ds_read_u8 v0, v1
	ds_read_u8 v1, v3
	;; [unrolled: 1-line block ×8, first 2 shown]
	v_cndmask_b32_e32 v20, v31, v34, vcc_lo
	v_and_b32_e32 v26, 24, v11
	v_lshlrev_b16 v21, 8, v21
	v_sub_nc_u32_e32 v22, v15, v6
	v_or_b32_sdwa v19, v19, v24 dst_sel:DWORD dst_unused:UNUSED_PAD src0_sel:BYTE_0 src1_sel:DWORD
	v_lshlrev_b16 v20, 8, v20
	v_min_i32_e32 v17, v10, v26
	v_or_b32_sdwa v18, v18, v21 dst_sel:WORD_1 dst_unused:UNUSED_PAD src0_sel:BYTE_0 src1_sel:DWORD
	v_or_b32_sdwa v21, v25, v29 dst_sel:DWORD dst_unused:UNUSED_PAD src0_sel:BYTE_0 src1_sel:DWORD
	v_sub_nc_u32_e32 v24, v6, v16
	v_or_b32_sdwa v25, v35, v20 dst_sel:WORD_1 dst_unused:UNUSED_PAD src0_sel:BYTE_0 src1_sel:DWORD
	v_sub_nc_u32_e32 v23, v17, v22
	v_cmp_ge_i32_e32 vcc_lo, v17, v22
	v_or_b32_sdwa v20, v19, v18 dst_sel:DWORD dst_unused:UNUSED_PAD src0_sel:WORD_0 src1_sel:DWORD
	v_min_i32_e32 v19, v17, v24
	v_or_b32_sdwa v21, v21, v25 dst_sel:DWORD dst_unused:UNUSED_PAD src0_sel:WORD_0 src1_sel:DWORD
	s_mov_b32 s9, 0
	v_cndmask_b32_e32 v18, 0, v23, vcc_lo
	s_mov_b32 s8, exec_lo
	; wave barrier
	ds_write_b64 v2, v[20:21]
	; wave barrier
	v_cmpx_lt_i32_e64 v18, v19
	s_cbranch_execz .LBB71_58
; %bb.55:
	v_add_nc_u32_e32 v20, v4, v16
	v_add3_u32 v21, v4, v6, v17
	.p2align	6
.LBB71_56:                              ; =>This Inner Loop Header: Depth=1
	v_sub_nc_u32_e32 v22, v19, v18
	v_lshrrev_b32_e32 v22, 1, v22
	v_add_nc_u32_e32 v22, v22, v18
	v_add_nc_u32_e32 v23, v20, v22
	v_xad_u32 v24, v22, -1, v21
	v_add_nc_u32_e32 v25, 1, v22
	ds_read_i8 v23, v23
	ds_read_i8 v24, v24
	s_waitcnt lgkmcnt(0)
	v_cmp_lt_i16_e32 vcc_lo, v24, v23
	v_cndmask_b32_e32 v19, v19, v22, vcc_lo
	v_cndmask_b32_e32 v18, v25, v18, vcc_lo
	v_cmp_ge_i32_e32 vcc_lo, v18, v19
	s_or_b32 s9, vcc_lo, s9
	s_andn2_b32 exec_lo, exec_lo, s9
	s_cbranch_execnz .LBB71_56
; %bb.57:
	s_or_b32 exec_lo, exec_lo, s9
.LBB71_58:
	s_or_b32 exec_lo, exec_lo, s8
	v_add_nc_u32_e32 v17, v6, v17
	v_add_nc_u32_e32 v16, v18, v16
                                        ; implicit-def: $vgpr20
	v_sub_nc_u32_e32 v17, v17, v18
	v_add_nc_u32_e32 v21, v4, v16
	v_cmp_le_i32_e32 vcc_lo, v6, v16
	v_add_nc_u32_e32 v22, v4, v17
	v_cmp_gt_i32_e64 s9, v15, v17
	ds_read_u8 v18, v21
	ds_read_u8 v19, v22
	s_waitcnt lgkmcnt(1)
	v_bfe_i32 v18, v18, 0, 8
	s_waitcnt lgkmcnt(0)
	v_bfe_i32 v19, v19, 0, 8
	v_cmp_lt_i16_e64 s8, v19, v18
	s_or_b32 s8, vcc_lo, s8
	s_and_b32 s8, s9, s8
	s_xor_b32 s9, s8, -1
	s_and_saveexec_b32 s10, s9
	s_xor_b32 s9, exec_lo, s10
; %bb.59:
	ds_read_u8 v20, v21 offset:1
                                        ; implicit-def: $vgpr22
; %bb.60:
	s_or_saveexec_b32 s9, s9
	v_mov_b32_e32 v21, v19
	s_xor_b32 exec_lo, exec_lo, s9
	s_cbranch_execz .LBB71_62
; %bb.61:
	ds_read_u8 v21, v22 offset:1
	s_waitcnt lgkmcnt(1)
	v_mov_b32_e32 v20, v18
.LBB71_62:
	s_or_b32 exec_lo, exec_lo, s9
	v_add_nc_u32_e32 v22, 1, v16
	v_add_nc_u32_e32 v23, 1, v17
	s_waitcnt lgkmcnt(0)
	v_cmp_lt_i16_sdwa s10, sext(v21), sext(v20) src0_sel:BYTE_0 src1_sel:BYTE_0
                                        ; implicit-def: $vgpr24
	v_cndmask_b32_e64 v22, v22, v16, s8
	v_cndmask_b32_e64 v23, v17, v23, s8
	v_cmp_ge_i32_e32 vcc_lo, v22, v6
	v_cmp_lt_i32_e64 s9, v23, v15
	s_or_b32 s10, vcc_lo, s10
	s_and_b32 s9, s9, s10
	s_xor_b32 s10, s9, -1
	s_and_saveexec_b32 s11, s10
	s_xor_b32 s10, exec_lo, s11
; %bb.63:
	v_add_nc_u32_e32 v24, v4, v22
	ds_read_u8 v24, v24 offset:1
; %bb.64:
	s_or_saveexec_b32 s10, s10
	v_mov_b32_e32 v25, v21
	s_xor_b32 exec_lo, exec_lo, s10
	s_cbranch_execz .LBB71_66
; %bb.65:
	s_waitcnt lgkmcnt(0)
	v_add_nc_u32_e32 v24, v4, v23
	ds_read_u8 v25, v24 offset:1
	v_mov_b32_e32 v24, v20
.LBB71_66:
	s_or_b32 exec_lo, exec_lo, s10
	v_add_nc_u32_e32 v26, 1, v22
	v_add_nc_u32_e32 v27, 1, v23
	s_waitcnt lgkmcnt(0)
	v_cmp_lt_i16_sdwa s11, sext(v25), sext(v24) src0_sel:BYTE_0 src1_sel:BYTE_0
                                        ; implicit-def: $vgpr28
	v_cndmask_b32_e64 v26, v26, v22, s9
	v_cndmask_b32_e64 v27, v23, v27, s9
	v_cmp_ge_i32_e32 vcc_lo, v26, v6
	v_cmp_lt_i32_e64 s10, v27, v15
	s_or_b32 s11, vcc_lo, s11
	s_and_b32 s10, s10, s11
	s_xor_b32 s11, s10, -1
	s_and_saveexec_b32 s12, s11
	s_xor_b32 s11, exec_lo, s12
; %bb.67:
	v_add_nc_u32_e32 v28, v4, v26
	ds_read_u8 v28, v28 offset:1
; %bb.68:
	s_or_saveexec_b32 s11, s11
	v_mov_b32_e32 v29, v25
	s_xor_b32 exec_lo, exec_lo, s11
	s_cbranch_execz .LBB71_70
; %bb.69:
	s_waitcnt lgkmcnt(0)
	v_add_nc_u32_e32 v28, v4, v27
	ds_read_u8 v29, v28 offset:1
	v_mov_b32_e32 v28, v24
.LBB71_70:
	s_or_b32 exec_lo, exec_lo, s11
	v_add_nc_u32_e32 v30, 1, v26
	v_add_nc_u32_e32 v31, 1, v27
	s_waitcnt lgkmcnt(0)
	v_cmp_lt_i16_sdwa s12, sext(v29), sext(v28) src0_sel:BYTE_0 src1_sel:BYTE_0
                                        ; implicit-def: $vgpr32
	v_cndmask_b32_e64 v30, v30, v26, s10
	v_cndmask_b32_e64 v31, v27, v31, s10
	v_cmp_ge_i32_e32 vcc_lo, v30, v6
	v_cmp_lt_i32_e64 s11, v31, v15
	s_or_b32 s12, vcc_lo, s12
	s_and_b32 s11, s11, s12
	s_xor_b32 s12, s11, -1
	s_and_saveexec_b32 s13, s12
	s_xor_b32 s12, exec_lo, s13
; %bb.71:
	v_add_nc_u32_e32 v32, v4, v30
	ds_read_u8 v32, v32 offset:1
; %bb.72:
	s_or_saveexec_b32 s12, s12
	v_mov_b32_e32 v33, v29
	s_xor_b32 exec_lo, exec_lo, s12
	s_cbranch_execz .LBB71_74
; %bb.73:
	s_waitcnt lgkmcnt(0)
	v_add_nc_u32_e32 v32, v4, v31
	ds_read_u8 v33, v32 offset:1
	v_mov_b32_e32 v32, v28
.LBB71_74:
	s_or_b32 exec_lo, exec_lo, s12
	v_add_nc_u32_e32 v34, 1, v30
	v_add_nc_u32_e32 v35, 1, v31
	s_waitcnt lgkmcnt(0)
	v_cmp_lt_i16_sdwa s13, sext(v33), sext(v32) src0_sel:BYTE_0 src1_sel:BYTE_0
                                        ; implicit-def: $vgpr36
	v_cndmask_b32_e64 v34, v34, v30, s11
	v_cndmask_b32_e64 v35, v31, v35, s11
	v_cmp_ge_i32_e32 vcc_lo, v34, v6
	v_cmp_lt_i32_e64 s12, v35, v15
	s_or_b32 s13, vcc_lo, s13
	s_and_b32 s12, s12, s13
	s_xor_b32 s13, s12, -1
	s_and_saveexec_b32 s14, s13
	s_xor_b32 s13, exec_lo, s14
; %bb.75:
	v_add_nc_u32_e32 v36, v4, v34
	ds_read_u8 v36, v36 offset:1
; %bb.76:
	s_or_saveexec_b32 s13, s13
	v_mov_b32_e32 v38, v33
	s_xor_b32 exec_lo, exec_lo, s13
	s_cbranch_execz .LBB71_78
; %bb.77:
	s_waitcnt lgkmcnt(0)
	v_add_nc_u32_e32 v36, v4, v35
	ds_read_u8 v38, v36 offset:1
	v_mov_b32_e32 v36, v32
.LBB71_78:
	s_or_b32 exec_lo, exec_lo, s13
	v_add_nc_u32_e32 v37, 1, v34
	v_add_nc_u32_e32 v39, 1, v35
	s_waitcnt lgkmcnt(0)
	v_cmp_lt_i16_sdwa s14, sext(v38), sext(v36) src0_sel:BYTE_0 src1_sel:BYTE_0
                                        ; implicit-def: $vgpr42
	v_cndmask_b32_e64 v40, v37, v34, s12
	v_cndmask_b32_e64 v41, v35, v39, s12
	v_cmp_ge_i32_e32 vcc_lo, v40, v6
	v_cmp_lt_i32_e64 s13, v41, v15
	s_or_b32 s14, vcc_lo, s14
	s_and_b32 vcc_lo, s13, s14
	s_xor_b32 s13, vcc_lo, -1
	s_and_saveexec_b32 s14, s13
	s_xor_b32 s13, exec_lo, s14
; %bb.79:
	v_add_nc_u32_e32 v37, v4, v40
	ds_read_u8 v42, v37 offset:1
; %bb.80:
	s_or_saveexec_b32 s13, s13
	v_mov_b32_e32 v43, v38
	s_xor_b32 exec_lo, exec_lo, s13
	s_cbranch_execz .LBB71_82
; %bb.81:
	v_add_nc_u32_e32 v37, v4, v41
	s_waitcnt lgkmcnt(0)
	v_mov_b32_e32 v42, v36
	ds_read_u8 v43, v37 offset:1
.LBB71_82:
	s_or_b32 exec_lo, exec_lo, s13
	v_add_nc_u32_e32 v37, 1, v40
	v_add_nc_u32_e32 v39, 1, v41
	s_waitcnt lgkmcnt(0)
	v_cmp_lt_i16_sdwa s15, sext(v43), sext(v42) src0_sel:BYTE_0 src1_sel:BYTE_0
	v_cndmask_b32_e32 v44, v37, v40, vcc_lo
	v_cndmask_b32_e32 v45, v41, v39, vcc_lo
                                        ; implicit-def: $vgpr37
	v_cmp_ge_i32_e64 s13, v44, v6
	v_cmp_lt_i32_e64 s14, v45, v15
	s_or_b32 s13, s13, s15
	s_and_b32 s13, s14, s13
	s_xor_b32 s14, s13, -1
	s_and_saveexec_b32 s15, s14
	s_xor_b32 s14, exec_lo, s15
; %bb.83:
	v_add_nc_u32_e32 v37, v4, v44
	ds_read_u8 v37, v37 offset:1
; %bb.84:
	s_or_saveexec_b32 s14, s14
	v_mov_b32_e32 v39, v43
	s_xor_b32 exec_lo, exec_lo, s14
	s_cbranch_execz .LBB71_86
; %bb.85:
	s_waitcnt lgkmcnt(0)
	v_add_nc_u32_e32 v37, v4, v45
	ds_read_u8 v39, v37 offset:1
	v_mov_b32_e32 v37, v42
.LBB71_86:
	s_or_b32 exec_lo, exec_lo, s14
	v_add_nc_u32_e32 v46, 1, v45
	v_add_nc_u32_e32 v47, 1, v44
	v_cndmask_b32_e64 v42, v42, v43, s13
	v_perm_b32 v7, v7, v12, 0xc0c0004
	v_perm_b32 v12, v13, v14, 0xc0c0004
	v_cndmask_b32_e64 v43, v45, v46, s13
	v_perm_b32 v0, v0, v1, 0xc0c0004
	v_perm_b32 v3, v3, v5, 0xc0c0004
	v_and_b32_e32 v5, 64, v11
	v_cndmask_b32_e64 v46, v47, v44, s13
	v_cndmask_b32_e64 v18, v18, v19, s8
	;; [unrolled: 1-line block ×3, first 2 shown]
	v_cmp_lt_i32_e64 s8, v43, v15
	v_lshl_or_b32 v1, v12, 16, v7
	v_lshl_or_b32 v0, v3, 16, v0
	v_min_i32_e32 v15, v10, v5
	v_cndmask_b32_sdwa v36, v36, v38, vcc_lo dst_sel:BYTE_1 dst_unused:UNUSED_PAD src0_sel:DWORD src1_sel:DWORD
	v_cndmask_b32_e32 v38, v40, v41, vcc_lo
	v_cmp_ge_i32_e32 vcc_lo, v46, v6
	v_cndmask_b32_e64 v6, v22, v23, s9
	; wave barrier
	ds_write_b64 v2, v[0:1]
	v_add_nc_u32_e32 v0, 32, v15
	v_cndmask_b32_e64 v24, v24, v25, s10
	v_cndmask_b32_e64 v25, v26, v27, s10
	s_waitcnt lgkmcnt(1)
	v_cmp_lt_i16_sdwa s10, sext(v39), sext(v37) src0_sel:BYTE_0 src1_sel:BYTE_0
	v_add_nc_u32_e32 v5, v4, v6
	v_min_i32_e32 v6, v10, v0
	v_cndmask_b32_e64 v20, v20, v21, s9
	v_cndmask_b32_e64 v28, v28, v29, s11
	s_or_b32 s9, vcc_lo, s10
	v_cndmask_b32_e64 v29, v30, v31, s11
	s_and_b32 vcc_lo, s8, s9
	v_cndmask_b32_e64 v32, v32, v33, s12
	v_cndmask_b32_e64 v33, v34, v35, s12
	;; [unrolled: 1-line block ×3, first 2 shown]
	v_cndmask_b32_e32 v3, v46, v43, vcc_lo
	v_add_nc_u32_e32 v1, v4, v16
	v_add_nc_u32_e32 v0, 32, v6
	;; [unrolled: 1-line block ×5, first 2 shown]
	; wave barrier
	v_add_nc_u32_e32 v16, v4, v38
	v_add_nc_u32_e32 v19, v4, v44
	;; [unrolled: 1-line block ×3, first 2 shown]
	v_and_b32_e32 v22, 56, v11
	v_min_i32_e32 v14, v10, v0
	ds_read_u8 v0, v1
	ds_read_u8 v1, v5
	;; [unrolled: 1-line block ×8, first 2 shown]
	v_cndmask_b32_e32 v17, v37, v39, vcc_lo
	v_lshlrev_b16 v20, 8, v20
	v_lshlrev_b16 v19, 8, v28
	v_min_i32_e32 v16, v10, v22
	v_sub_nc_u32_e32 v21, v14, v6
	v_lshlrev_b16 v17, 8, v17
	v_or_b32_sdwa v18, v18, v20 dst_sel:DWORD dst_unused:UNUSED_PAD src0_sel:BYTE_0 src1_sel:DWORD
	v_or_b32_sdwa v19, v24, v19 dst_sel:WORD_1 dst_unused:UNUSED_PAD src0_sel:BYTE_0 src1_sel:DWORD
	v_or_b32_sdwa v20, v32, v36 dst_sel:DWORD dst_unused:UNUSED_PAD src0_sel:BYTE_0 src1_sel:DWORD
	v_sub_nc_u32_e32 v22, v16, v21
	v_sub_nc_u32_e32 v23, v6, v15
	v_or_b32_sdwa v24, v42, v17 dst_sel:WORD_1 dst_unused:UNUSED_PAD src0_sel:BYTE_0 src1_sel:DWORD
	v_cmp_ge_i32_e32 vcc_lo, v16, v21
	v_or_b32_sdwa v19, v18, v19 dst_sel:DWORD dst_unused:UNUSED_PAD src0_sel:WORD_0 src1_sel:DWORD
	s_mov_b32 s9, 0
	v_min_i32_e32 v18, v16, v23
	v_or_b32_sdwa v20, v20, v24 dst_sel:DWORD dst_unused:UNUSED_PAD src0_sel:WORD_0 src1_sel:DWORD
	v_cndmask_b32_e32 v17, 0, v22, vcc_lo
	s_mov_b32 s8, exec_lo
	; wave barrier
	ds_write_b64 v2, v[19:20]
	; wave barrier
	v_cmpx_lt_i32_e64 v17, v18
	s_cbranch_execz .LBB71_90
; %bb.87:
	v_add_nc_u32_e32 v19, v4, v15
	v_add3_u32 v20, v4, v6, v16
	.p2align	6
.LBB71_88:                              ; =>This Inner Loop Header: Depth=1
	v_sub_nc_u32_e32 v21, v18, v17
	v_lshrrev_b32_e32 v21, 1, v21
	v_add_nc_u32_e32 v21, v21, v17
	v_add_nc_u32_e32 v22, v19, v21
	v_xad_u32 v23, v21, -1, v20
	v_add_nc_u32_e32 v24, 1, v21
	ds_read_i8 v22, v22
	ds_read_i8 v23, v23
	s_waitcnt lgkmcnt(0)
	v_cmp_lt_i16_e32 vcc_lo, v23, v22
	v_cndmask_b32_e32 v18, v18, v21, vcc_lo
	v_cndmask_b32_e32 v17, v24, v17, vcc_lo
	v_cmp_ge_i32_e32 vcc_lo, v17, v18
	s_or_b32 s9, vcc_lo, s9
	s_andn2_b32 exec_lo, exec_lo, s9
	s_cbranch_execnz .LBB71_88
; %bb.89:
	s_or_b32 exec_lo, exec_lo, s9
.LBB71_90:
	s_or_b32 exec_lo, exec_lo, s8
	v_add_nc_u32_e32 v16, v6, v16
	v_add_nc_u32_e32 v15, v17, v15
                                        ; implicit-def: $vgpr19
	v_sub_nc_u32_e32 v16, v16, v17
	v_add_nc_u32_e32 v20, v4, v15
	v_cmp_le_i32_e32 vcc_lo, v6, v15
	v_add_nc_u32_e32 v21, v4, v16
	v_cmp_gt_i32_e64 s9, v14, v16
	ds_read_u8 v17, v20
	ds_read_u8 v18, v21
	s_waitcnt lgkmcnt(1)
	v_bfe_i32 v17, v17, 0, 8
	s_waitcnt lgkmcnt(0)
	v_bfe_i32 v18, v18, 0, 8
	v_cmp_lt_i16_e64 s8, v18, v17
	s_or_b32 s8, vcc_lo, s8
	s_and_b32 s8, s9, s8
	s_xor_b32 s9, s8, -1
	s_and_saveexec_b32 s10, s9
	s_xor_b32 s9, exec_lo, s10
; %bb.91:
	ds_read_u8 v19, v20 offset:1
                                        ; implicit-def: $vgpr21
; %bb.92:
	s_or_saveexec_b32 s9, s9
	v_mov_b32_e32 v20, v18
	s_xor_b32 exec_lo, exec_lo, s9
	s_cbranch_execz .LBB71_94
; %bb.93:
	ds_read_u8 v20, v21 offset:1
	s_waitcnt lgkmcnt(1)
	v_mov_b32_e32 v19, v17
.LBB71_94:
	s_or_b32 exec_lo, exec_lo, s9
	v_add_nc_u32_e32 v21, 1, v15
	v_add_nc_u32_e32 v22, 1, v16
	s_waitcnt lgkmcnt(0)
	v_cmp_lt_i16_sdwa s10, sext(v20), sext(v19) src0_sel:BYTE_0 src1_sel:BYTE_0
                                        ; implicit-def: $vgpr23
	v_cndmask_b32_e64 v21, v21, v15, s8
	v_cndmask_b32_e64 v22, v16, v22, s8
	v_cmp_ge_i32_e32 vcc_lo, v21, v6
	v_cmp_lt_i32_e64 s9, v22, v14
	s_or_b32 s10, vcc_lo, s10
	s_and_b32 s9, s9, s10
	s_xor_b32 s10, s9, -1
	s_and_saveexec_b32 s11, s10
	s_xor_b32 s10, exec_lo, s11
; %bb.95:
	v_add_nc_u32_e32 v23, v4, v21
	ds_read_u8 v23, v23 offset:1
; %bb.96:
	s_or_saveexec_b32 s10, s10
	v_mov_b32_e32 v24, v20
	s_xor_b32 exec_lo, exec_lo, s10
	s_cbranch_execz .LBB71_98
; %bb.97:
	s_waitcnt lgkmcnt(0)
	v_add_nc_u32_e32 v23, v4, v22
	ds_read_u8 v24, v23 offset:1
	v_mov_b32_e32 v23, v19
.LBB71_98:
	s_or_b32 exec_lo, exec_lo, s10
	v_add_nc_u32_e32 v25, 1, v21
	v_add_nc_u32_e32 v26, 1, v22
	s_waitcnt lgkmcnt(0)
	v_cmp_lt_i16_sdwa s11, sext(v24), sext(v23) src0_sel:BYTE_0 src1_sel:BYTE_0
                                        ; implicit-def: $vgpr27
	v_cndmask_b32_e64 v25, v25, v21, s9
	v_cndmask_b32_e64 v26, v22, v26, s9
	v_cmp_ge_i32_e32 vcc_lo, v25, v6
	v_cmp_lt_i32_e64 s10, v26, v14
	s_or_b32 s11, vcc_lo, s11
	s_and_b32 s10, s10, s11
	s_xor_b32 s11, s10, -1
	s_and_saveexec_b32 s12, s11
	s_xor_b32 s11, exec_lo, s12
; %bb.99:
	v_add_nc_u32_e32 v27, v4, v25
	ds_read_u8 v27, v27 offset:1
; %bb.100:
	s_or_saveexec_b32 s11, s11
	v_mov_b32_e32 v28, v24
	s_xor_b32 exec_lo, exec_lo, s11
	s_cbranch_execz .LBB71_102
; %bb.101:
	s_waitcnt lgkmcnt(0)
	v_add_nc_u32_e32 v27, v4, v26
	ds_read_u8 v28, v27 offset:1
	v_mov_b32_e32 v27, v23
.LBB71_102:
	s_or_b32 exec_lo, exec_lo, s11
	v_add_nc_u32_e32 v29, 1, v25
	v_add_nc_u32_e32 v30, 1, v26
	s_waitcnt lgkmcnt(0)
	v_cmp_lt_i16_sdwa s12, sext(v28), sext(v27) src0_sel:BYTE_0 src1_sel:BYTE_0
                                        ; implicit-def: $vgpr31
	v_cndmask_b32_e64 v29, v29, v25, s10
	v_cndmask_b32_e64 v30, v26, v30, s10
	v_cmp_ge_i32_e32 vcc_lo, v29, v6
	v_cmp_lt_i32_e64 s11, v30, v14
	s_or_b32 s12, vcc_lo, s12
	s_and_b32 s11, s11, s12
	s_xor_b32 s12, s11, -1
	s_and_saveexec_b32 s13, s12
	s_xor_b32 s12, exec_lo, s13
; %bb.103:
	v_add_nc_u32_e32 v31, v4, v29
	ds_read_u8 v31, v31 offset:1
; %bb.104:
	s_or_saveexec_b32 s12, s12
	v_mov_b32_e32 v32, v28
	s_xor_b32 exec_lo, exec_lo, s12
	s_cbranch_execz .LBB71_106
; %bb.105:
	s_waitcnt lgkmcnt(0)
	v_add_nc_u32_e32 v31, v4, v30
	ds_read_u8 v32, v31 offset:1
	v_mov_b32_e32 v31, v27
.LBB71_106:
	s_or_b32 exec_lo, exec_lo, s12
	v_add_nc_u32_e32 v33, 1, v29
	v_add_nc_u32_e32 v34, 1, v30
	s_waitcnt lgkmcnt(0)
	v_cmp_lt_i16_sdwa s13, sext(v32), sext(v31) src0_sel:BYTE_0 src1_sel:BYTE_0
                                        ; implicit-def: $vgpr35
	v_cndmask_b32_e64 v33, v33, v29, s11
	v_cndmask_b32_e64 v34, v30, v34, s11
	v_cmp_ge_i32_e32 vcc_lo, v33, v6
	v_cmp_lt_i32_e64 s12, v34, v14
	s_or_b32 s13, vcc_lo, s13
	s_and_b32 s12, s12, s13
	s_xor_b32 s13, s12, -1
	s_and_saveexec_b32 s14, s13
	s_xor_b32 s13, exec_lo, s14
; %bb.107:
	v_add_nc_u32_e32 v35, v4, v33
	ds_read_u8 v35, v35 offset:1
; %bb.108:
	s_or_saveexec_b32 s13, s13
	v_mov_b32_e32 v36, v32
	s_xor_b32 exec_lo, exec_lo, s13
	s_cbranch_execz .LBB71_110
; %bb.109:
	s_waitcnt lgkmcnt(0)
	v_add_nc_u32_e32 v35, v4, v34
	ds_read_u8 v36, v35 offset:1
	v_mov_b32_e32 v35, v31
.LBB71_110:
	s_or_b32 exec_lo, exec_lo, s13
	v_add_nc_u32_e32 v37, 1, v33
	v_add_nc_u32_e32 v38, 1, v34
	s_waitcnt lgkmcnt(0)
	v_cmp_lt_i16_sdwa s14, sext(v36), sext(v35) src0_sel:BYTE_0 src1_sel:BYTE_0
                                        ; implicit-def: $vgpr39
	v_cndmask_b32_e64 v37, v37, v33, s12
	v_cndmask_b32_e64 v38, v34, v38, s12
	v_cmp_ge_i32_e32 vcc_lo, v37, v6
	v_cmp_lt_i32_e64 s13, v38, v14
	s_or_b32 s14, vcc_lo, s14
	s_and_b32 vcc_lo, s13, s14
	s_xor_b32 s13, vcc_lo, -1
	s_and_saveexec_b32 s14, s13
	s_xor_b32 s13, exec_lo, s14
; %bb.111:
	v_add_nc_u32_e32 v39, v4, v37
	ds_read_u8 v39, v39 offset:1
; %bb.112:
	s_or_saveexec_b32 s13, s13
	v_mov_b32_e32 v41, v36
	s_xor_b32 exec_lo, exec_lo, s13
	s_cbranch_execz .LBB71_114
; %bb.113:
	s_waitcnt lgkmcnt(0)
	v_add_nc_u32_e32 v39, v4, v38
	ds_read_u8 v41, v39 offset:1
	v_mov_b32_e32 v39, v35
.LBB71_114:
	s_or_b32 exec_lo, exec_lo, s13
	v_add_nc_u32_e32 v40, 1, v37
	v_add_nc_u32_e32 v42, 1, v38
	s_waitcnt lgkmcnt(0)
	v_cmp_lt_i16_sdwa s15, sext(v41), sext(v39) src0_sel:BYTE_0 src1_sel:BYTE_0
	v_cndmask_b32_e32 v43, v40, v37, vcc_lo
	v_cndmask_b32_e32 v44, v38, v42, vcc_lo
                                        ; implicit-def: $vgpr40
	v_cmp_ge_i32_e64 s13, v43, v6
	v_cmp_lt_i32_e64 s14, v44, v14
	s_or_b32 s13, s13, s15
	s_and_b32 s13, s14, s13
	s_xor_b32 s14, s13, -1
	s_and_saveexec_b32 s15, s14
	s_xor_b32 s14, exec_lo, s15
; %bb.115:
	v_add_nc_u32_e32 v40, v4, v43
	ds_read_u8 v40, v40 offset:1
; %bb.116:
	s_or_saveexec_b32 s14, s14
	v_mov_b32_e32 v42, v41
	s_xor_b32 exec_lo, exec_lo, s14
	s_cbranch_execz .LBB71_118
; %bb.117:
	s_waitcnt lgkmcnt(0)
	v_add_nc_u32_e32 v40, v4, v44
	ds_read_u8 v42, v40 offset:1
	v_mov_b32_e32 v40, v39
.LBB71_118:
	s_or_b32 exec_lo, exec_lo, s14
	v_add_nc_u32_e32 v45, 1, v44
	v_add_nc_u32_e32 v46, 1, v43
	v_cndmask_b32_e64 v39, v39, v41, s13
	v_perm_b32 v7, v7, v11, 0xc0c0004
	v_perm_b32 v11, v12, v13, 0xc0c0004
	v_cndmask_b32_e64 v41, v44, v45, s13
	v_cndmask_b32_e64 v45, v46, v43, s13
	v_perm_b32 v0, v0, v1, 0xc0c0004
	v_perm_b32 v3, v3, v5, 0xc0c0004
	v_cndmask_b32_sdwa v35, v35, v36, vcc_lo dst_sel:BYTE_1 dst_unused:UNUSED_PAD src0_sel:DWORD src1_sel:DWORD
	v_cndmask_b32_e32 v36, v37, v38, vcc_lo
	v_cndmask_b32_e64 v23, v23, v24, s10
	v_cndmask_b32_e64 v24, v25, v26, s10
	v_cmp_ge_i32_e32 vcc_lo, v45, v6
	s_waitcnt lgkmcnt(0)
	v_cmp_lt_i16_sdwa s10, sext(v42), sext(v40) src0_sel:BYTE_0 src1_sel:BYTE_0
	v_cndmask_b32_e64 v16, v15, v16, s8
	v_min_i32_e32 v15, 0, v10
	v_cndmask_b32_e64 v17, v17, v18, s8
	v_cmp_lt_i32_e64 s8, v41, v14
	v_lshl_or_b32 v1, v11, 16, v7
	v_lshl_or_b32 v0, v3, 16, v0
	v_cndmask_b32_e64 v19, v19, v20, s9
	v_cndmask_b32_e64 v6, v21, v22, s9
	s_or_b32 s9, vcc_lo, s10
	v_add_nc_u32_e32 v5, 64, v15
	v_cndmask_b32_e64 v27, v27, v28, s11
	v_cndmask_b32_e64 v28, v29, v30, s11
	s_and_b32 vcc_lo, s8, s9
	v_cndmask_b32_e64 v43, v43, v44, s13
	v_cndmask_b32_e64 v31, v31, v32, s12
	;; [unrolled: 1-line block ×3, first 2 shown]
	v_cndmask_b32_e32 v3, v45, v41, vcc_lo
	; wave barrier
	ds_write_b64 v2, v[0:1]
	v_add_nc_u32_e32 v1, v4, v16
	v_min_i32_e32 v14, v10, v5
	v_add_nc_u32_e32 v5, v4, v6
	v_add_nc_u32_e32 v6, v4, v24
	;; [unrolled: 1-line block ×6, first 2 shown]
	; wave barrier
	v_add_nc_u32_e32 v16, v4, v3
	ds_read_u8 v1, v1
	ds_read_u8 v3, v5
	ds_read_u8 v5, v6
	ds_read_u8 v6, v7
	ds_read_u8 v7, v11
	ds_read_u8 v11, v12
	ds_read_u8 v12, v13
	ds_read_u8 v13, v16
	v_add_nc_u32_e32 v0, 64, v14
	v_cndmask_b32_e32 v18, v40, v42, vcc_lo
	v_lshlrev_b16 v19, 8, v19
	v_lshlrev_b16 v16, 8, v27
	v_sub_nc_u32_e32 v22, v14, v15
	v_min_i32_e32 v0, v10, v0
	v_min_i32_e32 v10, v10, v8
	v_lshlrev_b16 v18, 8, v18
	v_or_b32_sdwa v17, v17, v19 dst_sel:DWORD dst_unused:UNUSED_PAD src0_sel:BYTE_0 src1_sel:DWORD
	v_or_b32_sdwa v16, v23, v16 dst_sel:WORD_1 dst_unused:UNUSED_PAD src0_sel:BYTE_0 src1_sel:DWORD
	v_sub_nc_u32_e32 v20, v0, v14
	v_or_b32_sdwa v19, v31, v35 dst_sel:DWORD dst_unused:UNUSED_PAD src0_sel:BYTE_0 src1_sel:DWORD
	v_or_b32_sdwa v23, v39, v18 dst_sel:WORD_1 dst_unused:UNUSED_PAD src0_sel:BYTE_0 src1_sel:DWORD
	s_mov_b32 s9, 0
	v_or_b32_sdwa v18, v17, v16 dst_sel:DWORD dst_unused:UNUSED_PAD src0_sel:WORD_0 src1_sel:DWORD
	v_sub_nc_u32_e32 v21, v10, v20
	v_cmp_ge_i32_e32 vcc_lo, v10, v20
	v_min_i32_e32 v17, v10, v22
	v_or_b32_sdwa v19, v19, v23 dst_sel:DWORD dst_unused:UNUSED_PAD src0_sel:WORD_0 src1_sel:DWORD
	s_mov_b32 s8, exec_lo
	v_cndmask_b32_e32 v16, 0, v21, vcc_lo
	; wave barrier
	ds_write_b64 v2, v[18:19]
	; wave barrier
	v_cmpx_lt_i32_e64 v16, v17
	s_cbranch_execz .LBB71_122
; %bb.119:
	v_add_nc_u32_e32 v18, v4, v15
	v_add3_u32 v19, v4, v14, v10
	.p2align	6
.LBB71_120:                             ; =>This Inner Loop Header: Depth=1
	v_sub_nc_u32_e32 v20, v17, v16
	v_lshrrev_b32_e32 v20, 1, v20
	v_add_nc_u32_e32 v20, v20, v16
	v_add_nc_u32_e32 v21, v18, v20
	v_xad_u32 v22, v20, -1, v19
	v_add_nc_u32_e32 v23, 1, v20
	ds_read_i8 v21, v21
	ds_read_i8 v22, v22
	s_waitcnt lgkmcnt(0)
	v_cmp_lt_i16_e32 vcc_lo, v22, v21
	v_cndmask_b32_e32 v17, v17, v20, vcc_lo
	v_cndmask_b32_e32 v16, v23, v16, vcc_lo
	v_cmp_ge_i32_e32 vcc_lo, v16, v17
	s_or_b32 s9, vcc_lo, s9
	s_andn2_b32 exec_lo, exec_lo, s9
	s_cbranch_execnz .LBB71_120
; %bb.121:
	s_or_b32 exec_lo, exec_lo, s9
.LBB71_122:
	s_or_b32 exec_lo, exec_lo, s8
	v_add_nc_u32_e32 v17, v14, v10
	v_add_nc_u32_e32 v10, v16, v15
                                        ; implicit-def: $vgpr20
	v_sub_nc_u32_e32 v15, v17, v16
	v_add_nc_u32_e32 v17, v4, v10
	v_cmp_le_i32_e32 vcc_lo, v14, v10
	v_add_nc_u32_e32 v16, v4, v15
	v_cmp_gt_i32_e64 s9, v0, v15
	ds_read_u8 v18, v17
	ds_read_u8 v19, v16
	s_waitcnt lgkmcnt(1)
	v_bfe_i32 v18, v18, 0, 8
	s_waitcnt lgkmcnt(0)
	v_bfe_i32 v19, v19, 0, 8
	v_cmp_lt_i16_e64 s8, v19, v18
	s_or_b32 s8, vcc_lo, s8
	s_and_b32 s8, s9, s8
	s_xor_b32 s9, s8, -1
	s_and_saveexec_b32 s10, s9
	s_xor_b32 s9, exec_lo, s10
; %bb.123:
	ds_read_u8 v20, v17 offset:1
                                        ; implicit-def: $vgpr16
; %bb.124:
	s_or_saveexec_b32 s9, s9
	v_mov_b32_e32 v21, v19
	s_xor_b32 exec_lo, exec_lo, s9
	s_cbranch_execz .LBB71_126
; %bb.125:
	ds_read_u8 v21, v16 offset:1
	s_waitcnt lgkmcnt(1)
	v_mov_b32_e32 v20, v18
.LBB71_126:
	s_or_b32 exec_lo, exec_lo, s9
	v_add_nc_u32_e32 v16, 1, v10
	v_add_nc_u32_e32 v17, 1, v15
	s_waitcnt lgkmcnt(0)
	v_cmp_lt_i16_sdwa s10, sext(v21), sext(v20) src0_sel:BYTE_0 src1_sel:BYTE_0
                                        ; implicit-def: $vgpr22
	v_cndmask_b32_e64 v16, v16, v10, s8
	v_cndmask_b32_e64 v17, v15, v17, s8
	v_cmp_ge_i32_e32 vcc_lo, v16, v14
	v_cmp_lt_i32_e64 s9, v17, v0
	s_or_b32 s10, vcc_lo, s10
	s_and_b32 vcc_lo, s9, s10
	s_xor_b32 s9, vcc_lo, -1
	s_and_saveexec_b32 s10, s9
	s_xor_b32 s9, exec_lo, s10
; %bb.127:
	v_add_nc_u32_e32 v22, v4, v16
	ds_read_u8 v22, v22 offset:1
; %bb.128:
	s_or_saveexec_b32 s9, s9
	v_mov_b32_e32 v23, v21
	s_xor_b32 exec_lo, exec_lo, s9
	s_cbranch_execz .LBB71_130
; %bb.129:
	s_waitcnt lgkmcnt(0)
	v_add_nc_u32_e32 v22, v4, v17
	ds_read_u8 v23, v22 offset:1
	v_mov_b32_e32 v22, v20
.LBB71_130:
	s_or_b32 exec_lo, exec_lo, s9
	v_add_nc_u32_e32 v24, 1, v16
	v_add_nc_u32_e32 v25, 1, v17
	s_waitcnt lgkmcnt(0)
	v_cmp_lt_i16_sdwa s11, sext(v23), sext(v22) src0_sel:BYTE_0 src1_sel:BYTE_0
                                        ; implicit-def: $vgpr26
	v_cndmask_b32_e32 v24, v24, v16, vcc_lo
	v_cndmask_b32_e32 v25, v17, v25, vcc_lo
	v_cmp_ge_i32_e64 s9, v24, v14
	v_cmp_lt_i32_e64 s10, v25, v0
	s_or_b32 s9, s9, s11
	s_and_b32 s9, s10, s9
	s_xor_b32 s10, s9, -1
	s_and_saveexec_b32 s11, s10
	s_xor_b32 s10, exec_lo, s11
; %bb.131:
	v_add_nc_u32_e32 v26, v4, v24
	ds_read_u8 v26, v26 offset:1
; %bb.132:
	s_or_saveexec_b32 s10, s10
	v_mov_b32_e32 v27, v23
	s_xor_b32 exec_lo, exec_lo, s10
	s_cbranch_execz .LBB71_134
; %bb.133:
	s_waitcnt lgkmcnt(0)
	v_add_nc_u32_e32 v26, v4, v25
	ds_read_u8 v27, v26 offset:1
	v_mov_b32_e32 v26, v22
.LBB71_134:
	s_or_b32 exec_lo, exec_lo, s10
	v_add_nc_u32_e32 v28, 1, v24
	v_add_nc_u32_e32 v29, 1, v25
	s_waitcnt lgkmcnt(0)
	v_cmp_lt_i16_sdwa s12, sext(v27), sext(v26) src0_sel:BYTE_0 src1_sel:BYTE_0
                                        ; implicit-def: $vgpr30
	v_cndmask_b32_e64 v28, v28, v24, s9
	v_cndmask_b32_e64 v29, v25, v29, s9
	v_cmp_ge_i32_e64 s10, v28, v14
	v_cmp_lt_i32_e64 s11, v29, v0
	s_or_b32 s10, s10, s12
	s_and_b32 s10, s11, s10
	s_xor_b32 s11, s10, -1
	s_and_saveexec_b32 s12, s11
	s_xor_b32 s11, exec_lo, s12
; %bb.135:
	v_add_nc_u32_e32 v30, v4, v28
	ds_read_u8 v30, v30 offset:1
; %bb.136:
	s_or_saveexec_b32 s11, s11
	v_mov_b32_e32 v31, v27
	s_xor_b32 exec_lo, exec_lo, s11
	s_cbranch_execz .LBB71_138
; %bb.137:
	s_waitcnt lgkmcnt(0)
	v_add_nc_u32_e32 v30, v4, v29
	ds_read_u8 v31, v30 offset:1
	v_mov_b32_e32 v30, v26
.LBB71_138:
	s_or_b32 exec_lo, exec_lo, s11
	v_add_nc_u32_e32 v32, 1, v28
	v_add_nc_u32_e32 v33, 1, v29
	s_waitcnt lgkmcnt(0)
	v_cmp_lt_i16_sdwa s13, sext(v31), sext(v30) src0_sel:BYTE_0 src1_sel:BYTE_0
                                        ; implicit-def: $vgpr34
	v_cndmask_b32_e64 v32, v32, v28, s10
	v_cndmask_b32_e64 v33, v29, v33, s10
	v_cmp_ge_i32_e64 s11, v32, v14
	v_cmp_lt_i32_e64 s12, v33, v0
	s_or_b32 s11, s11, s13
	s_and_b32 s11, s12, s11
	s_xor_b32 s12, s11, -1
	s_and_saveexec_b32 s13, s12
	s_xor_b32 s12, exec_lo, s13
; %bb.139:
	v_add_nc_u32_e32 v34, v4, v32
	ds_read_u8 v34, v34 offset:1
; %bb.140:
	s_or_saveexec_b32 s12, s12
	v_mov_b32_e32 v35, v31
	s_xor_b32 exec_lo, exec_lo, s12
	s_cbranch_execz .LBB71_142
; %bb.141:
	s_waitcnt lgkmcnt(0)
	v_add_nc_u32_e32 v34, v4, v33
	ds_read_u8 v35, v34 offset:1
	v_mov_b32_e32 v34, v30
.LBB71_142:
	s_or_b32 exec_lo, exec_lo, s12
	v_add_nc_u32_e32 v36, 1, v32
	v_add_nc_u32_e32 v38, 1, v33
	s_waitcnt lgkmcnt(0)
	v_cmp_lt_i16_sdwa s14, sext(v35), sext(v34) src0_sel:BYTE_0 src1_sel:BYTE_0
                                        ; implicit-def: $vgpr42
	v_cndmask_b32_e64 v37, v36, v32, s11
	v_cndmask_b32_e64 v38, v33, v38, s11
	v_cmp_ge_i32_e64 s12, v37, v14
	v_cmp_lt_i32_e64 s13, v38, v0
	s_or_b32 s12, s12, s14
	s_and_b32 s12, s13, s12
	s_xor_b32 s13, s12, -1
	s_and_saveexec_b32 s14, s13
	s_xor_b32 s13, exec_lo, s14
; %bb.143:
	v_add_nc_u32_e32 v36, v4, v37
	ds_read_u8 v42, v36 offset:1
; %bb.144:
	s_or_saveexec_b32 s13, s13
	v_mov_b32_e32 v44, v35
	s_xor_b32 exec_lo, exec_lo, s13
	s_cbranch_execz .LBB71_146
; %bb.145:
	v_add_nc_u32_e32 v36, v4, v38
	s_waitcnt lgkmcnt(0)
	v_mov_b32_e32 v42, v34
	ds_read_u8 v44, v36 offset:1
.LBB71_146:
	s_or_b32 exec_lo, exec_lo, s13
	v_add_nc_u32_e32 v36, 1, v37
	v_add_nc_u32_e32 v39, 1, v38
	s_waitcnt lgkmcnt(0)
	v_cmp_lt_i16_sdwa s15, sext(v44), sext(v42) src0_sel:BYTE_0 src1_sel:BYTE_0
                                        ; implicit-def: $vgpr41
	v_cndmask_b32_e64 v45, v36, v37, s12
	v_cndmask_b32_e64 v36, v38, v39, s12
                                        ; implicit-def: $vgpr39
	v_cmp_ge_i32_e64 s13, v45, v14
	v_cmp_lt_i32_e64 s14, v36, v0
	s_or_b32 s13, s13, s15
	s_and_b32 s13, s14, s13
	s_xor_b32 s14, s13, -1
	s_and_saveexec_b32 s15, s14
	s_xor_b32 s14, exec_lo, s15
; %bb.147:
	v_add_nc_u32_e32 v39, v4, v45
	ds_read_u8 v41, v39 offset:1
	v_add_nc_u32_e32 v39, 1, v45
; %bb.148:
	s_or_saveexec_b32 s14, s14
	v_mov_b32_e32 v40, v45
	v_mov_b32_e32 v43, v44
	s_xor_b32 exec_lo, exec_lo, s14
	s_cbranch_execz .LBB71_150
; %bb.149:
	v_add_nc_u32_e32 v39, v4, v36
	s_waitcnt lgkmcnt(0)
	v_add_nc_u32_e32 v41, 1, v36
	v_mov_b32_e32 v40, v36
	ds_read_u8 v43, v39 offset:1
	v_mov_b32_e32 v39, v45
	v_mov_b32_e32 v36, v41
	;; [unrolled: 1-line block ×3, first 2 shown]
.LBB71_150:
	s_or_b32 exec_lo, exec_lo, s14
	v_perm_b32 v7, v7, v11, 0xc0c0004
	v_perm_b32 v11, v12, v13, 0xc0c0004
	v_perm_b32 v3, v1, v3, 0xc0c0004
	v_perm_b32 v5, v5, v6, 0xc0c0004
	v_cndmask_b32_e64 v6, v10, v15, s8
	v_cndmask_b32_e64 v18, v18, v19, s8
	v_cmp_lt_i32_e64 s8, v36, v0
	v_lshl_or_b32 v1, v11, 16, v7
	v_lshl_or_b32 v0, v5, 16, v3
	v_add_nc_u32_e32 v3, v4, v6
	; wave barrier
	v_cndmask_b32_sdwa v19, v20, v21, vcc_lo dst_sel:BYTE_1 dst_unused:UNUSED_PAD src0_sel:DWORD src1_sel:DWORD
	ds_write_b64 v2, v[0:1]
	; wave barrier
	ds_read_u8 v0, v3
	v_cndmask_b32_e64 v20, v22, v23, s9
	v_cndmask_b32_e64 v21, v26, v27, s10
	;; [unrolled: 1-line block ×4, first 2 shown]
	v_cmp_ge_i32_e64 s9, v39, v14
	s_waitcnt lgkmcnt(2)
	v_cmp_lt_i16_sdwa s10, sext(v43), sext(v41) src0_sel:BYTE_0 src1_sel:BYTE_0
	v_cndmask_b32_e64 v22, v30, v31, s11
	v_cndmask_b32_e64 v30, v32, v33, s11
	v_cndmask_b32_e32 v1, v16, v17, vcc_lo
	v_cndmask_b32_e64 v27, v37, v38, s12
	s_or_b32 s9, s9, s10
	v_add_nc_u32_e32 v6, v4, v24
	s_and_b32 vcc_lo, s8, s9
	v_add_nc_u32_e32 v7, v4, v30
	v_cndmask_b32_e32 v5, v39, v36, vcc_lo
	v_add_nc_u32_e32 v1, v4, v1
	v_add_nc_u32_e32 v10, v4, v28
	v_cndmask_b32_e64 v23, v34, v35, s12
	v_cndmask_b32_e32 v2, v41, v43, vcc_lo
	v_lshlrev_b16 v3, 8, v21
	v_add_nc_u32_e32 v11, v4, v27
	v_add_nc_u32_e32 v12, v4, v40
	;; [unrolled: 1-line block ×3, first 2 shown]
	s_waitcnt lgkmcnt(0)
	v_add_nc_u16 v0, v0, v18
	ds_read_u8 v5, v7
	ds_read_u8 v1, v1
	;; [unrolled: 1-line block ×7, first 2 shown]
	v_cndmask_b32_e64 v26, v42, v44, s13
	v_lshlrev_b16 v12, 8, v23
	v_lshlrev_b16 v2, 8, v2
	v_or_b32_sdwa v13, v18, v19 dst_sel:DWORD dst_unused:UNUSED_PAD src0_sel:BYTE_0 src1_sel:DWORD
	v_or_b32_sdwa v3, v20, v3 dst_sel:WORD_1 dst_unused:UNUSED_PAD src0_sel:BYTE_0 src1_sel:DWORD
	v_or_b32_sdwa v0, v0, v19 dst_sel:DWORD dst_unused:UNUSED_PAD src0_sel:BYTE_0 src1_sel:DWORD
	v_or_b32_sdwa v12, v22, v12 dst_sel:DWORD dst_unused:UNUSED_PAD src0_sel:BYTE_0 src1_sel:DWORD
	v_or_b32_sdwa v2, v26, v2 dst_sel:WORD_1 dst_unused:UNUSED_PAD src0_sel:BYTE_0 src1_sel:DWORD
	v_or_b32_sdwa v13, v13, v3 dst_sel:DWORD dst_unused:UNUSED_PAD src0_sel:WORD_0 src1_sel:DWORD
	v_or_b32_sdwa v0, v0, v3 dst_sel:DWORD dst_unused:UNUSED_PAD src0_sel:WORD_0 src1_sel:DWORD
	;; [unrolled: 1-line block ×3, first 2 shown]
	s_waitcnt lgkmcnt(6)
	v_add_nc_u16 v3, v12, v5
	v_cndmask_b32_e64 v0, v13, v0, s0
	v_perm_b32 v3, v3, v2, 0x3020104
	v_lshrrev_b32_e32 v5, 8, v0
	v_cndmask_b32_e64 v2, v2, v3, s4
	s_waitcnt lgkmcnt(5)
	v_add_nc_u16 v1, v5, v1
	v_mov_b32_e32 v5, 0xff
	v_lshrrev_b32_e32 v3, 8, v2
	v_lshlrev_b16 v1, 8, v1
	s_waitcnt lgkmcnt(2)
	v_add_nc_u16 v3, v3, v10
	v_or_b32_sdwa v1, v0, v1 dst_sel:DWORD dst_unused:UNUSED_PAD src0_sel:BYTE_0 src1_sel:DWORD
	v_lshlrev_b16 v3, 8, v3
	v_and_b32_e32 v1, 0xffff, v1
	v_or_b32_sdwa v3, v2, v3 dst_sel:DWORD dst_unused:UNUSED_PAD src0_sel:BYTE_0 src1_sel:DWORD
	v_and_or_b32 v1, 0xffff0000, v0, v1
	v_and_b32_e32 v3, 0xffff, v3
	v_cndmask_b32_e64 v0, v0, v1, s1
	v_and_or_b32 v1, 0xffff0000, v2, v3
	v_lshrrev_b32_e32 v3, 16, v0
	v_cndmask_b32_e64 v1, v2, v1, s5
	v_add_nc_u16 v2, v3, v6
	v_lshrrev_b32_e32 v3, 16, v1
	v_perm_b32 v2, v2, v0, 0xc0c0304
	s_waitcnt lgkmcnt(1)
	v_add_nc_u16 v3, v3, v11
	v_lshlrev_b32_e32 v2, 16, v2
	v_perm_b32 v3, v1, v3, 0x7000504
	v_and_or_b32 v2, 0xffff, v0, v2
	v_cndmask_b32_e64 v1, v1, v3, s6
	v_cndmask_b32_e64 v0, v0, v2, s2
	v_lshrrev_b32_e32 v2, 24, v1
	v_lshrrev_b32_e32 v3, 24, v0
	s_waitcnt lgkmcnt(0)
	v_add_nc_u16 v2, v2, v4
	v_and_b32_sdwa v4, v1, v5 dst_sel:DWORD dst_unused:UNUSED_PAD src0_sel:WORD_1 src1_sel:DWORD
	v_add_nc_u16 v3, v3, v7
	v_and_b32_sdwa v5, v0, v5 dst_sel:DWORD dst_unused:UNUSED_PAD src0_sel:WORD_1 src1_sel:DWORD
	v_lshlrev_b16 v2, 8, v2
	v_lshlrev_b16 v3, 8, v3
	v_or_b32_sdwa v2, v4, v2 dst_sel:WORD_1 dst_unused:UNUSED_PAD src0_sel:DWORD src1_sel:DWORD
	v_add_co_u32 v4, s8, s18, v9
	v_or_b32_sdwa v3, v5, v3 dst_sel:WORD_1 dst_unused:UNUSED_PAD src0_sel:DWORD src1_sel:DWORD
	v_add_co_ci_u32_e64 v5, null, s19, 0, s8
	v_and_or_b32 v2, 0xffff, v1, v2
	v_and_or_b32 v3, 0xffff, v0, v3
	v_cndmask_b32_e64 v2, v1, v2, s7
	v_cndmask_b32_e64 v3, v0, v3, s3
	v_add_co_u32 v0, vcc_lo, v4, v8
	v_add_co_ci_u32_e64 v1, null, 0, v5, vcc_lo
	s_and_saveexec_b32 s8, s0
	s_cbranch_execnz .LBB71_159
; %bb.151:
	s_or_b32 exec_lo, exec_lo, s8
	s_and_saveexec_b32 s0, s1
	s_cbranch_execnz .LBB71_160
.LBB71_152:
	s_or_b32 exec_lo, exec_lo, s0
	s_and_saveexec_b32 s0, s2
	s_cbranch_execnz .LBB71_161
.LBB71_153:
	s_or_b32 exec_lo, exec_lo, s0
	s_and_saveexec_b32 s0, s3
	s_cbranch_execnz .LBB71_162
.LBB71_154:
	s_or_b32 exec_lo, exec_lo, s0
	s_and_saveexec_b32 s0, s4
	s_cbranch_execnz .LBB71_163
.LBB71_155:
	s_or_b32 exec_lo, exec_lo, s0
	s_and_saveexec_b32 s0, s5
	s_cbranch_execnz .LBB71_164
.LBB71_156:
	s_or_b32 exec_lo, exec_lo, s0
	s_and_saveexec_b32 s0, s6
	s_cbranch_execnz .LBB71_165
.LBB71_157:
	s_or_b32 exec_lo, exec_lo, s0
	s_and_saveexec_b32 s0, s7
	s_cbranch_execnz .LBB71_166
.LBB71_158:
	s_endpgm
.LBB71_159:
	global_store_byte v[0:1], v3, off
	s_or_b32 exec_lo, exec_lo, s8
	s_and_saveexec_b32 s0, s1
	s_cbranch_execz .LBB71_152
.LBB71_160:
	v_lshrrev_b32_e32 v4, 8, v3
	global_store_byte v[0:1], v4, off offset:1
	s_or_b32 exec_lo, exec_lo, s0
	s_and_saveexec_b32 s0, s2
	s_cbranch_execz .LBB71_153
.LBB71_161:
	global_store_byte_d16_hi v[0:1], v3, off offset:2
	s_or_b32 exec_lo, exec_lo, s0
	s_and_saveexec_b32 s0, s3
	s_cbranch_execz .LBB71_154
.LBB71_162:
	v_lshrrev_b32_e32 v3, 24, v3
	global_store_byte v[0:1], v3, off offset:3
	s_or_b32 exec_lo, exec_lo, s0
	s_and_saveexec_b32 s0, s4
	s_cbranch_execz .LBB71_155
.LBB71_163:
	global_store_byte v[0:1], v2, off offset:4
	s_or_b32 exec_lo, exec_lo, s0
	s_and_saveexec_b32 s0, s5
	s_cbranch_execz .LBB71_156
.LBB71_164:
	v_lshrrev_b32_e32 v3, 8, v2
	global_store_byte v[0:1], v3, off offset:5
	s_or_b32 exec_lo, exec_lo, s0
	s_and_saveexec_b32 s0, s6
	s_cbranch_execz .LBB71_157
.LBB71_165:
	global_store_byte_d16_hi v[0:1], v2, off offset:6
	s_or_b32 exec_lo, exec_lo, s0
	s_and_saveexec_b32 s0, s7
	s_cbranch_execz .LBB71_158
.LBB71_166:
	v_lshrrev_b32_e32 v2, 24, v2
	global_store_byte v[0:1], v2, off offset:7
	s_endpgm
	.section	.rodata,"a",@progbits
	.p2align	6, 0x0
	.amdhsa_kernel _Z20sort_pairs_segmentedILj256ELj16ELj8EaN10test_utils4lessEEvPKT2_PS2_PKjT3_
		.amdhsa_group_segment_fixed_size 2064
		.amdhsa_private_segment_fixed_size 0
		.amdhsa_kernarg_size 28
		.amdhsa_user_sgpr_count 6
		.amdhsa_user_sgpr_private_segment_buffer 1
		.amdhsa_user_sgpr_dispatch_ptr 0
		.amdhsa_user_sgpr_queue_ptr 0
		.amdhsa_user_sgpr_kernarg_segment_ptr 1
		.amdhsa_user_sgpr_dispatch_id 0
		.amdhsa_user_sgpr_flat_scratch_init 0
		.amdhsa_user_sgpr_private_segment_size 0
		.amdhsa_wavefront_size32 1
		.amdhsa_uses_dynamic_stack 0
		.amdhsa_system_sgpr_private_segment_wavefront_offset 0
		.amdhsa_system_sgpr_workgroup_id_x 1
		.amdhsa_system_sgpr_workgroup_id_y 0
		.amdhsa_system_sgpr_workgroup_id_z 0
		.amdhsa_system_sgpr_workgroup_info 0
		.amdhsa_system_vgpr_workitem_id 0
		.amdhsa_next_free_vgpr 48
		.amdhsa_next_free_sgpr 20
		.amdhsa_reserve_vcc 1
		.amdhsa_reserve_flat_scratch 0
		.amdhsa_float_round_mode_32 0
		.amdhsa_float_round_mode_16_64 0
		.amdhsa_float_denorm_mode_32 3
		.amdhsa_float_denorm_mode_16_64 3
		.amdhsa_dx10_clamp 1
		.amdhsa_ieee_mode 1
		.amdhsa_fp16_overflow 0
		.amdhsa_workgroup_processor_mode 1
		.amdhsa_memory_ordered 1
		.amdhsa_forward_progress 1
		.amdhsa_shared_vgpr_count 0
		.amdhsa_exception_fp_ieee_invalid_op 0
		.amdhsa_exception_fp_denorm_src 0
		.amdhsa_exception_fp_ieee_div_zero 0
		.amdhsa_exception_fp_ieee_overflow 0
		.amdhsa_exception_fp_ieee_underflow 0
		.amdhsa_exception_fp_ieee_inexact 0
		.amdhsa_exception_int_div_zero 0
	.end_amdhsa_kernel
	.section	.text._Z20sort_pairs_segmentedILj256ELj16ELj8EaN10test_utils4lessEEvPKT2_PS2_PKjT3_,"axG",@progbits,_Z20sort_pairs_segmentedILj256ELj16ELj8EaN10test_utils4lessEEvPKT2_PS2_PKjT3_,comdat
.Lfunc_end71:
	.size	_Z20sort_pairs_segmentedILj256ELj16ELj8EaN10test_utils4lessEEvPKT2_PS2_PKjT3_, .Lfunc_end71-_Z20sort_pairs_segmentedILj256ELj16ELj8EaN10test_utils4lessEEvPKT2_PS2_PKjT3_
                                        ; -- End function
	.set _Z20sort_pairs_segmentedILj256ELj16ELj8EaN10test_utils4lessEEvPKT2_PS2_PKjT3_.num_vgpr, 48
	.set _Z20sort_pairs_segmentedILj256ELj16ELj8EaN10test_utils4lessEEvPKT2_PS2_PKjT3_.num_agpr, 0
	.set _Z20sort_pairs_segmentedILj256ELj16ELj8EaN10test_utils4lessEEvPKT2_PS2_PKjT3_.numbered_sgpr, 20
	.set _Z20sort_pairs_segmentedILj256ELj16ELj8EaN10test_utils4lessEEvPKT2_PS2_PKjT3_.num_named_barrier, 0
	.set _Z20sort_pairs_segmentedILj256ELj16ELj8EaN10test_utils4lessEEvPKT2_PS2_PKjT3_.private_seg_size, 0
	.set _Z20sort_pairs_segmentedILj256ELj16ELj8EaN10test_utils4lessEEvPKT2_PS2_PKjT3_.uses_vcc, 1
	.set _Z20sort_pairs_segmentedILj256ELj16ELj8EaN10test_utils4lessEEvPKT2_PS2_PKjT3_.uses_flat_scratch, 0
	.set _Z20sort_pairs_segmentedILj256ELj16ELj8EaN10test_utils4lessEEvPKT2_PS2_PKjT3_.has_dyn_sized_stack, 0
	.set _Z20sort_pairs_segmentedILj256ELj16ELj8EaN10test_utils4lessEEvPKT2_PS2_PKjT3_.has_recursion, 0
	.set _Z20sort_pairs_segmentedILj256ELj16ELj8EaN10test_utils4lessEEvPKT2_PS2_PKjT3_.has_indirect_call, 0
	.section	.AMDGPU.csdata,"",@progbits
; Kernel info:
; codeLenInByte = 9868
; TotalNumSgprs: 22
; NumVgprs: 48
; ScratchSize: 0
; MemoryBound: 0
; FloatMode: 240
; IeeeMode: 1
; LDSByteSize: 2064 bytes/workgroup (compile time only)
; SGPRBlocks: 0
; VGPRBlocks: 5
; NumSGPRsForWavesPerEU: 22
; NumVGPRsForWavesPerEU: 48
; Occupancy: 16
; WaveLimiterHint : 0
; COMPUTE_PGM_RSRC2:SCRATCH_EN: 0
; COMPUTE_PGM_RSRC2:USER_SGPR: 6
; COMPUTE_PGM_RSRC2:TRAP_HANDLER: 0
; COMPUTE_PGM_RSRC2:TGID_X_EN: 1
; COMPUTE_PGM_RSRC2:TGID_Y_EN: 0
; COMPUTE_PGM_RSRC2:TGID_Z_EN: 0
; COMPUTE_PGM_RSRC2:TIDIG_COMP_CNT: 0
	.section	.text._Z9sort_keysILj256ELj32ELj1EaN10test_utils4lessEEvPKT2_PS2_T3_,"axG",@progbits,_Z9sort_keysILj256ELj32ELj1EaN10test_utils4lessEEvPKT2_PS2_T3_,comdat
	.protected	_Z9sort_keysILj256ELj32ELj1EaN10test_utils4lessEEvPKT2_PS2_T3_ ; -- Begin function _Z9sort_keysILj256ELj32ELj1EaN10test_utils4lessEEvPKT2_PS2_T3_
	.globl	_Z9sort_keysILj256ELj32ELj1EaN10test_utils4lessEEvPKT2_PS2_T3_
	.p2align	8
	.type	_Z9sort_keysILj256ELj32ELj1EaN10test_utils4lessEEvPKT2_PS2_T3_,@function
_Z9sort_keysILj256ELj32ELj1EaN10test_utils4lessEEvPKT2_PS2_T3_: ; @_Z9sort_keysILj256ELj32ELj1EaN10test_utils4lessEEvPKT2_PS2_T3_
; %bb.0:
	s_load_dwordx4 s[0:3], s[4:5], 0x0
	s_lshl_b32 s4, s6, 8
	v_mbcnt_lo_u32_b32 v1, -1, 0
	v_lshrrev_b32_e32 v9, 5, v0
	v_mov_b32_e32 v7, 0
	v_and_b32_e32 v5, 30, v1
	v_and_b32_e32 v6, 1, v1
	v_mad_u32_u24 v3, v9, 33, v1
	v_or_b32_e32 v4, 1, v5
	v_sub_nc_u32_e32 v2, v4, v5
	s_waitcnt lgkmcnt(0)
	s_add_u32 s0, s0, s4
	s_addc_u32 s1, s1, 0
	v_min_i32_e32 v10, v6, v2
	global_load_ubyte v8, v0, s[0:1]
	v_mul_u32_u24_e32 v2, 33, v9
	s_mov_b32 s0, 0
	s_mov_b32 s1, exec_lo
	; wave barrier
	s_waitcnt vmcnt(0)
	ds_write_b8 v3, v8
	; wave barrier
	v_cmpx_lt_i32_e32 0, v10
	s_cbranch_execz .LBB72_4
; %bb.1:
	v_add_nc_u32_e32 v8, v2, v5
	v_mov_b32_e32 v9, 1
	v_mov_b32_e32 v7, 0
	v_add_nc_u32_e32 v10, v8, v6
	.p2align	6
.LBB72_2:                               ; =>This Inner Loop Header: Depth=1
	v_sub_nc_u32_e32 v11, v9, v7
	v_lshrrev_b32_e32 v11, 1, v11
	v_add_nc_u32_e32 v11, v11, v7
	v_add_nc_u32_e32 v12, v8, v11
	v_sub_nc_u32_e32 v13, v10, v11
	v_add_nc_u32_e32 v14, 1, v11
	ds_read_i8 v12, v12
	ds_read_i8 v13, v13
	s_waitcnt lgkmcnt(0)
	v_cmp_lt_i16_e32 vcc_lo, v13, v12
	v_cndmask_b32_e32 v9, v9, v11, vcc_lo
	v_cndmask_b32_e32 v7, v14, v7, vcc_lo
	v_cmp_ge_i32_e32 vcc_lo, v7, v9
	s_or_b32 s0, vcc_lo, s0
	s_andn2_b32 exec_lo, exec_lo, s0
	s_cbranch_execnz .LBB72_2
; %bb.3:
	s_or_b32 exec_lo, exec_lo, s0
.LBB72_4:
	s_or_b32 exec_lo, exec_lo, s1
	v_add_nc_u32_e32 v8, v5, v6
	v_add3_u32 v5, v2, v7, v5
	v_cmp_lt_i32_e32 vcc_lo, 0, v7
	v_sub_nc_u32_e32 v8, v8, v7
	v_add_nc_u32_e32 v8, v2, v8
	ds_read_u8 v9, v5
	ds_read_u8 v10, v8 offset:1
	v_add_nc_u32_e32 v8, v4, v6
	v_and_b32_e32 v5, 28, v1
	; wave barrier
	v_sub_nc_u32_e32 v11, v8, v7
	v_or_b32_e32 v6, 2, v5
	v_and_b32_e32 v8, 3, v1
	v_cmp_ge_i32_e64 s0, v4, v11
	v_sub_nc_u32_e32 v12, v6, v5
	v_sub_nc_u32_e64 v7, v8, 2 clamp
	v_min_i32_e32 v4, v8, v12
	s_waitcnt lgkmcnt(0)
	v_cmp_lt_i16_sdwa s1, sext(v10), sext(v9) src0_sel:BYTE_0 src1_sel:BYTE_0
	s_or_b32 s1, vcc_lo, s1
	s_and_b32 vcc_lo, s0, s1
	s_mov_b32 s0, 0
	v_cndmask_b32_e32 v9, v9, v10, vcc_lo
	s_mov_b32 s1, exec_lo
	ds_write_b8 v3, v9
	; wave barrier
	v_cmpx_lt_i32_e64 v7, v4
	s_cbranch_execz .LBB72_8
; %bb.5:
	v_add_nc_u32_e32 v9, v2, v5
	v_add_nc_u32_e32 v10, v9, v8
	.p2align	6
.LBB72_6:                               ; =>This Inner Loop Header: Depth=1
	v_sub_nc_u32_e32 v11, v4, v7
	v_lshrrev_b32_e32 v11, 1, v11
	v_add_nc_u32_e32 v11, v11, v7
	v_add_nc_u32_e32 v12, v9, v11
	v_xad_u32 v13, v11, -1, v10
	v_add_nc_u32_e32 v14, 1, v11
	ds_read_i8 v12, v12
	ds_read_i8 v13, v13 offset:2
	s_waitcnt lgkmcnt(0)
	v_cmp_lt_i16_e32 vcc_lo, v13, v12
	v_cndmask_b32_e32 v4, v4, v11, vcc_lo
	v_cndmask_b32_e32 v7, v14, v7, vcc_lo
	v_cmp_ge_i32_e32 vcc_lo, v7, v4
	s_or_b32 s0, vcc_lo, s0
	s_andn2_b32 exec_lo, exec_lo, s0
	s_cbranch_execnz .LBB72_6
; %bb.7:
	s_or_b32 exec_lo, exec_lo, s0
.LBB72_8:
	s_or_b32 exec_lo, exec_lo, s1
	v_add_nc_u32_e32 v4, v5, v8
	v_add3_u32 v9, v2, v7, v5
	v_add_nc_u32_e32 v6, v6, v8
	v_add_nc_u32_e32 v8, 4, v5
	v_cmp_lt_i32_e32 vcc_lo, 1, v7
	v_sub_nc_u32_e32 v4, v4, v7
	v_sub_nc_u32_e32 v6, v6, v7
	v_and_b32_e32 v7, 7, v1
	v_add_nc_u32_e32 v4, v2, v4
	ds_read_u8 v9, v9
	ds_read_u8 v10, v4 offset:2
	v_and_b32_e32 v4, 24, v1
	v_cmp_gt_i32_e64 s0, v8, v6
	v_sub_nc_u32_e64 v6, v7, 4 clamp
	; wave barrier
	v_or_b32_e32 v5, 4, v4
	v_sub_nc_u32_e32 v11, v5, v4
	v_min_i32_e32 v8, v7, v11
	s_waitcnt lgkmcnt(0)
	v_cmp_lt_i16_sdwa s1, sext(v10), sext(v9) src0_sel:BYTE_0 src1_sel:BYTE_0
	s_or_b32 s1, vcc_lo, s1
	s_and_b32 vcc_lo, s0, s1
	s_mov_b32 s0, exec_lo
	v_cndmask_b32_e32 v9, v9, v10, vcc_lo
	ds_write_b8 v3, v9
	; wave barrier
	v_cmpx_lt_i32_e64 v6, v8
	s_cbranch_execz .LBB72_12
; %bb.9:
	v_add_nc_u32_e32 v9, v2, v4
	s_mov_b32 s1, 0
	v_add_nc_u32_e32 v10, v9, v7
	.p2align	6
.LBB72_10:                              ; =>This Inner Loop Header: Depth=1
	v_sub_nc_u32_e32 v11, v8, v6
	v_lshrrev_b32_e32 v11, 1, v11
	v_add_nc_u32_e32 v11, v11, v6
	v_add_nc_u32_e32 v12, v9, v11
	v_xad_u32 v13, v11, -1, v10
	v_add_nc_u32_e32 v14, 1, v11
	ds_read_i8 v12, v12
	ds_read_i8 v13, v13 offset:4
	s_waitcnt lgkmcnt(0)
	v_cmp_lt_i16_e32 vcc_lo, v13, v12
	v_cndmask_b32_e32 v8, v8, v11, vcc_lo
	v_cndmask_b32_e32 v6, v14, v6, vcc_lo
	v_cmp_ge_i32_e32 vcc_lo, v6, v8
	s_or_b32 s1, vcc_lo, s1
	s_andn2_b32 exec_lo, exec_lo, s1
	s_cbranch_execnz .LBB72_10
; %bb.11:
	s_or_b32 exec_lo, exec_lo, s1
.LBB72_12:
	s_or_b32 exec_lo, exec_lo, s0
	v_add_nc_u32_e32 v8, v4, v7
	v_add3_u32 v9, v2, v6, v4
	v_add_nc_u32_e32 v5, v5, v7
	v_add_nc_u32_e32 v7, 8, v4
	v_cmp_lt_i32_e32 vcc_lo, 3, v6
	v_sub_nc_u32_e32 v8, v8, v6
	v_sub_nc_u32_e32 v11, v5, v6
	v_and_b32_e32 v5, 15, v1
	v_add_nc_u32_e32 v8, v2, v8
	ds_read_u8 v9, v9
	ds_read_u8 v10, v8 offset:4
	v_and_b32_e32 v8, 16, v1
	v_cmp_gt_i32_e64 s0, v7, v11
	v_sub_nc_u32_e64 v6, v5, 8 clamp
	; wave barrier
	v_or_b32_e32 v4, 8, v8
	v_sub_nc_u32_e32 v12, v4, v8
	v_min_i32_e32 v7, v5, v12
	s_waitcnt lgkmcnt(0)
	v_cmp_lt_i16_sdwa s1, sext(v10), sext(v9) src0_sel:BYTE_0 src1_sel:BYTE_0
	s_or_b32 s1, vcc_lo, s1
	s_and_b32 vcc_lo, s0, s1
	s_mov_b32 s0, exec_lo
	v_cndmask_b32_e32 v9, v9, v10, vcc_lo
	ds_write_b8 v3, v9
	; wave barrier
	v_cmpx_lt_i32_e64 v6, v7
	s_cbranch_execz .LBB72_16
; %bb.13:
	v_add_nc_u32_e32 v9, v2, v8
	s_mov_b32 s1, 0
	v_add_nc_u32_e32 v10, v9, v5
	.p2align	6
.LBB72_14:                              ; =>This Inner Loop Header: Depth=1
	v_sub_nc_u32_e32 v11, v7, v6
	v_lshrrev_b32_e32 v11, 1, v11
	v_add_nc_u32_e32 v11, v11, v6
	v_add_nc_u32_e32 v12, v9, v11
	v_xad_u32 v13, v11, -1, v10
	v_add_nc_u32_e32 v14, 1, v11
	ds_read_i8 v12, v12
	ds_read_i8 v13, v13 offset:8
	s_waitcnt lgkmcnt(0)
	v_cmp_lt_i16_e32 vcc_lo, v13, v12
	v_cndmask_b32_e32 v7, v7, v11, vcc_lo
	v_cndmask_b32_e32 v6, v14, v6, vcc_lo
	v_cmp_ge_i32_e32 vcc_lo, v6, v7
	s_or_b32 s1, vcc_lo, s1
	s_andn2_b32 exec_lo, exec_lo, s1
	s_cbranch_execnz .LBB72_14
; %bb.15:
	s_or_b32 exec_lo, exec_lo, s1
.LBB72_16:
	s_or_b32 exec_lo, exec_lo, s0
	v_add_nc_u32_e32 v7, v8, v5
	v_add3_u32 v9, v2, v6, v8
	v_add_nc_u32_e32 v4, v4, v5
	v_add_nc_u32_e32 v5, 16, v8
	v_cmp_lt_i32_e32 vcc_lo, 7, v6
	v_sub_nc_u32_e32 v7, v7, v6
	v_sub_nc_u32_e32 v4, v4, v6
	v_add_nc_u32_e32 v6, v2, v1
	v_add_nc_u32_e32 v7, v2, v7
	ds_read_u8 v9, v9
	ds_read_u8 v7, v7 offset:8
	v_cmp_gt_i32_e64 s0, v5, v4
	v_sub_nc_u32_e64 v4, v1, 16 clamp
	v_min_u32_e32 v5, 16, v1
	; wave barrier
	s_waitcnt lgkmcnt(0)
	v_cmp_lt_i16_sdwa s1, sext(v7), sext(v9) src0_sel:BYTE_0 src1_sel:BYTE_0
	s_or_b32 s1, vcc_lo, s1
	s_and_b32 vcc_lo, s0, s1
	s_mov_b32 s0, exec_lo
	v_cndmask_b32_e32 v7, v9, v7, vcc_lo
	ds_write_b8 v6, v7
	; wave barrier
	v_cmpx_lt_u32_e64 v4, v5
	s_cbranch_execz .LBB72_20
; %bb.17:
	s_mov_b32 s1, 0
	.p2align	6
.LBB72_18:                              ; =>This Inner Loop Header: Depth=1
	v_sub_nc_u32_e32 v6, v5, v4
	v_lshrrev_b32_e32 v6, 1, v6
	v_add_nc_u32_e32 v6, v6, v4
	v_add_nc_u32_e32 v7, v2, v6
	v_xad_u32 v8, v6, -1, v3
	v_add_nc_u32_e32 v9, 1, v6
	ds_read_i8 v7, v7
	ds_read_i8 v8, v8 offset:16
	s_waitcnt lgkmcnt(0)
	v_cmp_lt_i16_e32 vcc_lo, v8, v7
	v_cndmask_b32_e32 v5, v5, v6, vcc_lo
	v_cndmask_b32_e32 v4, v9, v4, vcc_lo
	v_cmp_ge_i32_e32 vcc_lo, v4, v5
	s_or_b32 s1, vcc_lo, s1
	s_andn2_b32 exec_lo, exec_lo, s1
	s_cbranch_execnz .LBB72_18
; %bb.19:
	s_or_b32 exec_lo, exec_lo, s1
.LBB72_20:
	s_or_b32 exec_lo, exec_lo, s0
	v_sub_nc_u32_e32 v1, v1, v4
	v_add_nc_u32_e32 v3, v2, v4
	v_cmp_lt_i32_e32 vcc_lo, 15, v4
	v_add_nc_u32_e32 v2, v2, v1
	v_add_nc_u32_e32 v1, 16, v1
	ds_read_u8 v3, v3
	ds_read_u8 v2, v2 offset:16
	v_cmp_gt_i32_e64 s0, 32, v1
	s_waitcnt lgkmcnt(0)
	v_cmp_lt_i16_sdwa s1, sext(v2), sext(v3) src0_sel:BYTE_0 src1_sel:BYTE_0
	s_or_b32 s1, vcc_lo, s1
	s_and_b32 vcc_lo, s0, s1
	s_add_u32 s0, s2, s4
	s_addc_u32 s1, s3, 0
	v_add_co_u32 v0, s0, s0, v0
	v_cndmask_b32_e32 v2, v3, v2, vcc_lo
	v_add_co_ci_u32_e64 v1, null, s1, 0, s0
	global_store_byte v[0:1], v2, off
	s_endpgm
	.section	.rodata,"a",@progbits
	.p2align	6, 0x0
	.amdhsa_kernel _Z9sort_keysILj256ELj32ELj1EaN10test_utils4lessEEvPKT2_PS2_T3_
		.amdhsa_group_segment_fixed_size 264
		.amdhsa_private_segment_fixed_size 0
		.amdhsa_kernarg_size 20
		.amdhsa_user_sgpr_count 6
		.amdhsa_user_sgpr_private_segment_buffer 1
		.amdhsa_user_sgpr_dispatch_ptr 0
		.amdhsa_user_sgpr_queue_ptr 0
		.amdhsa_user_sgpr_kernarg_segment_ptr 1
		.amdhsa_user_sgpr_dispatch_id 0
		.amdhsa_user_sgpr_flat_scratch_init 0
		.amdhsa_user_sgpr_private_segment_size 0
		.amdhsa_wavefront_size32 1
		.amdhsa_uses_dynamic_stack 0
		.amdhsa_system_sgpr_private_segment_wavefront_offset 0
		.amdhsa_system_sgpr_workgroup_id_x 1
		.amdhsa_system_sgpr_workgroup_id_y 0
		.amdhsa_system_sgpr_workgroup_id_z 0
		.amdhsa_system_sgpr_workgroup_info 0
		.amdhsa_system_vgpr_workitem_id 0
		.amdhsa_next_free_vgpr 15
		.amdhsa_next_free_sgpr 7
		.amdhsa_reserve_vcc 1
		.amdhsa_reserve_flat_scratch 0
		.amdhsa_float_round_mode_32 0
		.amdhsa_float_round_mode_16_64 0
		.amdhsa_float_denorm_mode_32 3
		.amdhsa_float_denorm_mode_16_64 3
		.amdhsa_dx10_clamp 1
		.amdhsa_ieee_mode 1
		.amdhsa_fp16_overflow 0
		.amdhsa_workgroup_processor_mode 1
		.amdhsa_memory_ordered 1
		.amdhsa_forward_progress 1
		.amdhsa_shared_vgpr_count 0
		.amdhsa_exception_fp_ieee_invalid_op 0
		.amdhsa_exception_fp_denorm_src 0
		.amdhsa_exception_fp_ieee_div_zero 0
		.amdhsa_exception_fp_ieee_overflow 0
		.amdhsa_exception_fp_ieee_underflow 0
		.amdhsa_exception_fp_ieee_inexact 0
		.amdhsa_exception_int_div_zero 0
	.end_amdhsa_kernel
	.section	.text._Z9sort_keysILj256ELj32ELj1EaN10test_utils4lessEEvPKT2_PS2_T3_,"axG",@progbits,_Z9sort_keysILj256ELj32ELj1EaN10test_utils4lessEEvPKT2_PS2_T3_,comdat
.Lfunc_end72:
	.size	_Z9sort_keysILj256ELj32ELj1EaN10test_utils4lessEEvPKT2_PS2_T3_, .Lfunc_end72-_Z9sort_keysILj256ELj32ELj1EaN10test_utils4lessEEvPKT2_PS2_T3_
                                        ; -- End function
	.set _Z9sort_keysILj256ELj32ELj1EaN10test_utils4lessEEvPKT2_PS2_T3_.num_vgpr, 15
	.set _Z9sort_keysILj256ELj32ELj1EaN10test_utils4lessEEvPKT2_PS2_T3_.num_agpr, 0
	.set _Z9sort_keysILj256ELj32ELj1EaN10test_utils4lessEEvPKT2_PS2_T3_.numbered_sgpr, 7
	.set _Z9sort_keysILj256ELj32ELj1EaN10test_utils4lessEEvPKT2_PS2_T3_.num_named_barrier, 0
	.set _Z9sort_keysILj256ELj32ELj1EaN10test_utils4lessEEvPKT2_PS2_T3_.private_seg_size, 0
	.set _Z9sort_keysILj256ELj32ELj1EaN10test_utils4lessEEvPKT2_PS2_T3_.uses_vcc, 1
	.set _Z9sort_keysILj256ELj32ELj1EaN10test_utils4lessEEvPKT2_PS2_T3_.uses_flat_scratch, 0
	.set _Z9sort_keysILj256ELj32ELj1EaN10test_utils4lessEEvPKT2_PS2_T3_.has_dyn_sized_stack, 0
	.set _Z9sort_keysILj256ELj32ELj1EaN10test_utils4lessEEvPKT2_PS2_T3_.has_recursion, 0
	.set _Z9sort_keysILj256ELj32ELj1EaN10test_utils4lessEEvPKT2_PS2_T3_.has_indirect_call, 0
	.section	.AMDGPU.csdata,"",@progbits
; Kernel info:
; codeLenInByte = 1340
; TotalNumSgprs: 9
; NumVgprs: 15
; ScratchSize: 0
; MemoryBound: 0
; FloatMode: 240
; IeeeMode: 1
; LDSByteSize: 264 bytes/workgroup (compile time only)
; SGPRBlocks: 0
; VGPRBlocks: 1
; NumSGPRsForWavesPerEU: 9
; NumVGPRsForWavesPerEU: 15
; Occupancy: 16
; WaveLimiterHint : 0
; COMPUTE_PGM_RSRC2:SCRATCH_EN: 0
; COMPUTE_PGM_RSRC2:USER_SGPR: 6
; COMPUTE_PGM_RSRC2:TRAP_HANDLER: 0
; COMPUTE_PGM_RSRC2:TGID_X_EN: 1
; COMPUTE_PGM_RSRC2:TGID_Y_EN: 0
; COMPUTE_PGM_RSRC2:TGID_Z_EN: 0
; COMPUTE_PGM_RSRC2:TIDIG_COMP_CNT: 0
	.section	.text._Z10sort_pairsILj256ELj32ELj1EaN10test_utils4lessEEvPKT2_PS2_T3_,"axG",@progbits,_Z10sort_pairsILj256ELj32ELj1EaN10test_utils4lessEEvPKT2_PS2_T3_,comdat
	.protected	_Z10sort_pairsILj256ELj32ELj1EaN10test_utils4lessEEvPKT2_PS2_T3_ ; -- Begin function _Z10sort_pairsILj256ELj32ELj1EaN10test_utils4lessEEvPKT2_PS2_T3_
	.globl	_Z10sort_pairsILj256ELj32ELj1EaN10test_utils4lessEEvPKT2_PS2_T3_
	.p2align	8
	.type	_Z10sort_pairsILj256ELj32ELj1EaN10test_utils4lessEEvPKT2_PS2_T3_,@function
_Z10sort_pairsILj256ELj32ELj1EaN10test_utils4lessEEvPKT2_PS2_T3_: ; @_Z10sort_pairsILj256ELj32ELj1EaN10test_utils4lessEEvPKT2_PS2_T3_
; %bb.0:
	s_load_dwordx4 s[0:3], s[4:5], 0x0
	s_lshl_b32 s4, s6, 8
	v_mbcnt_lo_u32_b32 v2, -1, 0
	v_lshrrev_b32_e32 v9, 5, v0
	v_mov_b32_e32 v8, 0
	v_and_b32_e32 v7, 30, v2
	v_and_b32_e32 v6, 1, v2
	v_mad_u32_u24 v3, v9, 33, v2
	v_or_b32_e32 v5, 1, v7
	v_sub_nc_u32_e32 v1, v5, v7
	s_waitcnt lgkmcnt(0)
	s_add_u32 s0, s0, s4
	s_addc_u32 s1, s1, 0
	v_min_i32_e32 v10, v6, v1
	global_load_ubyte v4, v0, s[0:1]
	v_mul_u32_u24_e32 v1, 33, v9
	s_mov_b32 s0, 0
	s_mov_b32 s1, exec_lo
	; wave barrier
	s_waitcnt vmcnt(0)
	ds_write_b8 v3, v4
	; wave barrier
	v_cmpx_lt_i32_e32 0, v10
	s_cbranch_execz .LBB73_4
; %bb.1:
	v_add_nc_u32_e32 v9, v1, v7
	v_mov_b32_e32 v10, 1
	v_mov_b32_e32 v8, 0
	v_add_nc_u32_e32 v11, v9, v6
	.p2align	6
.LBB73_2:                               ; =>This Inner Loop Header: Depth=1
	v_sub_nc_u32_e32 v12, v10, v8
	v_lshrrev_b32_e32 v12, 1, v12
	v_add_nc_u32_e32 v12, v12, v8
	v_add_nc_u32_e32 v13, v9, v12
	v_sub_nc_u32_e32 v14, v11, v12
	v_add_nc_u32_e32 v15, 1, v12
	ds_read_i8 v13, v13
	ds_read_i8 v14, v14
	s_waitcnt lgkmcnt(0)
	v_cmp_lt_i16_e32 vcc_lo, v14, v13
	v_cndmask_b32_e32 v10, v10, v12, vcc_lo
	v_cndmask_b32_e32 v8, v15, v8, vcc_lo
	v_cmp_ge_i32_e32 vcc_lo, v8, v10
	s_or_b32 s0, vcc_lo, s0
	s_andn2_b32 exec_lo, exec_lo, s0
	s_cbranch_execnz .LBB73_2
; %bb.3:
	s_or_b32 exec_lo, exec_lo, s0
.LBB73_4:
	s_or_b32 exec_lo, exec_lo, s1
	v_add_nc_u32_e32 v9, v7, v6
	v_add_nc_u32_e32 v7, v8, v7
	;; [unrolled: 1-line block ×3, first 2 shown]
	v_cmp_lt_i32_e32 vcc_lo, 0, v8
	v_add_nc_u16 v4, v4, 1
	v_sub_nc_u32_e32 v9, v9, v8
	v_add_nc_u32_e32 v10, v1, v7
	v_sub_nc_u32_e32 v6, v6, v8
	v_and_b32_e32 v8, 3, v2
	v_add_nc_u32_e32 v9, v1, v9
	ds_read_u8 v10, v10
	ds_read_u8 v9, v9 offset:1
	v_cmp_ge_i32_e64 s0, v5, v6
	v_and_b32_e32 v5, 28, v2
	; wave barrier
	ds_write_b8 v3, v4
	; wave barrier
	s_waitcnt lgkmcnt(1)
	v_cmp_lt_i16_sdwa s1, sext(v9), sext(v10) src0_sel:BYTE_0 src1_sel:BYTE_0
	s_or_b32 s1, vcc_lo, s1
	s_and_b32 vcc_lo, s0, s1
	s_mov_b32 s0, 0
	v_cndmask_b32_e32 v6, v7, v6, vcc_lo
	v_or_b32_e32 v7, 2, v5
	v_cndmask_b32_e32 v10, v10, v9, vcc_lo
	s_mov_b32 s1, exec_lo
	v_add_nc_u32_e32 v6, v1, v6
	v_sub_nc_u32_e32 v9, v7, v5
	ds_read_u8 v4, v6
	v_sub_nc_u32_e64 v6, v8, 2 clamp
	v_min_i32_e32 v9, v8, v9
	; wave barrier
	ds_write_b8 v3, v10
	; wave barrier
	v_cmpx_lt_i32_e64 v6, v9
	s_cbranch_execz .LBB73_8
; %bb.5:
	v_add_nc_u32_e32 v10, v1, v5
	v_add_nc_u32_e32 v11, v10, v8
	.p2align	6
.LBB73_6:                               ; =>This Inner Loop Header: Depth=1
	v_sub_nc_u32_e32 v12, v9, v6
	v_lshrrev_b32_e32 v12, 1, v12
	v_add_nc_u32_e32 v12, v12, v6
	v_add_nc_u32_e32 v13, v10, v12
	v_xad_u32 v14, v12, -1, v11
	v_add_nc_u32_e32 v15, 1, v12
	ds_read_i8 v13, v13
	ds_read_i8 v14, v14 offset:2
	s_waitcnt lgkmcnt(0)
	v_cmp_lt_i16_e32 vcc_lo, v14, v13
	v_cndmask_b32_e32 v9, v9, v12, vcc_lo
	v_cndmask_b32_e32 v6, v15, v6, vcc_lo
	v_cmp_ge_i32_e32 vcc_lo, v6, v9
	s_or_b32 s0, vcc_lo, s0
	s_andn2_b32 exec_lo, exec_lo, s0
	s_cbranch_execnz .LBB73_6
; %bb.7:
	s_or_b32 exec_lo, exec_lo, s0
.LBB73_8:
	s_or_b32 exec_lo, exec_lo, s1
	v_add_nc_u32_e32 v9, v5, v8
	v_add_nc_u32_e32 v10, v6, v5
	;; [unrolled: 1-line block ×4, first 2 shown]
	v_cmp_lt_i32_e32 vcc_lo, 1, v6
	v_sub_nc_u32_e32 v9, v9, v6
	v_add_nc_u32_e32 v11, v1, v10
	v_sub_nc_u32_e32 v7, v7, v6
	v_and_b32_e32 v8, 7, v2
	v_add_nc_u32_e32 v9, v1, v9
	ds_read_u8 v11, v11
	ds_read_u8 v9, v9 offset:2
	v_cmp_gt_i32_e64 s0, v5, v7
	v_and_b32_e32 v5, 24, v2
	; wave barrier
	s_waitcnt lgkmcnt(3)
	ds_write_b8 v3, v4
	; wave barrier
	s_waitcnt lgkmcnt(1)
	v_cmp_lt_i16_sdwa s1, sext(v9), sext(v11) src0_sel:BYTE_0 src1_sel:BYTE_0
	s_or_b32 s1, vcc_lo, s1
	s_and_b32 vcc_lo, s0, s1
	s_mov_b32 s0, exec_lo
	v_cndmask_b32_e32 v6, v10, v7, vcc_lo
	v_or_b32_e32 v7, 4, v5
	v_cndmask_b32_e32 v11, v11, v9, vcc_lo
	v_add_nc_u32_e32 v6, v1, v6
	v_sub_nc_u32_e32 v9, v7, v5
	ds_read_u8 v4, v6
	v_sub_nc_u32_e64 v6, v8, 4 clamp
	v_min_i32_e32 v9, v8, v9
	; wave barrier
	ds_write_b8 v3, v11
	; wave barrier
	v_cmpx_lt_i32_e64 v6, v9
	s_cbranch_execz .LBB73_12
; %bb.9:
	v_add_nc_u32_e32 v10, v1, v5
	s_mov_b32 s1, 0
	v_add_nc_u32_e32 v11, v10, v8
	.p2align	6
.LBB73_10:                              ; =>This Inner Loop Header: Depth=1
	v_sub_nc_u32_e32 v12, v9, v6
	v_lshrrev_b32_e32 v12, 1, v12
	v_add_nc_u32_e32 v12, v12, v6
	v_add_nc_u32_e32 v13, v10, v12
	v_xad_u32 v14, v12, -1, v11
	v_add_nc_u32_e32 v15, 1, v12
	ds_read_i8 v13, v13
	ds_read_i8 v14, v14 offset:4
	s_waitcnt lgkmcnt(0)
	v_cmp_lt_i16_e32 vcc_lo, v14, v13
	v_cndmask_b32_e32 v9, v9, v12, vcc_lo
	v_cndmask_b32_e32 v6, v15, v6, vcc_lo
	v_cmp_ge_i32_e32 vcc_lo, v6, v9
	s_or_b32 s1, vcc_lo, s1
	s_andn2_b32 exec_lo, exec_lo, s1
	s_cbranch_execnz .LBB73_10
; %bb.11:
	s_or_b32 exec_lo, exec_lo, s1
.LBB73_12:
	s_or_b32 exec_lo, exec_lo, s0
	v_add_nc_u32_e32 v9, v5, v8
	v_add_nc_u32_e32 v10, v6, v5
	;; [unrolled: 1-line block ×4, first 2 shown]
	v_cmp_lt_i32_e32 vcc_lo, 3, v6
	v_sub_nc_u32_e32 v9, v9, v6
	v_add_nc_u32_e32 v11, v1, v10
	v_sub_nc_u32_e32 v7, v7, v6
	v_and_b32_e32 v6, 16, v2
	v_and_b32_e32 v8, 15, v2
	v_add_nc_u32_e32 v9, v1, v9
	ds_read_u8 v11, v11
	ds_read_u8 v9, v9 offset:4
	v_cmp_gt_i32_e64 s0, v5, v7
	; wave barrier
	s_waitcnt lgkmcnt(3)
	ds_write_b8 v3, v4
	; wave barrier
	v_sub_nc_u32_e64 v4, v8, 8 clamp
	s_waitcnt lgkmcnt(1)
	v_cmp_lt_i16_sdwa s1, sext(v9), sext(v11) src0_sel:BYTE_0 src1_sel:BYTE_0
	s_or_b32 s1, vcc_lo, s1
	s_and_b32 vcc_lo, s0, s1
	s_mov_b32 s0, exec_lo
	v_cndmask_b32_e32 v5, v10, v7, vcc_lo
	v_or_b32_e32 v7, 8, v6
	v_cndmask_b32_e32 v11, v11, v9, vcc_lo
	v_add_nc_u32_e32 v5, v1, v5
	v_sub_nc_u32_e32 v9, v7, v6
	ds_read_u8 v5, v5
	v_min_i32_e32 v9, v8, v9
	; wave barrier
	ds_write_b8 v3, v11
	; wave barrier
	v_cmpx_lt_i32_e64 v4, v9
	s_cbranch_execz .LBB73_16
; %bb.13:
	v_add_nc_u32_e32 v10, v1, v6
	s_mov_b32 s1, 0
	v_add_nc_u32_e32 v11, v10, v8
	.p2align	6
.LBB73_14:                              ; =>This Inner Loop Header: Depth=1
	v_sub_nc_u32_e32 v12, v9, v4
	v_lshrrev_b32_e32 v12, 1, v12
	v_add_nc_u32_e32 v12, v12, v4
	v_add_nc_u32_e32 v13, v10, v12
	v_xad_u32 v14, v12, -1, v11
	v_add_nc_u32_e32 v15, 1, v12
	ds_read_i8 v13, v13
	ds_read_i8 v14, v14 offset:8
	s_waitcnt lgkmcnt(0)
	v_cmp_lt_i16_e32 vcc_lo, v14, v13
	v_cndmask_b32_e32 v9, v9, v12, vcc_lo
	v_cndmask_b32_e32 v4, v15, v4, vcc_lo
	v_cmp_ge_i32_e32 vcc_lo, v4, v9
	s_or_b32 s1, vcc_lo, s1
	s_andn2_b32 exec_lo, exec_lo, s1
	s_cbranch_execnz .LBB73_14
; %bb.15:
	s_or_b32 exec_lo, exec_lo, s1
.LBB73_16:
	s_or_b32 exec_lo, exec_lo, s0
	v_add_nc_u32_e32 v9, v6, v8
	v_add_nc_u32_e32 v10, v4, v6
	;; [unrolled: 1-line block ×4, first 2 shown]
	v_cmp_lt_i32_e32 vcc_lo, 7, v4
	v_sub_nc_u32_e32 v9, v9, v4
	v_add_nc_u32_e32 v11, v1, v10
	v_sub_nc_u32_e32 v7, v7, v4
	v_add_nc_u32_e32 v4, v1, v2
	v_add_nc_u32_e32 v9, v1, v9
	ds_read_u8 v11, v11
	ds_read_u8 v9, v9 offset:8
	v_cmp_gt_i32_e64 s0, v6, v7
	; wave barrier
	s_waitcnt lgkmcnt(3)
	ds_write_b8 v4, v5
	; wave barrier
	s_waitcnt lgkmcnt(1)
	v_cmp_lt_i16_sdwa s1, sext(v9), sext(v11) src0_sel:BYTE_0 src1_sel:BYTE_0
	s_or_b32 s1, vcc_lo, s1
	s_and_b32 vcc_lo, s0, s1
	s_mov_b32 s0, exec_lo
	v_cndmask_b32_e32 v6, v10, v7, vcc_lo
	v_cndmask_b32_e32 v8, v11, v9, vcc_lo
	v_min_u32_e32 v7, 16, v2
	v_add_nc_u32_e32 v6, v1, v6
	ds_read_u8 v5, v6
	v_sub_nc_u32_e64 v6, v2, 16 clamp
	; wave barrier
	ds_write_b8 v4, v8
	; wave barrier
	v_cmpx_lt_u32_e64 v6, v7
	s_cbranch_execz .LBB73_20
; %bb.17:
	s_mov_b32 s1, 0
	.p2align	6
.LBB73_18:                              ; =>This Inner Loop Header: Depth=1
	v_sub_nc_u32_e32 v8, v7, v6
	v_lshrrev_b32_e32 v8, 1, v8
	v_add_nc_u32_e32 v8, v8, v6
	v_add_nc_u32_e32 v9, v1, v8
	v_xad_u32 v10, v8, -1, v3
	v_add_nc_u32_e32 v11, 1, v8
	ds_read_i8 v9, v9
	ds_read_i8 v10, v10 offset:16
	s_waitcnt lgkmcnt(0)
	v_cmp_lt_i16_e32 vcc_lo, v10, v9
	v_cndmask_b32_e32 v7, v7, v8, vcc_lo
	v_cndmask_b32_e32 v6, v11, v6, vcc_lo
	v_cmp_ge_i32_e32 vcc_lo, v6, v7
	s_or_b32 s1, vcc_lo, s1
	s_andn2_b32 exec_lo, exec_lo, s1
	s_cbranch_execnz .LBB73_18
; %bb.19:
	s_or_b32 exec_lo, exec_lo, s1
.LBB73_20:
	s_or_b32 exec_lo, exec_lo, s0
	v_sub_nc_u32_e32 v2, v2, v6
	v_add_nc_u32_e32 v3, v1, v6
	v_cmp_lt_i32_e32 vcc_lo, 15, v6
	v_add_nc_u32_e32 v7, v1, v2
	v_add_nc_u32_e32 v2, 16, v2
	ds_read_u8 v3, v3
	ds_read_u8 v7, v7 offset:16
	v_cmp_gt_i32_e64 s0, 32, v2
	; wave barrier
	s_waitcnt lgkmcnt(3)
	ds_write_b8 v4, v5
	; wave barrier
	s_waitcnt lgkmcnt(1)
	v_cmp_lt_i16_sdwa s1, sext(v7), sext(v3) src0_sel:BYTE_0 src1_sel:BYTE_0
	s_or_b32 s1, vcc_lo, s1
	s_and_b32 vcc_lo, s0, s1
	s_add_u32 s0, s2, s4
	v_cndmask_b32_e32 v2, v6, v2, vcc_lo
	v_cndmask_b32_e32 v3, v3, v7, vcc_lo
	s_addc_u32 s1, s3, 0
	v_add_co_u32 v0, s0, s0, v0
	v_add_nc_u32_e32 v1, v1, v2
	ds_read_u8 v1, v1
	s_waitcnt lgkmcnt(0)
	v_add_nc_u16 v2, v1, v3
	v_add_co_ci_u32_e64 v1, null, s1, 0, s0
	global_store_byte v[0:1], v2, off
	s_endpgm
	.section	.rodata,"a",@progbits
	.p2align	6, 0x0
	.amdhsa_kernel _Z10sort_pairsILj256ELj32ELj1EaN10test_utils4lessEEvPKT2_PS2_T3_
		.amdhsa_group_segment_fixed_size 264
		.amdhsa_private_segment_fixed_size 0
		.amdhsa_kernarg_size 20
		.amdhsa_user_sgpr_count 6
		.amdhsa_user_sgpr_private_segment_buffer 1
		.amdhsa_user_sgpr_dispatch_ptr 0
		.amdhsa_user_sgpr_queue_ptr 0
		.amdhsa_user_sgpr_kernarg_segment_ptr 1
		.amdhsa_user_sgpr_dispatch_id 0
		.amdhsa_user_sgpr_flat_scratch_init 0
		.amdhsa_user_sgpr_private_segment_size 0
		.amdhsa_wavefront_size32 1
		.amdhsa_uses_dynamic_stack 0
		.amdhsa_system_sgpr_private_segment_wavefront_offset 0
		.amdhsa_system_sgpr_workgroup_id_x 1
		.amdhsa_system_sgpr_workgroup_id_y 0
		.amdhsa_system_sgpr_workgroup_id_z 0
		.amdhsa_system_sgpr_workgroup_info 0
		.amdhsa_system_vgpr_workitem_id 0
		.amdhsa_next_free_vgpr 16
		.amdhsa_next_free_sgpr 7
		.amdhsa_reserve_vcc 1
		.amdhsa_reserve_flat_scratch 0
		.amdhsa_float_round_mode_32 0
		.amdhsa_float_round_mode_16_64 0
		.amdhsa_float_denorm_mode_32 3
		.amdhsa_float_denorm_mode_16_64 3
		.amdhsa_dx10_clamp 1
		.amdhsa_ieee_mode 1
		.amdhsa_fp16_overflow 0
		.amdhsa_workgroup_processor_mode 1
		.amdhsa_memory_ordered 1
		.amdhsa_forward_progress 1
		.amdhsa_shared_vgpr_count 0
		.amdhsa_exception_fp_ieee_invalid_op 0
		.amdhsa_exception_fp_denorm_src 0
		.amdhsa_exception_fp_ieee_div_zero 0
		.amdhsa_exception_fp_ieee_overflow 0
		.amdhsa_exception_fp_ieee_underflow 0
		.amdhsa_exception_fp_ieee_inexact 0
		.amdhsa_exception_int_div_zero 0
	.end_amdhsa_kernel
	.section	.text._Z10sort_pairsILj256ELj32ELj1EaN10test_utils4lessEEvPKT2_PS2_T3_,"axG",@progbits,_Z10sort_pairsILj256ELj32ELj1EaN10test_utils4lessEEvPKT2_PS2_T3_,comdat
.Lfunc_end73:
	.size	_Z10sort_pairsILj256ELj32ELj1EaN10test_utils4lessEEvPKT2_PS2_T3_, .Lfunc_end73-_Z10sort_pairsILj256ELj32ELj1EaN10test_utils4lessEEvPKT2_PS2_T3_
                                        ; -- End function
	.set _Z10sort_pairsILj256ELj32ELj1EaN10test_utils4lessEEvPKT2_PS2_T3_.num_vgpr, 16
	.set _Z10sort_pairsILj256ELj32ELj1EaN10test_utils4lessEEvPKT2_PS2_T3_.num_agpr, 0
	.set _Z10sort_pairsILj256ELj32ELj1EaN10test_utils4lessEEvPKT2_PS2_T3_.numbered_sgpr, 7
	.set _Z10sort_pairsILj256ELj32ELj1EaN10test_utils4lessEEvPKT2_PS2_T3_.num_named_barrier, 0
	.set _Z10sort_pairsILj256ELj32ELj1EaN10test_utils4lessEEvPKT2_PS2_T3_.private_seg_size, 0
	.set _Z10sort_pairsILj256ELj32ELj1EaN10test_utils4lessEEvPKT2_PS2_T3_.uses_vcc, 1
	.set _Z10sort_pairsILj256ELj32ELj1EaN10test_utils4lessEEvPKT2_PS2_T3_.uses_flat_scratch, 0
	.set _Z10sort_pairsILj256ELj32ELj1EaN10test_utils4lessEEvPKT2_PS2_T3_.has_dyn_sized_stack, 0
	.set _Z10sort_pairsILj256ELj32ELj1EaN10test_utils4lessEEvPKT2_PS2_T3_.has_recursion, 0
	.set _Z10sort_pairsILj256ELj32ELj1EaN10test_utils4lessEEvPKT2_PS2_T3_.has_indirect_call, 0
	.section	.AMDGPU.csdata,"",@progbits
; Kernel info:
; codeLenInByte = 1508
; TotalNumSgprs: 9
; NumVgprs: 16
; ScratchSize: 0
; MemoryBound: 0
; FloatMode: 240
; IeeeMode: 1
; LDSByteSize: 264 bytes/workgroup (compile time only)
; SGPRBlocks: 0
; VGPRBlocks: 1
; NumSGPRsForWavesPerEU: 9
; NumVGPRsForWavesPerEU: 16
; Occupancy: 16
; WaveLimiterHint : 0
; COMPUTE_PGM_RSRC2:SCRATCH_EN: 0
; COMPUTE_PGM_RSRC2:USER_SGPR: 6
; COMPUTE_PGM_RSRC2:TRAP_HANDLER: 0
; COMPUTE_PGM_RSRC2:TGID_X_EN: 1
; COMPUTE_PGM_RSRC2:TGID_Y_EN: 0
; COMPUTE_PGM_RSRC2:TGID_Z_EN: 0
; COMPUTE_PGM_RSRC2:TIDIG_COMP_CNT: 0
	.section	.text._Z19sort_keys_segmentedILj256ELj32ELj1EaN10test_utils4lessEEvPKT2_PS2_PKjT3_,"axG",@progbits,_Z19sort_keys_segmentedILj256ELj32ELj1EaN10test_utils4lessEEvPKT2_PS2_PKjT3_,comdat
	.protected	_Z19sort_keys_segmentedILj256ELj32ELj1EaN10test_utils4lessEEvPKT2_PS2_PKjT3_ ; -- Begin function _Z19sort_keys_segmentedILj256ELj32ELj1EaN10test_utils4lessEEvPKT2_PS2_PKjT3_
	.globl	_Z19sort_keys_segmentedILj256ELj32ELj1EaN10test_utils4lessEEvPKT2_PS2_PKjT3_
	.p2align	8
	.type	_Z19sort_keys_segmentedILj256ELj32ELj1EaN10test_utils4lessEEvPKT2_PS2_PKjT3_,@function
_Z19sort_keys_segmentedILj256ELj32ELj1EaN10test_utils4lessEEvPKT2_PS2_PKjT3_: ; @_Z19sort_keys_segmentedILj256ELj32ELj1EaN10test_utils4lessEEvPKT2_PS2_PKjT3_
; %bb.0:
	s_load_dwordx2 s[0:1], s[4:5], 0x10
	v_lshrrev_b32_e32 v3, 5, v0
	v_mov_b32_e32 v6, 0
	v_lshl_or_b32 v5, s6, 3, v3
	s_load_dwordx4 s[4:7], s[4:5], 0x0
	v_lshlrev_b64 v[0:1], 2, v[5:6]
	v_lshlrev_b32_e32 v2, 5, v5
	s_waitcnt lgkmcnt(0)
	v_add_co_u32 v0, vcc_lo, s0, v0
	v_add_co_ci_u32_e64 v1, null, s1, v1, vcc_lo
	global_load_dword v4, v[0:1], off
	v_mbcnt_lo_u32_b32 v0, -1, 0
	v_mov_b32_e32 v1, v6
	s_waitcnt vmcnt(0)
	v_cmp_ge_u32_e64 s0, v0, v4
	v_cmp_lt_u32_e32 vcc_lo, v0, v4
	s_and_saveexec_b32 s1, s0
	s_xor_b32 s0, exec_lo, s1
	s_or_saveexec_b32 s1, s0
                                        ; implicit-def: $vgpr11
	s_xor_b32 exec_lo, exec_lo, s1
	s_cbranch_execz .LBB74_2
; %bb.1:
	v_add_co_u32 v5, s0, s4, v2
	v_add_co_ci_u32_e64 v6, null, s5, 0, s0
	v_add_co_u32 v5, s0, v5, v0
	v_add_co_ci_u32_e64 v6, null, 0, v6, s0
	global_load_ubyte v11, v[5:6], off
.LBB74_2:
	s_or_b32 exec_lo, exec_lo, s1
	v_and_b32_e32 v5, 30, v0
	v_and_b32_e32 v9, 1, v0
	s_mov_b32 s2, 0
	s_mov_b32 s1, exec_lo
	v_min_i32_e32 v6, v4, v5
	v_min_i32_e32 v9, v4, v9
	; wave barrier
	v_add_nc_u32_e32 v5, 1, v6
	v_min_i32_e32 v5, v4, v5
	v_add_nc_u32_e32 v7, 1, v5
	v_sub_nc_u32_e32 v12, v5, v6
	v_min_i32_e32 v8, v4, v7
	v_sub_nc_u32_e32 v7, v8, v5
	v_sub_nc_u32_e32 v10, v9, v7
	v_cmp_ge_i32_e64 s0, v9, v7
	v_cndmask_b32_e64 v7, 0, v10, s0
	v_min_i32_e32 v10, v9, v12
	v_mad_u32_u24 v12, v3, 33, v0
	v_mul_u32_u24_e32 v3, 33, v3
	s_waitcnt vmcnt(0)
	ds_write_b8 v12, v11
	; wave barrier
	v_cmpx_lt_i32_e64 v7, v10
	s_cbranch_execz .LBB74_6
; %bb.3:
	v_add_nc_u32_e32 v11, v3, v6
	v_add3_u32 v12, v3, v5, v9
	.p2align	6
.LBB74_4:                               ; =>This Inner Loop Header: Depth=1
	v_sub_nc_u32_e32 v13, v10, v7
	v_lshrrev_b32_e32 v13, 1, v13
	v_add_nc_u32_e32 v13, v13, v7
	v_add_nc_u32_e32 v14, v11, v13
	v_xad_u32 v15, v13, -1, v12
	v_add_nc_u32_e32 v16, 1, v13
	ds_read_i8 v14, v14
	ds_read_i8 v15, v15
	s_waitcnt lgkmcnt(0)
	v_cmp_lt_i16_e64 s0, v15, v14
	v_cndmask_b32_e64 v10, v10, v13, s0
	v_cndmask_b32_e64 v7, v16, v7, s0
	v_cmp_ge_i32_e64 s0, v7, v10
	s_or_b32 s2, s0, s2
	s_andn2_b32 exec_lo, exec_lo, s2
	s_cbranch_execnz .LBB74_4
; %bb.5:
	s_or_b32 exec_lo, exec_lo, s2
.LBB74_6:
	s_or_b32 exec_lo, exec_lo, s1
	v_add_nc_u32_e32 v9, v5, v9
	v_and_b32_e32 v10, 28, v0
	v_add_nc_u32_e32 v11, v7, v6
	v_sub_nc_u32_e32 v12, v9, v7
	v_min_i32_e32 v9, v4, v10
	v_add_nc_u32_e32 v6, v3, v11
	v_cmp_le_i32_e64 s0, v5, v11
	v_add_nc_u32_e32 v5, v3, v0
	v_add_nc_u32_e32 v7, v3, v12
	;; [unrolled: 1-line block ×3, first 2 shown]
	v_cmp_gt_i32_e64 s1, v8, v12
	ds_read_u8 v13, v6
	ds_read_u8 v14, v7
	v_min_i32_e32 v7, v4, v10
	v_and_b32_e32 v10, 3, v0
	; wave barrier
	v_add_nc_u32_e32 v6, 2, v7
	v_min_i32_e32 v10, v4, v10
	v_sub_nc_u32_e32 v11, v7, v9
	v_min_i32_e32 v6, v4, v6
	v_min_i32_e32 v11, v10, v11
	v_sub_nc_u32_e32 v15, v6, v7
	s_waitcnt lgkmcnt(0)
	v_cmp_lt_i16_sdwa s2, sext(v14), sext(v13) src0_sel:BYTE_0 src1_sel:BYTE_0
	v_sub_nc_u32_e32 v16, v10, v15
	s_or_b32 s2, s0, s2
	v_cmp_ge_i32_e64 s0, v10, v15
	v_cndmask_b32_e64 v8, 0, v16, s0
	s_and_b32 s0, s1, s2
	s_mov_b32 s2, 0
	v_cndmask_b32_e64 v12, v13, v14, s0
	s_mov_b32 s1, exec_lo
	ds_write_b8 v5, v12
	; wave barrier
	v_cmpx_lt_i32_e64 v8, v11
	s_cbranch_execz .LBB74_10
; %bb.7:
	v_add_nc_u32_e32 v12, v3, v9
	v_add3_u32 v13, v3, v7, v10
	.p2align	6
.LBB74_8:                               ; =>This Inner Loop Header: Depth=1
	v_sub_nc_u32_e32 v14, v11, v8
	v_lshrrev_b32_e32 v14, 1, v14
	v_add_nc_u32_e32 v14, v14, v8
	v_add_nc_u32_e32 v15, v12, v14
	v_xad_u32 v16, v14, -1, v13
	v_add_nc_u32_e32 v17, 1, v14
	ds_read_i8 v15, v15
	ds_read_i8 v16, v16
	s_waitcnt lgkmcnt(0)
	v_cmp_lt_i16_e64 s0, v16, v15
	v_cndmask_b32_e64 v11, v11, v14, s0
	v_cndmask_b32_e64 v8, v17, v8, s0
	v_cmp_ge_i32_e64 s0, v8, v11
	s_or_b32 s2, s0, s2
	s_andn2_b32 exec_lo, exec_lo, s2
	s_cbranch_execnz .LBB74_8
; %bb.9:
	s_or_b32 exec_lo, exec_lo, s2
.LBB74_10:
	s_or_b32 exec_lo, exec_lo, s1
	v_add_nc_u32_e32 v10, v7, v10
	v_and_b32_e32 v11, 24, v0
	v_add_nc_u32_e32 v12, v8, v9
	v_sub_nc_u32_e32 v13, v10, v8
	v_min_i32_e32 v10, v4, v11
	v_add_nc_u32_e32 v8, v3, v12
	v_cmp_le_i32_e64 s0, v7, v12
	v_add_nc_u32_e32 v9, v3, v13
	v_add_nc_u32_e32 v11, 4, v10
	v_cmp_gt_i32_e64 s1, v6, v13
	ds_read_u8 v14, v8
	ds_read_u8 v15, v9
	v_min_i32_e32 v9, v4, v11
	v_and_b32_e32 v11, 7, v0
	; wave barrier
	v_add_nc_u32_e32 v8, 4, v9
	v_min_i32_e32 v11, v4, v11
	v_sub_nc_u32_e32 v7, v9, v10
	v_min_i32_e32 v8, v4, v8
	v_min_i32_e32 v7, v11, v7
	v_sub_nc_u32_e32 v16, v8, v9
	s_waitcnt lgkmcnt(0)
	v_cmp_lt_i16_sdwa s2, sext(v15), sext(v14) src0_sel:BYTE_0 src1_sel:BYTE_0
	v_sub_nc_u32_e32 v12, v11, v16
	s_or_b32 s2, s0, s2
	v_cmp_ge_i32_e64 s0, v11, v16
	v_cndmask_b32_e64 v6, 0, v12, s0
	s_and_b32 s0, s1, s2
	s_mov_b32 s2, 0
	v_cndmask_b32_e64 v12, v14, v15, s0
	s_mov_b32 s1, exec_lo
	ds_write_b8 v5, v12
	; wave barrier
	v_cmpx_lt_i32_e64 v6, v7
	s_cbranch_execz .LBB74_14
; %bb.11:
	v_add_nc_u32_e32 v12, v3, v10
	v_add3_u32 v13, v3, v9, v11
	.p2align	6
.LBB74_12:                              ; =>This Inner Loop Header: Depth=1
	v_sub_nc_u32_e32 v14, v7, v6
	v_lshrrev_b32_e32 v14, 1, v14
	v_add_nc_u32_e32 v14, v14, v6
	v_add_nc_u32_e32 v15, v12, v14
	v_xad_u32 v16, v14, -1, v13
	v_add_nc_u32_e32 v17, 1, v14
	ds_read_i8 v15, v15
	ds_read_i8 v16, v16
	s_waitcnt lgkmcnt(0)
	v_cmp_lt_i16_e64 s0, v16, v15
	v_cndmask_b32_e64 v7, v7, v14, s0
	v_cndmask_b32_e64 v6, v17, v6, s0
	v_cmp_ge_i32_e64 s0, v6, v7
	s_or_b32 s2, s0, s2
	s_andn2_b32 exec_lo, exec_lo, s2
	s_cbranch_execnz .LBB74_12
; %bb.13:
	s_or_b32 exec_lo, exec_lo, s2
.LBB74_14:
	s_or_b32 exec_lo, exec_lo, s1
	v_add_nc_u32_e32 v7, v9, v11
	v_and_b32_e32 v11, 16, v0
	v_add_nc_u32_e32 v12, v6, v10
	v_sub_nc_u32_e32 v13, v7, v6
	v_min_i32_e32 v10, v4, v11
	v_add_nc_u32_e32 v6, v3, v12
	v_cmp_le_i32_e64 s0, v9, v12
	v_add_nc_u32_e32 v7, v3, v13
	v_add_nc_u32_e32 v11, 8, v10
	v_cmp_gt_i32_e64 s1, v8, v13
	ds_read_u8 v14, v6
	ds_read_u8 v15, v7
	v_min_i32_e32 v7, v4, v11
	v_and_b32_e32 v11, 15, v0
	; wave barrier
	v_add_nc_u32_e32 v6, 8, v7
	v_min_i32_e32 v11, v4, v11
	v_sub_nc_u32_e32 v9, v7, v10
	v_min_i32_e32 v6, v4, v6
	v_min_i32_e32 v9, v11, v9
	v_sub_nc_u32_e32 v16, v6, v7
	s_waitcnt lgkmcnt(0)
	v_cmp_lt_i16_sdwa s2, sext(v15), sext(v14) src0_sel:BYTE_0 src1_sel:BYTE_0
	v_sub_nc_u32_e32 v12, v11, v16
	s_or_b32 s2, s0, s2
	v_cmp_ge_i32_e64 s0, v11, v16
	v_cndmask_b32_e64 v8, 0, v12, s0
	s_and_b32 s0, s1, s2
	s_mov_b32 s2, 0
	v_cndmask_b32_e64 v12, v14, v15, s0
	s_mov_b32 s1, exec_lo
	ds_write_b8 v5, v12
	; wave barrier
	v_cmpx_lt_i32_e64 v8, v9
	s_cbranch_execz .LBB74_18
; %bb.15:
	v_add_nc_u32_e32 v12, v3, v10
	v_add3_u32 v13, v3, v7, v11
	.p2align	6
.LBB74_16:                              ; =>This Inner Loop Header: Depth=1
	v_sub_nc_u32_e32 v14, v9, v8
	v_lshrrev_b32_e32 v14, 1, v14
	v_add_nc_u32_e32 v14, v14, v8
	v_add_nc_u32_e32 v15, v12, v14
	v_xad_u32 v16, v14, -1, v13
	v_add_nc_u32_e32 v17, 1, v14
	ds_read_i8 v15, v15
	ds_read_i8 v16, v16
	s_waitcnt lgkmcnt(0)
	v_cmp_lt_i16_e64 s0, v16, v15
	v_cndmask_b32_e64 v9, v9, v14, s0
	v_cndmask_b32_e64 v8, v17, v8, s0
	v_cmp_ge_i32_e64 s0, v8, v9
	s_or_b32 s2, s0, s2
	s_andn2_b32 exec_lo, exec_lo, s2
	s_cbranch_execnz .LBB74_16
; %bb.17:
	s_or_b32 exec_lo, exec_lo, s2
.LBB74_18:
	s_or_b32 exec_lo, exec_lo, s1
	v_add_nc_u32_e32 v9, v7, v11
	v_add_nc_u32_e32 v11, v8, v10
	v_min_i32_e32 v10, 0, v4
	v_sub_nc_u32_e32 v12, v9, v8
	v_add_nc_u32_e32 v8, v3, v11
	v_add_nc_u32_e32 v13, 16, v10
	v_cmp_le_i32_e64 s0, v7, v11
	v_add_nc_u32_e32 v9, v3, v12
	v_cmp_gt_i32_e64 s1, v6, v12
	ds_read_u8 v14, v8
	ds_read_u8 v15, v9
	v_min_i32_e32 v9, v4, v13
	; wave barrier
	v_add_nc_u32_e32 v8, 16, v9
	v_sub_nc_u32_e32 v7, v9, v10
	v_min_i32_e32 v8, v4, v8
	v_min_i32_e32 v4, v4, v0
	v_sub_nc_u32_e32 v13, v8, v9
	v_min_i32_e32 v7, v4, v7
	s_waitcnt lgkmcnt(0)
	v_cmp_lt_i16_sdwa s2, sext(v15), sext(v14) src0_sel:BYTE_0 src1_sel:BYTE_0
	v_sub_nc_u32_e32 v11, v4, v13
	s_or_b32 s2, s0, s2
	v_cmp_ge_i32_e64 s0, v4, v13
	v_cndmask_b32_e64 v6, 0, v11, s0
	s_and_b32 s0, s1, s2
	s_mov_b32 s1, 0
	v_cndmask_b32_e64 v11, v14, v15, s0
	s_mov_b32 s2, exec_lo
	ds_write_b8 v5, v11
	; wave barrier
	v_cmpx_lt_i32_e64 v6, v7
	s_cbranch_execnz .LBB74_21
; %bb.19:
	s_or_b32 exec_lo, exec_lo, s2
	s_and_saveexec_b32 s0, vcc_lo
	s_cbranch_execnz .LBB74_24
.LBB74_20:
	s_endpgm
.LBB74_21:
	v_add_nc_u32_e32 v5, v3, v10
	v_add3_u32 v11, v3, v9, v4
	.p2align	6
.LBB74_22:                              ; =>This Inner Loop Header: Depth=1
	v_sub_nc_u32_e32 v12, v7, v6
	v_lshrrev_b32_e32 v12, 1, v12
	v_add_nc_u32_e32 v12, v12, v6
	v_add_nc_u32_e32 v13, v5, v12
	v_xad_u32 v14, v12, -1, v11
	v_add_nc_u32_e32 v15, 1, v12
	ds_read_i8 v13, v13
	ds_read_i8 v14, v14
	s_waitcnt lgkmcnt(0)
	v_cmp_lt_i16_e64 s0, v14, v13
	v_cndmask_b32_e64 v7, v7, v12, s0
	v_cndmask_b32_e64 v6, v15, v6, s0
	v_cmp_ge_i32_e64 s0, v6, v7
	s_or_b32 s1, s0, s1
	s_andn2_b32 exec_lo, exec_lo, s1
	s_cbranch_execnz .LBB74_22
; %bb.23:
	s_or_b32 exec_lo, exec_lo, s1
	s_or_b32 exec_lo, exec_lo, s2
	s_and_saveexec_b32 s0, vcc_lo
	s_cbranch_execz .LBB74_20
.LBB74_24:
	v_add_nc_u32_e32 v4, v9, v4
	v_add_nc_u32_e32 v5, v6, v10
	v_add_co_u32 v2, s0, s6, v2
	v_sub_nc_u32_e32 v4, v4, v6
	v_cmp_le_i32_e32 vcc_lo, v9, v5
	v_add_nc_u32_e32 v6, v3, v4
	v_add_nc_u32_e32 v3, v3, v5
	v_add_co_ci_u32_e64 v5, null, s7, 0, s0
	v_cmp_gt_i32_e64 s0, v8, v4
	ds_read_u8 v6, v6
	ds_read_u8 v3, v3
	s_waitcnt lgkmcnt(0)
	v_cmp_lt_i16_sdwa s1, sext(v6), sext(v3) src0_sel:BYTE_0 src1_sel:BYTE_0
	s_or_b32 s1, vcc_lo, s1
	v_add_co_u32 v0, vcc_lo, v2, v0
	v_add_co_ci_u32_e64 v1, null, v5, v1, vcc_lo
	s_and_b32 vcc_lo, s0, s1
	v_cndmask_b32_e32 v2, v3, v6, vcc_lo
	global_store_byte v[0:1], v2, off
	s_endpgm
	.section	.rodata,"a",@progbits
	.p2align	6, 0x0
	.amdhsa_kernel _Z19sort_keys_segmentedILj256ELj32ELj1EaN10test_utils4lessEEvPKT2_PS2_PKjT3_
		.amdhsa_group_segment_fixed_size 264
		.amdhsa_private_segment_fixed_size 0
		.amdhsa_kernarg_size 28
		.amdhsa_user_sgpr_count 6
		.amdhsa_user_sgpr_private_segment_buffer 1
		.amdhsa_user_sgpr_dispatch_ptr 0
		.amdhsa_user_sgpr_queue_ptr 0
		.amdhsa_user_sgpr_kernarg_segment_ptr 1
		.amdhsa_user_sgpr_dispatch_id 0
		.amdhsa_user_sgpr_flat_scratch_init 0
		.amdhsa_user_sgpr_private_segment_size 0
		.amdhsa_wavefront_size32 1
		.amdhsa_uses_dynamic_stack 0
		.amdhsa_system_sgpr_private_segment_wavefront_offset 0
		.amdhsa_system_sgpr_workgroup_id_x 1
		.amdhsa_system_sgpr_workgroup_id_y 0
		.amdhsa_system_sgpr_workgroup_id_z 0
		.amdhsa_system_sgpr_workgroup_info 0
		.amdhsa_system_vgpr_workitem_id 0
		.amdhsa_next_free_vgpr 18
		.amdhsa_next_free_sgpr 8
		.amdhsa_reserve_vcc 1
		.amdhsa_reserve_flat_scratch 0
		.amdhsa_float_round_mode_32 0
		.amdhsa_float_round_mode_16_64 0
		.amdhsa_float_denorm_mode_32 3
		.amdhsa_float_denorm_mode_16_64 3
		.amdhsa_dx10_clamp 1
		.amdhsa_ieee_mode 1
		.amdhsa_fp16_overflow 0
		.amdhsa_workgroup_processor_mode 1
		.amdhsa_memory_ordered 1
		.amdhsa_forward_progress 1
		.amdhsa_shared_vgpr_count 0
		.amdhsa_exception_fp_ieee_invalid_op 0
		.amdhsa_exception_fp_denorm_src 0
		.amdhsa_exception_fp_ieee_div_zero 0
		.amdhsa_exception_fp_ieee_overflow 0
		.amdhsa_exception_fp_ieee_underflow 0
		.amdhsa_exception_fp_ieee_inexact 0
		.amdhsa_exception_int_div_zero 0
	.end_amdhsa_kernel
	.section	.text._Z19sort_keys_segmentedILj256ELj32ELj1EaN10test_utils4lessEEvPKT2_PS2_PKjT3_,"axG",@progbits,_Z19sort_keys_segmentedILj256ELj32ELj1EaN10test_utils4lessEEvPKT2_PS2_PKjT3_,comdat
.Lfunc_end74:
	.size	_Z19sort_keys_segmentedILj256ELj32ELj1EaN10test_utils4lessEEvPKT2_PS2_PKjT3_, .Lfunc_end74-_Z19sort_keys_segmentedILj256ELj32ELj1EaN10test_utils4lessEEvPKT2_PS2_PKjT3_
                                        ; -- End function
	.set _Z19sort_keys_segmentedILj256ELj32ELj1EaN10test_utils4lessEEvPKT2_PS2_PKjT3_.num_vgpr, 18
	.set _Z19sort_keys_segmentedILj256ELj32ELj1EaN10test_utils4lessEEvPKT2_PS2_PKjT3_.num_agpr, 0
	.set _Z19sort_keys_segmentedILj256ELj32ELj1EaN10test_utils4lessEEvPKT2_PS2_PKjT3_.numbered_sgpr, 8
	.set _Z19sort_keys_segmentedILj256ELj32ELj1EaN10test_utils4lessEEvPKT2_PS2_PKjT3_.num_named_barrier, 0
	.set _Z19sort_keys_segmentedILj256ELj32ELj1EaN10test_utils4lessEEvPKT2_PS2_PKjT3_.private_seg_size, 0
	.set _Z19sort_keys_segmentedILj256ELj32ELj1EaN10test_utils4lessEEvPKT2_PS2_PKjT3_.uses_vcc, 1
	.set _Z19sort_keys_segmentedILj256ELj32ELj1EaN10test_utils4lessEEvPKT2_PS2_PKjT3_.uses_flat_scratch, 0
	.set _Z19sort_keys_segmentedILj256ELj32ELj1EaN10test_utils4lessEEvPKT2_PS2_PKjT3_.has_dyn_sized_stack, 0
	.set _Z19sort_keys_segmentedILj256ELj32ELj1EaN10test_utils4lessEEvPKT2_PS2_PKjT3_.has_recursion, 0
	.set _Z19sort_keys_segmentedILj256ELj32ELj1EaN10test_utils4lessEEvPKT2_PS2_PKjT3_.has_indirect_call, 0
	.section	.AMDGPU.csdata,"",@progbits
; Kernel info:
; codeLenInByte = 1824
; TotalNumSgprs: 10
; NumVgprs: 18
; ScratchSize: 0
; MemoryBound: 0
; FloatMode: 240
; IeeeMode: 1
; LDSByteSize: 264 bytes/workgroup (compile time only)
; SGPRBlocks: 0
; VGPRBlocks: 2
; NumSGPRsForWavesPerEU: 10
; NumVGPRsForWavesPerEU: 18
; Occupancy: 16
; WaveLimiterHint : 0
; COMPUTE_PGM_RSRC2:SCRATCH_EN: 0
; COMPUTE_PGM_RSRC2:USER_SGPR: 6
; COMPUTE_PGM_RSRC2:TRAP_HANDLER: 0
; COMPUTE_PGM_RSRC2:TGID_X_EN: 1
; COMPUTE_PGM_RSRC2:TGID_Y_EN: 0
; COMPUTE_PGM_RSRC2:TGID_Z_EN: 0
; COMPUTE_PGM_RSRC2:TIDIG_COMP_CNT: 0
	.section	.text._Z20sort_pairs_segmentedILj256ELj32ELj1EaN10test_utils4lessEEvPKT2_PS2_PKjT3_,"axG",@progbits,_Z20sort_pairs_segmentedILj256ELj32ELj1EaN10test_utils4lessEEvPKT2_PS2_PKjT3_,comdat
	.protected	_Z20sort_pairs_segmentedILj256ELj32ELj1EaN10test_utils4lessEEvPKT2_PS2_PKjT3_ ; -- Begin function _Z20sort_pairs_segmentedILj256ELj32ELj1EaN10test_utils4lessEEvPKT2_PS2_PKjT3_
	.globl	_Z20sort_pairs_segmentedILj256ELj32ELj1EaN10test_utils4lessEEvPKT2_PS2_PKjT3_
	.p2align	8
	.type	_Z20sort_pairs_segmentedILj256ELj32ELj1EaN10test_utils4lessEEvPKT2_PS2_PKjT3_,@function
_Z20sort_pairs_segmentedILj256ELj32ELj1EaN10test_utils4lessEEvPKT2_PS2_PKjT3_: ; @_Z20sort_pairs_segmentedILj256ELj32ELj1EaN10test_utils4lessEEvPKT2_PS2_PKjT3_
; %bb.0:
	s_load_dwordx2 s[0:1], s[4:5], 0x10
	v_lshrrev_b32_e32 v3, 5, v0
	v_mov_b32_e32 v2, 0
	v_mbcnt_lo_u32_b32 v0, -1, 0
	v_lshl_or_b32 v1, s6, 3, v3
	s_load_dwordx4 s[4:7], s[4:5], 0x0
	v_lshlrev_b64 v[4:5], 2, v[1:2]
	v_lshlrev_b32_e32 v1, 5, v1
	s_waitcnt lgkmcnt(0)
	v_add_co_u32 v4, vcc_lo, s0, v4
	v_add_co_ci_u32_e64 v5, null, s1, v5, vcc_lo
	global_load_dword v4, v[4:5], off
	s_waitcnt vmcnt(0)
	v_cmp_ge_u32_e64 s0, v0, v4
	v_cmp_lt_u32_e32 vcc_lo, v0, v4
	s_and_saveexec_b32 s1, s0
	s_xor_b32 s0, exec_lo, s1
	s_or_saveexec_b32 s1, s0
                                        ; implicit-def: $vgpr5
	s_xor_b32 exec_lo, exec_lo, s1
	s_cbranch_execz .LBB75_2
; %bb.1:
	v_add_co_u32 v5, s0, s4, v1
	v_add_co_ci_u32_e64 v6, null, s5, 0, s0
	v_add_co_u32 v5, s0, v5, v0
	v_add_co_ci_u32_e64 v6, null, 0, v6, s0
	global_load_ubyte v5, v[5:6], off
.LBB75_2:
	s_or_b32 exec_lo, exec_lo, s1
	v_and_b32_e32 v6, 30, v0
	v_and_b32_e32 v9, 1, v0
	s_mov_b32 s2, 0
	s_mov_b32 s1, exec_lo
	v_min_i32_e32 v8, v4, v6
	v_min_i32_e32 v9, v4, v9
	; wave barrier
	v_add_nc_u32_e32 v6, 1, v8
	v_min_i32_e32 v6, v4, v6
	v_add_nc_u32_e32 v7, 1, v6
	v_sub_nc_u32_e32 v12, v6, v8
	v_min_i32_e32 v7, v4, v7
	v_sub_nc_u32_e32 v10, v7, v6
	v_sub_nc_u32_e32 v11, v9, v10
	v_cmp_ge_i32_e64 s0, v9, v10
	v_cndmask_b32_e64 v10, 0, v11, s0
	v_min_i32_e32 v11, v9, v12
	v_mad_u32_u24 v12, v3, 33, v0
	v_mul_u32_u24_e32 v3, 33, v3
	s_waitcnt vmcnt(0)
	ds_write_b8 v12, v5
	; wave barrier
	v_cmpx_lt_i32_e64 v10, v11
	s_cbranch_execz .LBB75_6
; %bb.3:
	v_add_nc_u32_e32 v12, v3, v8
	v_add3_u32 v13, v3, v6, v9
	.p2align	6
.LBB75_4:                               ; =>This Inner Loop Header: Depth=1
	v_sub_nc_u32_e32 v14, v11, v10
	v_lshrrev_b32_e32 v14, 1, v14
	v_add_nc_u32_e32 v14, v14, v10
	v_add_nc_u32_e32 v15, v12, v14
	v_xad_u32 v16, v14, -1, v13
	v_add_nc_u32_e32 v17, 1, v14
	ds_read_i8 v15, v15
	ds_read_i8 v16, v16
	s_waitcnt lgkmcnt(0)
	v_cmp_lt_i16_e64 s0, v16, v15
	v_cndmask_b32_e64 v11, v11, v14, s0
	v_cndmask_b32_e64 v10, v17, v10, s0
	v_cmp_ge_i32_e64 s0, v10, v11
	s_or_b32 s2, s0, s2
	s_andn2_b32 exec_lo, exec_lo, s2
	s_cbranch_execnz .LBB75_4
; %bb.5:
	s_or_b32 exec_lo, exec_lo, s2
.LBB75_6:
	s_or_b32 exec_lo, exec_lo, s1
	v_add_nc_u32_e32 v9, v6, v9
	v_add_nc_u32_e32 v8, v10, v8
	v_sub_nc_u32_e32 v10, v9, v10
	v_add_nc_u32_e32 v9, v3, v8
	v_cmp_le_i32_e64 s0, v6, v8
	v_add_nc_u32_e32 v11, v3, v10
	v_cmp_gt_i32_e64 s1, v7, v10
	v_add_nc_u16 v7, v5, 1
	v_add_nc_u32_e32 v5, v3, v0
	ds_read_u8 v12, v9
	ds_read_u8 v11, v11
	v_and_b32_e32 v9, 28, v0
	; wave barrier
	ds_write_b8 v5, v7
	v_and_b32_e32 v7, 3, v0
	v_min_i32_e32 v9, v4, v9
	; wave barrier
	v_add_nc_u32_e32 v13, 2, v9
	v_min_i32_e32 v6, v4, v13
	s_waitcnt lgkmcnt(1)
	v_cmp_lt_i16_sdwa s2, sext(v11), sext(v12) src0_sel:BYTE_0 src1_sel:BYTE_0
	v_add_nc_u32_e32 v13, 2, v6
	s_or_b32 s0, s0, s2
	s_mov_b32 s2, 0
	s_and_b32 s0, s1, s0
	s_mov_b32 s1, exec_lo
	v_cndmask_b32_e64 v10, v8, v10, s0
	v_cndmask_b32_e64 v14, v12, v11, s0
	v_min_i32_e32 v8, v4, v13
	v_sub_nc_u32_e32 v13, v6, v9
	v_add_nc_u32_e32 v11, v3, v10
	v_min_i32_e32 v10, v4, v7
	v_sub_nc_u32_e32 v12, v8, v6
	ds_read_u8 v7, v11
	v_sub_nc_u32_e32 v11, v10, v12
	v_cmp_ge_i32_e64 s0, v10, v12
	v_min_i32_e32 v12, v10, v13
	; wave barrier
	ds_write_b8 v5, v14
	v_cndmask_b32_e64 v11, 0, v11, s0
	; wave barrier
	v_cmpx_lt_i32_e64 v11, v12
	s_cbranch_execz .LBB75_10
; %bb.7:
	v_add_nc_u32_e32 v13, v3, v9
	v_add3_u32 v14, v3, v6, v10
	.p2align	6
.LBB75_8:                               ; =>This Inner Loop Header: Depth=1
	v_sub_nc_u32_e32 v15, v12, v11
	v_lshrrev_b32_e32 v15, 1, v15
	v_add_nc_u32_e32 v15, v15, v11
	v_add_nc_u32_e32 v16, v13, v15
	v_xad_u32 v17, v15, -1, v14
	v_add_nc_u32_e32 v18, 1, v15
	ds_read_i8 v16, v16
	ds_read_i8 v17, v17
	s_waitcnt lgkmcnt(0)
	v_cmp_lt_i16_e64 s0, v17, v16
	v_cndmask_b32_e64 v12, v12, v15, s0
	v_cndmask_b32_e64 v11, v18, v11, s0
	v_cmp_ge_i32_e64 s0, v11, v12
	s_or_b32 s2, s0, s2
	s_andn2_b32 exec_lo, exec_lo, s2
	s_cbranch_execnz .LBB75_8
; %bb.9:
	s_or_b32 exec_lo, exec_lo, s2
.LBB75_10:
	s_or_b32 exec_lo, exec_lo, s1
	v_add_nc_u32_e32 v10, v6, v10
	v_add_nc_u32_e32 v12, v11, v9
	v_sub_nc_u32_e32 v10, v10, v11
	v_add_nc_u32_e32 v9, v3, v12
	v_cmp_le_i32_e64 s0, v6, v12
	v_add_nc_u32_e32 v11, v3, v10
	v_cmp_gt_i32_e64 s1, v8, v10
	ds_read_u8 v13, v9
	ds_read_u8 v11, v11
	v_and_b32_e32 v9, 24, v0
	; wave barrier
	s_waitcnt lgkmcnt(3)
	ds_write_b8 v5, v7
	v_and_b32_e32 v7, 7, v0
	v_min_i32_e32 v9, v4, v9
	; wave barrier
	v_add_nc_u32_e32 v14, 4, v9
	v_min_i32_e32 v6, v4, v14
	s_waitcnt lgkmcnt(1)
	v_cmp_lt_i16_sdwa s2, sext(v11), sext(v13) src0_sel:BYTE_0 src1_sel:BYTE_0
	v_add_nc_u32_e32 v8, 4, v6
	v_sub_nc_u32_e32 v14, v6, v9
	s_or_b32 s0, s0, s2
	v_min_i32_e32 v8, v4, v8
	s_and_b32 s0, s1, s0
	s_mov_b32 s2, 0
	v_cndmask_b32_e64 v10, v12, v10, s0
	v_cndmask_b32_e64 v13, v13, v11, s0
	v_sub_nc_u32_e32 v12, v8, v6
	s_mov_b32 s1, exec_lo
	v_add_nc_u32_e32 v11, v3, v10
	v_min_i32_e32 v10, v4, v7
	ds_read_u8 v7, v11
	v_sub_nc_u32_e32 v11, v10, v12
	v_cmp_ge_i32_e64 s0, v10, v12
	v_min_i32_e32 v12, v10, v14
	; wave barrier
	ds_write_b8 v5, v13
	v_cndmask_b32_e64 v11, 0, v11, s0
	; wave barrier
	v_cmpx_lt_i32_e64 v11, v12
	s_cbranch_execz .LBB75_14
; %bb.11:
	v_add_nc_u32_e32 v13, v3, v9
	v_add3_u32 v14, v3, v6, v10
	.p2align	6
.LBB75_12:                              ; =>This Inner Loop Header: Depth=1
	v_sub_nc_u32_e32 v15, v12, v11
	v_lshrrev_b32_e32 v15, 1, v15
	v_add_nc_u32_e32 v15, v15, v11
	v_add_nc_u32_e32 v16, v13, v15
	v_xad_u32 v17, v15, -1, v14
	v_add_nc_u32_e32 v18, 1, v15
	ds_read_i8 v16, v16
	ds_read_i8 v17, v17
	s_waitcnt lgkmcnt(0)
	v_cmp_lt_i16_e64 s0, v17, v16
	v_cndmask_b32_e64 v12, v12, v15, s0
	v_cndmask_b32_e64 v11, v18, v11, s0
	v_cmp_ge_i32_e64 s0, v11, v12
	s_or_b32 s2, s0, s2
	s_andn2_b32 exec_lo, exec_lo, s2
	s_cbranch_execnz .LBB75_12
; %bb.13:
	s_or_b32 exec_lo, exec_lo, s2
.LBB75_14:
	s_or_b32 exec_lo, exec_lo, s1
	v_add_nc_u32_e32 v10, v6, v10
	v_add_nc_u32_e32 v12, v11, v9
	v_sub_nc_u32_e32 v10, v10, v11
	v_add_nc_u32_e32 v9, v3, v12
	v_cmp_le_i32_e64 s0, v6, v12
	v_add_nc_u32_e32 v11, v3, v10
	v_cmp_gt_i32_e64 s1, v8, v10
	ds_read_u8 v13, v9
	ds_read_u8 v11, v11
	v_and_b32_e32 v9, 16, v0
	; wave barrier
	s_waitcnt lgkmcnt(3)
	ds_write_b8 v5, v7
	v_and_b32_e32 v7, 15, v0
	v_min_i32_e32 v9, v4, v9
	; wave barrier
	v_add_nc_u32_e32 v14, 8, v9
	v_min_i32_e32 v6, v4, v14
	s_waitcnt lgkmcnt(1)
	v_cmp_lt_i16_sdwa s2, sext(v11), sext(v13) src0_sel:BYTE_0 src1_sel:BYTE_0
	v_add_nc_u32_e32 v8, 8, v6
	v_sub_nc_u32_e32 v14, v6, v9
	s_or_b32 s0, s0, s2
	v_min_i32_e32 v8, v4, v8
	s_and_b32 s0, s1, s0
	s_mov_b32 s2, 0
	v_cndmask_b32_e64 v10, v12, v10, s0
	v_cndmask_b32_e64 v13, v13, v11, s0
	v_sub_nc_u32_e32 v12, v8, v6
	s_mov_b32 s1, exec_lo
	v_add_nc_u32_e32 v11, v3, v10
	v_min_i32_e32 v10, v4, v7
	ds_read_u8 v7, v11
	v_sub_nc_u32_e32 v11, v10, v12
	v_cmp_ge_i32_e64 s0, v10, v12
	v_min_i32_e32 v12, v10, v14
	; wave barrier
	ds_write_b8 v5, v13
	v_cndmask_b32_e64 v11, 0, v11, s0
	; wave barrier
	v_cmpx_lt_i32_e64 v11, v12
	s_cbranch_execz .LBB75_18
; %bb.15:
	v_add_nc_u32_e32 v13, v3, v9
	v_add3_u32 v14, v3, v6, v10
	.p2align	6
.LBB75_16:                              ; =>This Inner Loop Header: Depth=1
	v_sub_nc_u32_e32 v15, v12, v11
	v_lshrrev_b32_e32 v15, 1, v15
	v_add_nc_u32_e32 v15, v15, v11
	v_add_nc_u32_e32 v16, v13, v15
	v_xad_u32 v17, v15, -1, v14
	v_add_nc_u32_e32 v18, 1, v15
	ds_read_i8 v16, v16
	ds_read_i8 v17, v17
	s_waitcnt lgkmcnt(0)
	v_cmp_lt_i16_e64 s0, v17, v16
	v_cndmask_b32_e64 v12, v12, v15, s0
	v_cndmask_b32_e64 v11, v18, v11, s0
	v_cmp_ge_i32_e64 s0, v11, v12
	s_or_b32 s2, s0, s2
	s_andn2_b32 exec_lo, exec_lo, s2
	s_cbranch_execnz .LBB75_16
; %bb.17:
	s_or_b32 exec_lo, exec_lo, s2
.LBB75_18:
	s_or_b32 exec_lo, exec_lo, s1
	v_add_nc_u32_e32 v10, v6, v10
	v_add_nc_u32_e32 v12, v11, v9
	v_sub_nc_u32_e32 v10, v10, v11
	v_add_nc_u32_e32 v9, v3, v12
	v_cmp_le_i32_e64 s0, v6, v12
	v_add_nc_u32_e32 v11, v3, v10
	v_cmp_gt_i32_e64 s1, v8, v10
	ds_read_u8 v13, v9
	ds_read_u8 v11, v11
	v_min_i32_e32 v9, 0, v4
	; wave barrier
	s_waitcnt lgkmcnt(3)
	ds_write_b8 v5, v7
	v_add_nc_u32_e32 v6, 16, v9
	; wave barrier
	v_min_i32_e32 v6, v4, v6
	v_add_nc_u32_e32 v8, 16, v6
	s_waitcnt lgkmcnt(1)
	v_cmp_lt_i16_sdwa s2, sext(v11), sext(v13) src0_sel:BYTE_0 src1_sel:BYTE_0
	v_min_i32_e32 v7, v4, v8
	v_min_i32_e32 v8, v4, v0
	s_or_b32 s0, s0, s2
	s_mov_b32 s2, 0
	s_and_b32 s0, s1, s0
	s_mov_b32 s1, exec_lo
	v_cndmask_b32_e64 v10, v12, v10, s0
	v_cndmask_b32_e64 v13, v13, v11, s0
	v_sub_nc_u32_e32 v11, v7, v6
	v_sub_nc_u32_e32 v12, v6, v9
	v_add_nc_u32_e32 v10, v3, v10
	v_cmp_ge_i32_e64 s0, v8, v11
	ds_read_u8 v4, v10
	v_sub_nc_u32_e32 v10, v8, v11
	v_min_i32_e32 v11, v8, v12
	; wave barrier
	ds_write_b8 v5, v13
	v_cndmask_b32_e64 v10, 0, v10, s0
	; wave barrier
	v_cmpx_lt_i32_e64 v10, v11
	s_cbranch_execz .LBB75_22
; %bb.19:
	v_add_nc_u32_e32 v12, v3, v9
	v_add3_u32 v13, v3, v6, v8
	.p2align	6
.LBB75_20:                              ; =>This Inner Loop Header: Depth=1
	v_sub_nc_u32_e32 v14, v11, v10
	v_lshrrev_b32_e32 v14, 1, v14
	v_add_nc_u32_e32 v14, v14, v10
	v_add_nc_u32_e32 v15, v12, v14
	v_xad_u32 v16, v14, -1, v13
	v_add_nc_u32_e32 v17, 1, v14
	ds_read_i8 v15, v15
	ds_read_i8 v16, v16
	s_waitcnt lgkmcnt(0)
	v_cmp_lt_i16_e64 s0, v16, v15
	v_cndmask_b32_e64 v11, v11, v14, s0
	v_cndmask_b32_e64 v10, v17, v10, s0
	v_cmp_ge_i32_e64 s0, v10, v11
	s_or_b32 s2, s0, s2
	s_andn2_b32 exec_lo, exec_lo, s2
	s_cbranch_execnz .LBB75_20
; %bb.21:
	s_or_b32 exec_lo, exec_lo, s2
.LBB75_22:
	s_or_b32 exec_lo, exec_lo, s1
	v_add_nc_u32_e32 v11, v6, v8
	v_add_nc_u32_e32 v8, v10, v9
	v_sub_nc_u32_e32 v9, v11, v10
	v_add_nc_u32_e32 v10, v3, v8
	v_add_nc_u32_e32 v11, v3, v9
	ds_read_i8 v10, v10
	ds_read_i8 v11, v11
	; wave barrier
	s_waitcnt lgkmcnt(3)
	ds_write_b8 v5, v4
	; wave barrier
	s_and_saveexec_b32 s0, vcc_lo
	s_cbranch_execz .LBB75_24
; %bb.23:
	v_cmp_le_i32_e32 vcc_lo, v6, v8
	s_waitcnt lgkmcnt(1)
	v_cmp_lt_i16_sdwa s1, sext(v11), sext(v10) src0_sel:BYTE_0 src1_sel:BYTE_0
	v_cmp_gt_i32_e64 s0, v7, v9
	s_or_b32 s1, vcc_lo, s1
	s_and_b32 vcc_lo, s0, s1
	v_add_co_u32 v1, s0, s6, v1
	v_cndmask_b32_e32 v5, v8, v9, vcc_lo
	v_cndmask_b32_e32 v4, v10, v11, vcc_lo
	v_add_co_u32 v0, vcc_lo, v1, v0
	v_add_nc_u32_e32 v3, v3, v5
	v_add_co_ci_u32_e64 v5, null, s7, 0, s0
	ds_read_u8 v3, v3
	v_add_co_ci_u32_e64 v1, null, v5, v2, vcc_lo
	s_waitcnt lgkmcnt(0)
	v_add_nc_u16 v3, v3, v4
	global_store_byte v[0:1], v3, off
.LBB75_24:
	s_endpgm
	.section	.rodata,"a",@progbits
	.p2align	6, 0x0
	.amdhsa_kernel _Z20sort_pairs_segmentedILj256ELj32ELj1EaN10test_utils4lessEEvPKT2_PS2_PKjT3_
		.amdhsa_group_segment_fixed_size 264
		.amdhsa_private_segment_fixed_size 0
		.amdhsa_kernarg_size 28
		.amdhsa_user_sgpr_count 6
		.amdhsa_user_sgpr_private_segment_buffer 1
		.amdhsa_user_sgpr_dispatch_ptr 0
		.amdhsa_user_sgpr_queue_ptr 0
		.amdhsa_user_sgpr_kernarg_segment_ptr 1
		.amdhsa_user_sgpr_dispatch_id 0
		.amdhsa_user_sgpr_flat_scratch_init 0
		.amdhsa_user_sgpr_private_segment_size 0
		.amdhsa_wavefront_size32 1
		.amdhsa_uses_dynamic_stack 0
		.amdhsa_system_sgpr_private_segment_wavefront_offset 0
		.amdhsa_system_sgpr_workgroup_id_x 1
		.amdhsa_system_sgpr_workgroup_id_y 0
		.amdhsa_system_sgpr_workgroup_id_z 0
		.amdhsa_system_sgpr_workgroup_info 0
		.amdhsa_system_vgpr_workitem_id 0
		.amdhsa_next_free_vgpr 19
		.amdhsa_next_free_sgpr 8
		.amdhsa_reserve_vcc 1
		.amdhsa_reserve_flat_scratch 0
		.amdhsa_float_round_mode_32 0
		.amdhsa_float_round_mode_16_64 0
		.amdhsa_float_denorm_mode_32 3
		.amdhsa_float_denorm_mode_16_64 3
		.amdhsa_dx10_clamp 1
		.amdhsa_ieee_mode 1
		.amdhsa_fp16_overflow 0
		.amdhsa_workgroup_processor_mode 1
		.amdhsa_memory_ordered 1
		.amdhsa_forward_progress 1
		.amdhsa_shared_vgpr_count 0
		.amdhsa_exception_fp_ieee_invalid_op 0
		.amdhsa_exception_fp_denorm_src 0
		.amdhsa_exception_fp_ieee_div_zero 0
		.amdhsa_exception_fp_ieee_overflow 0
		.amdhsa_exception_fp_ieee_underflow 0
		.amdhsa_exception_fp_ieee_inexact 0
		.amdhsa_exception_int_div_zero 0
	.end_amdhsa_kernel
	.section	.text._Z20sort_pairs_segmentedILj256ELj32ELj1EaN10test_utils4lessEEvPKT2_PS2_PKjT3_,"axG",@progbits,_Z20sort_pairs_segmentedILj256ELj32ELj1EaN10test_utils4lessEEvPKT2_PS2_PKjT3_,comdat
.Lfunc_end75:
	.size	_Z20sort_pairs_segmentedILj256ELj32ELj1EaN10test_utils4lessEEvPKT2_PS2_PKjT3_, .Lfunc_end75-_Z20sort_pairs_segmentedILj256ELj32ELj1EaN10test_utils4lessEEvPKT2_PS2_PKjT3_
                                        ; -- End function
	.set _Z20sort_pairs_segmentedILj256ELj32ELj1EaN10test_utils4lessEEvPKT2_PS2_PKjT3_.num_vgpr, 19
	.set _Z20sort_pairs_segmentedILj256ELj32ELj1EaN10test_utils4lessEEvPKT2_PS2_PKjT3_.num_agpr, 0
	.set _Z20sort_pairs_segmentedILj256ELj32ELj1EaN10test_utils4lessEEvPKT2_PS2_PKjT3_.numbered_sgpr, 8
	.set _Z20sort_pairs_segmentedILj256ELj32ELj1EaN10test_utils4lessEEvPKT2_PS2_PKjT3_.num_named_barrier, 0
	.set _Z20sort_pairs_segmentedILj256ELj32ELj1EaN10test_utils4lessEEvPKT2_PS2_PKjT3_.private_seg_size, 0
	.set _Z20sort_pairs_segmentedILj256ELj32ELj1EaN10test_utils4lessEEvPKT2_PS2_PKjT3_.uses_vcc, 1
	.set _Z20sort_pairs_segmentedILj256ELj32ELj1EaN10test_utils4lessEEvPKT2_PS2_PKjT3_.uses_flat_scratch, 0
	.set _Z20sort_pairs_segmentedILj256ELj32ELj1EaN10test_utils4lessEEvPKT2_PS2_PKjT3_.has_dyn_sized_stack, 0
	.set _Z20sort_pairs_segmentedILj256ELj32ELj1EaN10test_utils4lessEEvPKT2_PS2_PKjT3_.has_recursion, 0
	.set _Z20sort_pairs_segmentedILj256ELj32ELj1EaN10test_utils4lessEEvPKT2_PS2_PKjT3_.has_indirect_call, 0
	.section	.AMDGPU.csdata,"",@progbits
; Kernel info:
; codeLenInByte = 1928
; TotalNumSgprs: 10
; NumVgprs: 19
; ScratchSize: 0
; MemoryBound: 0
; FloatMode: 240
; IeeeMode: 1
; LDSByteSize: 264 bytes/workgroup (compile time only)
; SGPRBlocks: 0
; VGPRBlocks: 2
; NumSGPRsForWavesPerEU: 10
; NumVGPRsForWavesPerEU: 19
; Occupancy: 16
; WaveLimiterHint : 0
; COMPUTE_PGM_RSRC2:SCRATCH_EN: 0
; COMPUTE_PGM_RSRC2:USER_SGPR: 6
; COMPUTE_PGM_RSRC2:TRAP_HANDLER: 0
; COMPUTE_PGM_RSRC2:TGID_X_EN: 1
; COMPUTE_PGM_RSRC2:TGID_Y_EN: 0
; COMPUTE_PGM_RSRC2:TGID_Z_EN: 0
; COMPUTE_PGM_RSRC2:TIDIG_COMP_CNT: 0
	.section	.text._Z9sort_keysILj256ELj32ELj4EaN10test_utils4lessEEvPKT2_PS2_T3_,"axG",@progbits,_Z9sort_keysILj256ELj32ELj4EaN10test_utils4lessEEvPKT2_PS2_T3_,comdat
	.protected	_Z9sort_keysILj256ELj32ELj4EaN10test_utils4lessEEvPKT2_PS2_T3_ ; -- Begin function _Z9sort_keysILj256ELj32ELj4EaN10test_utils4lessEEvPKT2_PS2_T3_
	.globl	_Z9sort_keysILj256ELj32ELj4EaN10test_utils4lessEEvPKT2_PS2_T3_
	.p2align	8
	.type	_Z9sort_keysILj256ELj32ELj4EaN10test_utils4lessEEvPKT2_PS2_T3_,@function
_Z9sort_keysILj256ELj32ELj4EaN10test_utils4lessEEvPKT2_PS2_T3_: ; @_Z9sort_keysILj256ELj32ELj4EaN10test_utils4lessEEvPKT2_PS2_T3_
; %bb.0:
	s_load_dwordx4 s[8:11], s[4:5], 0x0
	s_lshl_b32 s3, s6, 10
	v_lshlrev_b32_e32 v1, 2, v0
	v_lshrrev_b32_e32 v0, 5, v0
	s_waitcnt lgkmcnt(0)
	s_add_u32 s0, s8, s3
	s_addc_u32 s1, s9, 0
	global_load_dword v2, v1, s[0:1]
	s_mov_b32 s1, exec_lo
	; wave barrier
	s_waitcnt vmcnt(0)
	v_lshrrev_b32_e32 v3, 8, v2
	v_bfe_i32 v4, v2, 0, 8
	v_perm_b32 v5, v2, v2, 0x7060405
	v_bfe_i32 v3, v3, 0, 8
	v_cmp_lt_i16_e32 vcc_lo, v3, v4
	v_cndmask_b32_e32 v2, v2, v5, vcc_lo
	v_lshrrev_b32_e32 v5, 16, v2
	v_lshrrev_b32_e32 v6, 24, v2
	v_perm_b32 v7, 0, v5, 0xc0c0001
	v_bfe_i32 v6, v6, 0, 8
	v_bfe_i32 v5, v5, 0, 8
	v_lshlrev_b32_e32 v7, 16, v7
	v_min_i16 v8, v6, v5
	v_cmp_lt_i16_e32 vcc_lo, v6, v5
	v_and_or_b32 v7, 0xffff, v2, v7
	v_lshlrev_b16 v9, 8, v8
	v_cndmask_b32_e32 v2, v2, v7, vcc_lo
	v_min_i16 v7, v3, v4
	v_max_i16 v3, v3, v4
	v_or_b32_sdwa v4, v2, v9 dst_sel:DWORD dst_unused:UNUSED_PAD src0_sel:BYTE_0 src1_sel:DWORD
	v_lshlrev_b16 v9, 8, v7
	v_min_i16 v10, v8, v3
	v_perm_b32 v11, v3, v2, 0xc0c0304
	v_cmp_lt_i16_e32 vcc_lo, v8, v3
	v_and_b32_e32 v4, 0xffff, v4
	v_or_b32_sdwa v9, v10, v9 dst_sel:DWORD dst_unused:UNUSED_PAD src0_sel:BYTE_0 src1_sel:DWORD
	v_lshl_or_b32 v4, v11, 16, v4
	v_max_i16 v11, v8, v3
	v_and_b32_e32 v9, 0xffff, v9
	v_cndmask_b32_e32 v2, v2, v4, vcc_lo
	v_max_i16 v4, v6, v5
	v_lshlrev_b16 v5, 8, v11
	v_cmp_lt_i16_e32 vcc_lo, v8, v7
	v_and_or_b32 v6, 0xffff0000, v2, v9
	v_cmp_gt_i16_e64 s0, v3, v4
	v_or_b32_sdwa v5, v4, v5 dst_sel:WORD_1 dst_unused:UNUSED_PAD src0_sel:BYTE_0 src1_sel:DWORD
	v_mbcnt_lo_u32_b32 v3, -1, 0
	v_cndmask_b32_e32 v10, v10, v7, vcc_lo
	v_cndmask_b32_e32 v2, v2, v6, vcc_lo
	v_cndmask_b32_e64 v11, v11, v4, s0
	v_mov_b32_e32 v9, 0
	v_and_or_b32 v5, 0xffff, v2, v5
	v_cmp_lt_i16_e32 vcc_lo, v11, v10
	v_cndmask_b32_e64 v8, v2, v5, s0
	v_lshlrev_b32_e32 v2, 2, v3
	v_lshlrev_b16 v3, 8, v11
	s_mov_b32 s0, 0
	v_perm_b32 v7, v10, v8, 0xc0c0304
	v_and_b32_e32 v5, 0x78, v2
	v_or_b32_sdwa v3, v8, v3 dst_sel:DWORD dst_unused:UNUSED_PAD src0_sel:BYTE_0 src1_sel:DWORD
	v_and_b32_e32 v6, 4, v2
	v_or_b32_e32 v4, 4, v5
	v_and_b32_e32 v3, 0xffff, v3
	v_sub_nc_u32_e32 v12, v4, v5
	v_lshl_or_b32 v13, v7, 16, v3
	v_mad_u32_u24 v3, 0x81, v0, v2
	v_mul_u32_u24_e32 v0, 0x81, v0
	v_min_i32_e32 v7, v6, v12
	v_cndmask_b32_e32 v8, v8, v13, vcc_lo
	ds_write_b32 v3, v8
	; wave barrier
	v_cmpx_lt_i32_e32 0, v7
	s_cbranch_execz .LBB76_4
; %bb.1:
	v_add_nc_u32_e32 v8, v0, v5
	v_mov_b32_e32 v9, 0
	v_add_nc_u32_e32 v10, v8, v6
	.p2align	6
.LBB76_2:                               ; =>This Inner Loop Header: Depth=1
	v_sub_nc_u32_e32 v11, v7, v9
	v_lshrrev_b32_e32 v11, 1, v11
	v_add_nc_u32_e32 v11, v11, v9
	v_add_nc_u32_e32 v12, v8, v11
	v_xad_u32 v13, v11, -1, v10
	v_add_nc_u32_e32 v14, 1, v11
	ds_read_i8 v12, v12
	ds_read_i8 v13, v13 offset:4
	s_waitcnt lgkmcnt(0)
	v_cmp_lt_i16_e32 vcc_lo, v13, v12
	v_cndmask_b32_e32 v7, v7, v11, vcc_lo
	v_cndmask_b32_e32 v9, v14, v9, vcc_lo
	v_cmp_ge_i32_e32 vcc_lo, v9, v7
	s_or_b32 s0, vcc_lo, s0
	s_andn2_b32 exec_lo, exec_lo, s0
	s_cbranch_execnz .LBB76_2
; %bb.3:
	s_or_b32 exec_lo, exec_lo, s0
.LBB76_4:
	s_or_b32 exec_lo, exec_lo, s1
	v_add_nc_u32_e32 v7, v5, v6
	v_add_nc_u32_e32 v10, v9, v5
	;; [unrolled: 1-line block ×3, first 2 shown]
	v_cmp_lt_i32_e32 vcc_lo, 3, v9
	v_sub_nc_u32_e32 v7, v7, v9
	v_add_nc_u32_e32 v13, v0, v10
	v_sub_nc_u32_e32 v11, v11, v9
	v_add_nc_u32_e32 v12, v0, v7
	ds_read_u8 v7, v13
	ds_read_u8 v8, v12 offset:4
	s_waitcnt lgkmcnt(1)
	v_bfe_i32 v6, v7, 0, 8
	s_waitcnt lgkmcnt(0)
	v_bfe_i32 v7, v8, 0, 8
	v_add_nc_u32_e32 v8, 8, v5
                                        ; implicit-def: $vgpr5
	v_cmp_lt_i16_e64 s0, v7, v6
	v_cmp_gt_i32_e64 s1, v8, v11
	s_or_b32 s0, vcc_lo, s0
	s_and_b32 vcc_lo, s1, s0
	s_xor_b32 s0, vcc_lo, -1
	s_and_saveexec_b32 s1, s0
	s_xor_b32 s0, exec_lo, s1
; %bb.5:
	ds_read_u8 v5, v13 offset:1
                                        ; implicit-def: $vgpr12
; %bb.6:
	s_or_saveexec_b32 s0, s0
	v_mov_b32_e32 v9, v7
	s_xor_b32 exec_lo, exec_lo, s0
	s_cbranch_execz .LBB76_8
; %bb.7:
	ds_read_u8 v9, v12 offset:5
	s_waitcnt lgkmcnt(1)
	v_mov_b32_e32 v5, v6
.LBB76_8:
	s_or_b32 exec_lo, exec_lo, s0
	v_add_nc_u32_e32 v12, 1, v10
	v_add_nc_u32_e32 v13, 1, v11
	s_waitcnt lgkmcnt(0)
	v_cmp_lt_i16_sdwa s2, sext(v9), sext(v5) src0_sel:BYTE_0 src1_sel:BYTE_0
	v_cndmask_b32_e32 v12, v12, v10, vcc_lo
	v_cndmask_b32_e32 v11, v11, v13, vcc_lo
                                        ; implicit-def: $vgpr10
	v_cmp_ge_i32_e64 s0, v12, v4
	v_cmp_lt_i32_e64 s1, v11, v8
	s_or_b32 s0, s0, s2
	s_and_b32 s0, s1, s0
	s_xor_b32 s1, s0, -1
	s_and_saveexec_b32 s2, s1
	s_xor_b32 s1, exec_lo, s2
; %bb.9:
	v_add_nc_u32_e32 v10, v0, v12
	ds_read_u8 v10, v10 offset:1
; %bb.10:
	s_or_saveexec_b32 s1, s1
	v_mov_b32_e32 v14, v9
	s_xor_b32 exec_lo, exec_lo, s1
	s_cbranch_execz .LBB76_12
; %bb.11:
	s_waitcnt lgkmcnt(0)
	v_add_nc_u32_e32 v10, v0, v11
	ds_read_u8 v14, v10 offset:1
	v_mov_b32_e32 v10, v5
.LBB76_12:
	s_or_b32 exec_lo, exec_lo, s1
	v_add_nc_u32_e32 v13, 1, v12
	v_add_nc_u32_e32 v15, 1, v11
	s_waitcnt lgkmcnt(0)
	v_cmp_lt_i16_sdwa s4, sext(v14), sext(v10) src0_sel:BYTE_0 src1_sel:BYTE_0
	v_cndmask_b32_e64 v12, v13, v12, s0
	v_cndmask_b32_e64 v11, v11, v15, s0
                                        ; implicit-def: $vgpr13
	v_cmp_ge_i32_e64 s1, v12, v4
	v_cmp_lt_i32_e64 s2, v11, v8
	s_or_b32 s1, s1, s4
	s_and_b32 s1, s2, s1
	s_xor_b32 s2, s1, -1
	s_and_saveexec_b32 s4, s2
	s_xor_b32 s2, exec_lo, s4
; %bb.13:
	v_add_nc_u32_e32 v13, v0, v12
	ds_read_u8 v13, v13 offset:1
; %bb.14:
	s_or_saveexec_b32 s2, s2
	v_mov_b32_e32 v15, v14
	s_xor_b32 exec_lo, exec_lo, s2
	s_cbranch_execz .LBB76_16
; %bb.15:
	s_waitcnt lgkmcnt(0)
	v_add_nc_u32_e32 v13, v0, v11
	ds_read_u8 v15, v13 offset:1
	v_mov_b32_e32 v13, v10
.LBB76_16:
	s_or_b32 exec_lo, exec_lo, s2
	v_add_nc_u32_e32 v16, 1, v12
	v_cndmask_b32_e64 v14, v10, v14, s1
	v_and_b32_e32 v10, 0x70, v2
	v_add_nc_u32_e32 v17, 1, v11
	s_waitcnt lgkmcnt(0)
	v_cmp_lt_i16_sdwa s2, sext(v15), sext(v13) src0_sel:BYTE_0 src1_sel:BYTE_0
	v_cndmask_b32_e64 v12, v16, v12, s1
	v_cndmask_b32_e64 v16, v5, v9, s0
	v_or_b32_e32 v5, 8, v10
	v_cndmask_b32_e64 v11, v11, v17, s1
	v_and_b32_e32 v9, 12, v2
	v_cmp_ge_i32_e64 s0, v12, v4
	v_cndmask_b32_e32 v7, v6, v7, vcc_lo
	v_sub_nc_u32_e32 v6, v5, v10
	v_cmp_lt_i32_e64 s1, v11, v8
	v_sub_nc_u32_e64 v4, v9, 8 clamp
	s_or_b32 s0, s0, s2
	v_min_i32_e32 v6, v9, v6
	s_and_b32 vcc_lo, s1, s0
	s_mov_b32 s0, exec_lo
	v_cndmask_b32_e32 v8, v13, v15, vcc_lo
	; wave barrier
	ds_write_b8 v3, v7
	ds_write_b8 v3, v16 offset:1
	ds_write_b8 v3, v14 offset:2
	;; [unrolled: 1-line block ×3, first 2 shown]
	; wave barrier
	v_cmpx_lt_i32_e64 v4, v6
	s_cbranch_execz .LBB76_20
; %bb.17:
	v_add_nc_u32_e32 v7, v0, v10
	s_mov_b32 s1, 0
	v_add_nc_u32_e32 v8, v7, v9
	.p2align	6
.LBB76_18:                              ; =>This Inner Loop Header: Depth=1
	v_sub_nc_u32_e32 v11, v6, v4
	v_lshrrev_b32_e32 v11, 1, v11
	v_add_nc_u32_e32 v11, v11, v4
	v_add_nc_u32_e32 v12, v7, v11
	v_xad_u32 v13, v11, -1, v8
	v_add_nc_u32_e32 v14, 1, v11
	ds_read_i8 v12, v12
	ds_read_i8 v13, v13 offset:8
	s_waitcnt lgkmcnt(0)
	v_cmp_lt_i16_e32 vcc_lo, v13, v12
	v_cndmask_b32_e32 v6, v6, v11, vcc_lo
	v_cndmask_b32_e32 v4, v14, v4, vcc_lo
	v_cmp_ge_i32_e32 vcc_lo, v4, v6
	s_or_b32 s1, vcc_lo, s1
	s_andn2_b32 exec_lo, exec_lo, s1
	s_cbranch_execnz .LBB76_18
; %bb.19:
	s_or_b32 exec_lo, exec_lo, s1
.LBB76_20:
	s_or_b32 exec_lo, exec_lo, s0
	v_add_nc_u32_e32 v6, v10, v9
	v_add_nc_u32_e32 v11, v4, v10
	;; [unrolled: 1-line block ×4, first 2 shown]
	v_cmp_lt_i32_e32 vcc_lo, 7, v4
	v_sub_nc_u32_e32 v6, v6, v4
	v_add_nc_u32_e32 v13, v0, v11
	v_sub_nc_u32_e32 v10, v9, v4
                                        ; implicit-def: $vgpr4
	v_add_nc_u32_e32 v12, v0, v6
	ds_read_u8 v6, v13
	ds_read_u8 v7, v12 offset:8
	v_cmp_gt_i32_e64 s1, v8, v10
	s_waitcnt lgkmcnt(1)
	v_bfe_i32 v6, v6, 0, 8
	s_waitcnt lgkmcnt(0)
	v_bfe_i32 v7, v7, 0, 8
	v_cmp_lt_i16_e64 s0, v7, v6
	s_or_b32 s0, vcc_lo, s0
	s_and_b32 vcc_lo, s1, s0
	s_xor_b32 s0, vcc_lo, -1
	s_and_saveexec_b32 s1, s0
	s_xor_b32 s0, exec_lo, s1
; %bb.21:
	ds_read_u8 v4, v13 offset:1
                                        ; implicit-def: $vgpr12
; %bb.22:
	s_or_saveexec_b32 s0, s0
	v_mov_b32_e32 v9, v7
	s_xor_b32 exec_lo, exec_lo, s0
	s_cbranch_execz .LBB76_24
; %bb.23:
	ds_read_u8 v9, v12 offset:9
	s_waitcnt lgkmcnt(1)
	v_mov_b32_e32 v4, v6
.LBB76_24:
	s_or_b32 exec_lo, exec_lo, s0
	v_add_nc_u32_e32 v12, 1, v11
	v_add_nc_u32_e32 v13, 1, v10
	s_waitcnt lgkmcnt(0)
	v_cmp_lt_i16_sdwa s2, sext(v9), sext(v4) src0_sel:BYTE_0 src1_sel:BYTE_0
	v_cndmask_b32_e32 v12, v12, v11, vcc_lo
	v_cndmask_b32_e32 v11, v10, v13, vcc_lo
                                        ; implicit-def: $vgpr10
	v_cmp_ge_i32_e64 s0, v12, v5
	v_cmp_lt_i32_e64 s1, v11, v8
	s_or_b32 s0, s0, s2
	s_and_b32 s0, s1, s0
	s_xor_b32 s1, s0, -1
	s_and_saveexec_b32 s2, s1
	s_xor_b32 s1, exec_lo, s2
; %bb.25:
	v_add_nc_u32_e32 v10, v0, v12
	ds_read_u8 v10, v10 offset:1
; %bb.26:
	s_or_saveexec_b32 s1, s1
	v_mov_b32_e32 v14, v9
	s_xor_b32 exec_lo, exec_lo, s1
	s_cbranch_execz .LBB76_28
; %bb.27:
	s_waitcnt lgkmcnt(0)
	v_add_nc_u32_e32 v10, v0, v11
	ds_read_u8 v14, v10 offset:1
	v_mov_b32_e32 v10, v4
.LBB76_28:
	s_or_b32 exec_lo, exec_lo, s1
	v_add_nc_u32_e32 v13, 1, v12
	v_add_nc_u32_e32 v15, 1, v11
	s_waitcnt lgkmcnt(0)
	v_cmp_lt_i16_sdwa s4, sext(v14), sext(v10) src0_sel:BYTE_0 src1_sel:BYTE_0
	v_cndmask_b32_e64 v12, v13, v12, s0
	v_cndmask_b32_e64 v11, v11, v15, s0
                                        ; implicit-def: $vgpr13
	v_cmp_ge_i32_e64 s1, v12, v5
	v_cmp_lt_i32_e64 s2, v11, v8
	s_or_b32 s1, s1, s4
	s_and_b32 s1, s2, s1
	s_xor_b32 s2, s1, -1
	s_and_saveexec_b32 s4, s2
	s_xor_b32 s2, exec_lo, s4
; %bb.29:
	v_add_nc_u32_e32 v13, v0, v12
	ds_read_u8 v13, v13 offset:1
; %bb.30:
	s_or_saveexec_b32 s2, s2
	v_mov_b32_e32 v15, v14
	s_xor_b32 exec_lo, exec_lo, s2
	s_cbranch_execz .LBB76_32
; %bb.31:
	s_waitcnt lgkmcnt(0)
	v_add_nc_u32_e32 v13, v0, v11
	ds_read_u8 v15, v13 offset:1
	v_mov_b32_e32 v13, v10
.LBB76_32:
	s_or_b32 exec_lo, exec_lo, s2
	v_add_nc_u32_e32 v16, 1, v12
	v_cndmask_b32_e64 v14, v10, v14, s1
	v_and_b32_e32 v10, 0x60, v2
	v_add_nc_u32_e32 v17, 1, v11
	s_waitcnt lgkmcnt(0)
	v_cmp_lt_i16_sdwa s2, sext(v15), sext(v13) src0_sel:BYTE_0 src1_sel:BYTE_0
	v_cndmask_b32_e64 v12, v16, v12, s1
	v_cndmask_b32_e64 v16, v4, v9, s0
	v_or_b32_e32 v4, 16, v10
	v_cndmask_b32_e64 v11, v11, v17, s1
	v_and_b32_e32 v9, 28, v2
	v_cmp_ge_i32_e64 s0, v12, v5
	v_cndmask_b32_e32 v7, v6, v7, vcc_lo
	v_sub_nc_u32_e32 v6, v4, v10
	v_cmp_lt_i32_e64 s1, v11, v8
	v_sub_nc_u32_e64 v5, v9, 16 clamp
	s_or_b32 s0, s0, s2
	v_min_i32_e32 v6, v9, v6
	s_and_b32 vcc_lo, s1, s0
	s_mov_b32 s0, exec_lo
	v_cndmask_b32_e32 v8, v13, v15, vcc_lo
	; wave barrier
	ds_write_b8 v3, v7
	ds_write_b8 v3, v16 offset:1
	ds_write_b8 v3, v14 offset:2
	;; [unrolled: 1-line block ×3, first 2 shown]
	; wave barrier
	v_cmpx_lt_i32_e64 v5, v6
	s_cbranch_execz .LBB76_36
; %bb.33:
	v_add_nc_u32_e32 v7, v0, v10
	s_mov_b32 s1, 0
	v_add_nc_u32_e32 v8, v7, v9
	.p2align	6
.LBB76_34:                              ; =>This Inner Loop Header: Depth=1
	v_sub_nc_u32_e32 v11, v6, v5
	v_lshrrev_b32_e32 v11, 1, v11
	v_add_nc_u32_e32 v11, v11, v5
	v_add_nc_u32_e32 v12, v7, v11
	v_xad_u32 v13, v11, -1, v8
	v_add_nc_u32_e32 v14, 1, v11
	ds_read_i8 v12, v12
	ds_read_i8 v13, v13 offset:16
	s_waitcnt lgkmcnt(0)
	v_cmp_lt_i16_e32 vcc_lo, v13, v12
	v_cndmask_b32_e32 v6, v6, v11, vcc_lo
	v_cndmask_b32_e32 v5, v14, v5, vcc_lo
	v_cmp_ge_i32_e32 vcc_lo, v5, v6
	s_or_b32 s1, vcc_lo, s1
	s_andn2_b32 exec_lo, exec_lo, s1
	s_cbranch_execnz .LBB76_34
; %bb.35:
	s_or_b32 exec_lo, exec_lo, s1
.LBB76_36:
	s_or_b32 exec_lo, exec_lo, s0
	v_add_nc_u32_e32 v6, v10, v9
	v_add_nc_u32_e32 v11, v5, v10
	;; [unrolled: 1-line block ×4, first 2 shown]
	v_cmp_lt_i32_e32 vcc_lo, 15, v5
	v_sub_nc_u32_e32 v6, v6, v5
	v_add_nc_u32_e32 v13, v0, v11
	v_sub_nc_u32_e32 v10, v9, v5
                                        ; implicit-def: $vgpr5
	v_add_nc_u32_e32 v12, v0, v6
	ds_read_u8 v6, v13
	ds_read_u8 v7, v12 offset:16
	v_cmp_gt_i32_e64 s1, v8, v10
	s_waitcnt lgkmcnt(1)
	v_bfe_i32 v6, v6, 0, 8
	s_waitcnt lgkmcnt(0)
	v_bfe_i32 v7, v7, 0, 8
	v_cmp_lt_i16_e64 s0, v7, v6
	s_or_b32 s0, vcc_lo, s0
	s_and_b32 vcc_lo, s1, s0
	s_xor_b32 s0, vcc_lo, -1
	s_and_saveexec_b32 s1, s0
	s_xor_b32 s0, exec_lo, s1
; %bb.37:
	ds_read_u8 v5, v13 offset:1
                                        ; implicit-def: $vgpr12
; %bb.38:
	s_or_saveexec_b32 s0, s0
	v_mov_b32_e32 v9, v7
	s_xor_b32 exec_lo, exec_lo, s0
	s_cbranch_execz .LBB76_40
; %bb.39:
	ds_read_u8 v9, v12 offset:17
	s_waitcnt lgkmcnt(1)
	v_mov_b32_e32 v5, v6
.LBB76_40:
	s_or_b32 exec_lo, exec_lo, s0
	v_add_nc_u32_e32 v12, 1, v11
	v_add_nc_u32_e32 v13, 1, v10
	s_waitcnt lgkmcnt(0)
	v_cmp_lt_i16_sdwa s2, sext(v9), sext(v5) src0_sel:BYTE_0 src1_sel:BYTE_0
	v_cndmask_b32_e32 v12, v12, v11, vcc_lo
	v_cndmask_b32_e32 v11, v10, v13, vcc_lo
                                        ; implicit-def: $vgpr10
	v_cmp_ge_i32_e64 s0, v12, v4
	v_cmp_lt_i32_e64 s1, v11, v8
	s_or_b32 s0, s0, s2
	s_and_b32 s0, s1, s0
	s_xor_b32 s1, s0, -1
	s_and_saveexec_b32 s2, s1
	s_xor_b32 s1, exec_lo, s2
; %bb.41:
	v_add_nc_u32_e32 v10, v0, v12
	ds_read_u8 v10, v10 offset:1
; %bb.42:
	s_or_saveexec_b32 s1, s1
	v_mov_b32_e32 v14, v9
	s_xor_b32 exec_lo, exec_lo, s1
	s_cbranch_execz .LBB76_44
; %bb.43:
	s_waitcnt lgkmcnt(0)
	v_add_nc_u32_e32 v10, v0, v11
	ds_read_u8 v14, v10 offset:1
	v_mov_b32_e32 v10, v5
.LBB76_44:
	s_or_b32 exec_lo, exec_lo, s1
	v_add_nc_u32_e32 v13, 1, v12
	v_add_nc_u32_e32 v15, 1, v11
	s_waitcnt lgkmcnt(0)
	v_cmp_lt_i16_sdwa s4, sext(v14), sext(v10) src0_sel:BYTE_0 src1_sel:BYTE_0
	v_cndmask_b32_e64 v12, v13, v12, s0
	v_cndmask_b32_e64 v11, v11, v15, s0
                                        ; implicit-def: $vgpr13
	v_cmp_ge_i32_e64 s1, v12, v4
	v_cmp_lt_i32_e64 s2, v11, v8
	s_or_b32 s1, s1, s4
	s_and_b32 s1, s2, s1
	s_xor_b32 s2, s1, -1
	s_and_saveexec_b32 s4, s2
	s_xor_b32 s2, exec_lo, s4
; %bb.45:
	v_add_nc_u32_e32 v13, v0, v12
	ds_read_u8 v13, v13 offset:1
; %bb.46:
	s_or_saveexec_b32 s2, s2
	v_mov_b32_e32 v15, v14
	s_xor_b32 exec_lo, exec_lo, s2
	s_cbranch_execz .LBB76_48
; %bb.47:
	s_waitcnt lgkmcnt(0)
	v_add_nc_u32_e32 v13, v0, v11
	ds_read_u8 v15, v13 offset:1
	v_mov_b32_e32 v13, v10
.LBB76_48:
	s_or_b32 exec_lo, exec_lo, s2
	v_add_nc_u32_e32 v16, 1, v12
	v_cndmask_b32_e64 v14, v10, v14, s1
	v_and_b32_e32 v10, 64, v2
	v_add_nc_u32_e32 v17, 1, v11
	v_cndmask_b32_e64 v9, v5, v9, s0
	v_cndmask_b32_e64 v12, v16, v12, s1
	s_waitcnt lgkmcnt(0)
	v_cmp_lt_i16_sdwa s2, sext(v15), sext(v13) src0_sel:BYTE_0 src1_sel:BYTE_0
	v_or_b32_e32 v5, 32, v10
	v_cndmask_b32_e64 v11, v11, v17, s1
	v_cndmask_b32_e32 v7, v6, v7, vcc_lo
	v_cmp_ge_i32_e64 s0, v12, v4
	v_and_b32_e32 v4, 60, v2
	v_sub_nc_u32_e32 v6, v5, v10
	v_cmp_lt_i32_e64 s1, v11, v8
	s_or_b32 s0, s0, s2
	v_sub_nc_u32_e64 v8, v4, 32 clamp
	v_min_i32_e32 v6, v4, v6
	s_and_b32 vcc_lo, s1, s0
	s_mov_b32 s0, exec_lo
	v_cndmask_b32_e32 v11, v13, v15, vcc_lo
	; wave barrier
	ds_write_b8 v3, v7
	ds_write_b8 v3, v9 offset:1
	ds_write_b8 v3, v14 offset:2
	;; [unrolled: 1-line block ×3, first 2 shown]
	; wave barrier
	v_cmpx_lt_i32_e64 v8, v6
	s_cbranch_execz .LBB76_52
; %bb.49:
	v_add_nc_u32_e32 v7, v0, v10
	s_mov_b32 s1, 0
	v_add_nc_u32_e32 v9, v7, v4
	.p2align	6
.LBB76_50:                              ; =>This Inner Loop Header: Depth=1
	v_sub_nc_u32_e32 v11, v6, v8
	v_lshrrev_b32_e32 v11, 1, v11
	v_add_nc_u32_e32 v11, v11, v8
	v_add_nc_u32_e32 v12, v7, v11
	v_xad_u32 v13, v11, -1, v9
	v_add_nc_u32_e32 v14, 1, v11
	ds_read_i8 v12, v12
	ds_read_i8 v13, v13 offset:32
	s_waitcnt lgkmcnt(0)
	v_cmp_lt_i16_e32 vcc_lo, v13, v12
	v_cndmask_b32_e32 v6, v6, v11, vcc_lo
	v_cndmask_b32_e32 v8, v14, v8, vcc_lo
	v_cmp_ge_i32_e32 vcc_lo, v8, v6
	s_or_b32 s1, vcc_lo, s1
	s_andn2_b32 exec_lo, exec_lo, s1
	s_cbranch_execnz .LBB76_50
; %bb.51:
	s_or_b32 exec_lo, exec_lo, s1
.LBB76_52:
	s_or_b32 exec_lo, exec_lo, s0
	v_add_nc_u32_e32 v6, v10, v4
	v_add_nc_u32_e32 v11, v8, v10
	;; [unrolled: 1-line block ×4, first 2 shown]
	v_cmp_lt_i32_e32 vcc_lo, 31, v8
	v_sub_nc_u32_e32 v6, v6, v8
	v_add_nc_u32_e32 v9, v0, v11
	v_sub_nc_u32_e32 v10, v13, v8
                                        ; implicit-def: $vgpr8
	v_add_nc_u32_e32 v12, v0, v6
	ds_read_u8 v6, v9
	ds_read_u8 v7, v12 offset:32
	v_cmp_gt_i32_e64 s1, v4, v10
	s_waitcnt lgkmcnt(1)
	v_bfe_i32 v6, v6, 0, 8
	s_waitcnt lgkmcnt(0)
	v_bfe_i32 v7, v7, 0, 8
	v_cmp_lt_i16_e64 s0, v7, v6
	s_or_b32 s0, vcc_lo, s0
	s_and_b32 vcc_lo, s1, s0
	s_xor_b32 s0, vcc_lo, -1
	s_and_saveexec_b32 s1, s0
	s_xor_b32 s0, exec_lo, s1
; %bb.53:
	ds_read_u8 v8, v9 offset:1
                                        ; implicit-def: $vgpr12
; %bb.54:
	s_or_saveexec_b32 s0, s0
	v_mov_b32_e32 v9, v7
	s_xor_b32 exec_lo, exec_lo, s0
	s_cbranch_execz .LBB76_56
; %bb.55:
	ds_read_u8 v9, v12 offset:33
	s_waitcnt lgkmcnt(1)
	v_mov_b32_e32 v8, v6
.LBB76_56:
	s_or_b32 exec_lo, exec_lo, s0
	v_add_nc_u32_e32 v12, 1, v11
	v_add_nc_u32_e32 v14, 1, v10
	s_waitcnt lgkmcnt(0)
	v_cmp_lt_i16_sdwa s2, sext(v9), sext(v8) src0_sel:BYTE_0 src1_sel:BYTE_0
	v_cndmask_b32_e32 v13, v12, v11, vcc_lo
	v_cndmask_b32_e32 v12, v10, v14, vcc_lo
                                        ; implicit-def: $vgpr10
	v_cmp_ge_i32_e64 s0, v13, v5
	v_cmp_lt_i32_e64 s1, v12, v4
	s_or_b32 s0, s0, s2
	s_and_b32 s0, s1, s0
	s_xor_b32 s1, s0, -1
	s_and_saveexec_b32 s2, s1
	s_xor_b32 s1, exec_lo, s2
; %bb.57:
	v_add_nc_u32_e32 v10, v0, v13
	ds_read_u8 v10, v10 offset:1
; %bb.58:
	s_or_saveexec_b32 s1, s1
	v_mov_b32_e32 v11, v9
	s_xor_b32 exec_lo, exec_lo, s1
	s_cbranch_execz .LBB76_60
; %bb.59:
	s_waitcnt lgkmcnt(0)
	v_add_nc_u32_e32 v10, v0, v12
	ds_read_u8 v11, v10 offset:1
	v_mov_b32_e32 v10, v8
.LBB76_60:
	s_or_b32 exec_lo, exec_lo, s1
	v_add_nc_u32_e32 v14, 1, v13
	v_add_nc_u32_e32 v15, 1, v12
	s_waitcnt lgkmcnt(0)
	v_cmp_lt_i16_sdwa s4, sext(v11), sext(v10) src0_sel:BYTE_0 src1_sel:BYTE_0
	v_cndmask_b32_e64 v14, v14, v13, s0
	v_cndmask_b32_e64 v13, v12, v15, s0
                                        ; implicit-def: $vgpr12
	v_cmp_ge_i32_e64 s1, v14, v5
	v_cmp_lt_i32_e64 s2, v13, v4
	s_or_b32 s1, s1, s4
	s_and_b32 s1, s2, s1
	s_xor_b32 s2, s1, -1
	s_and_saveexec_b32 s4, s2
	s_xor_b32 s2, exec_lo, s4
; %bb.61:
	v_add_nc_u32_e32 v12, v0, v14
	ds_read_u8 v12, v12 offset:1
; %bb.62:
	s_or_saveexec_b32 s2, s2
	v_mov_b32_e32 v15, v11
	s_xor_b32 exec_lo, exec_lo, s2
	s_cbranch_execz .LBB76_64
; %bb.63:
	s_waitcnt lgkmcnt(0)
	v_add_nc_u32_e32 v12, v0, v13
	ds_read_u8 v15, v12 offset:1
	v_mov_b32_e32 v12, v10
.LBB76_64:
	s_or_b32 exec_lo, exec_lo, s2
	v_add_nc_u32_e32 v16, 1, v14
	v_add_nc_u32_e32 v17, 1, v13
	v_cndmask_b32_e64 v10, v10, v11, s1
	v_cndmask_b32_e64 v8, v8, v9, s0
	v_cndmask_b32_e32 v7, v6, v7, vcc_lo
	v_cndmask_b32_e64 v11, v16, v14, s1
	v_cndmask_b32_e64 v9, v13, v17, s1
	s_waitcnt lgkmcnt(0)
	v_cmp_lt_i16_sdwa s1, sext(v15), sext(v12) src0_sel:BYTE_0 src1_sel:BYTE_0
	v_sub_nc_u32_e64 v6, v2, 64 clamp
	v_cmp_ge_i32_e32 vcc_lo, v11, v5
	v_cmp_lt_i32_e64 s0, v9, v4
	v_min_u32_e32 v4, 64, v2
	; wave barrier
	s_or_b32 s1, vcc_lo, s1
	s_and_b32 vcc_lo, s0, s1
	s_mov_b32 s0, exec_lo
	v_cndmask_b32_e32 v5, v12, v15, vcc_lo
	ds_write_b8 v3, v7
	ds_write_b8 v3, v8 offset:1
	ds_write_b8 v3, v10 offset:2
	;; [unrolled: 1-line block ×3, first 2 shown]
	; wave barrier
	v_cmpx_lt_u32_e64 v6, v4
	s_cbranch_execz .LBB76_68
; %bb.65:
	s_mov_b32 s1, 0
	.p2align	6
.LBB76_66:                              ; =>This Inner Loop Header: Depth=1
	v_sub_nc_u32_e32 v5, v4, v6
	v_lshrrev_b32_e32 v5, 1, v5
	v_add_nc_u32_e32 v5, v5, v6
	v_add_nc_u32_e32 v7, v0, v5
	v_xad_u32 v8, v5, -1, v3
	v_add_nc_u32_e32 v9, 1, v5
	ds_read_i8 v7, v7
	ds_read_i8 v8, v8 offset:64
	s_waitcnt lgkmcnt(0)
	v_cmp_lt_i16_e32 vcc_lo, v8, v7
	v_cndmask_b32_e32 v4, v4, v5, vcc_lo
	v_cndmask_b32_e32 v6, v9, v6, vcc_lo
	v_cmp_ge_i32_e32 vcc_lo, v6, v4
	s_or_b32 s1, vcc_lo, s1
	s_andn2_b32 exec_lo, exec_lo, s1
	s_cbranch_execnz .LBB76_66
; %bb.67:
	s_or_b32 exec_lo, exec_lo, s1
.LBB76_68:
	s_or_b32 exec_lo, exec_lo, s0
	v_sub_nc_u32_e32 v4, v2, v6
	v_add_nc_u32_e32 v5, v0, v6
	v_cmp_lt_i32_e32 vcc_lo, 63, v6
	v_add_nc_u32_e32 v8, v0, v4
	v_add_nc_u32_e32 v7, 64, v4
                                        ; implicit-def: $vgpr4
	ds_read_u8 v2, v5
	ds_read_u8 v3, v8 offset:64
	v_cmp_gt_i32_e64 s1, 0x80, v7
	s_waitcnt lgkmcnt(1)
	v_bfe_i32 v2, v2, 0, 8
	s_waitcnt lgkmcnt(0)
	v_bfe_i32 v3, v3, 0, 8
	v_cmp_lt_i16_e64 s0, v3, v2
	s_or_b32 s0, vcc_lo, s0
	s_and_b32 s0, s1, s0
	s_xor_b32 s1, s0, -1
	s_and_saveexec_b32 s2, s1
	s_xor_b32 s1, exec_lo, s2
; %bb.69:
	ds_read_u8 v4, v5 offset:1
                                        ; implicit-def: $vgpr8
; %bb.70:
	s_or_saveexec_b32 s1, s1
	v_mov_b32_e32 v5, v3
	s_xor_b32 exec_lo, exec_lo, s1
	s_cbranch_execz .LBB76_72
; %bb.71:
	ds_read_u8 v5, v8 offset:65
	s_waitcnt lgkmcnt(1)
	v_mov_b32_e32 v4, v2
.LBB76_72:
	s_or_b32 exec_lo, exec_lo, s1
	v_add_nc_u32_e32 v8, 1, v6
	v_add_nc_u32_e32 v10, 1, v7
	s_waitcnt lgkmcnt(0)
	v_cmp_lt_i16_sdwa s2, sext(v5), sext(v4) src0_sel:BYTE_0 src1_sel:BYTE_0
	v_cndmask_b32_e64 v9, v8, v6, s0
	v_cndmask_b32_e64 v8, v7, v10, s0
                                        ; implicit-def: $vgpr7
	v_cmp_lt_i32_e32 vcc_lo, 63, v9
	v_cmp_gt_i32_e64 s1, 0x80, v8
	s_or_b32 s2, vcc_lo, s2
	s_and_b32 vcc_lo, s1, s2
	s_xor_b32 s1, vcc_lo, -1
	s_and_saveexec_b32 s2, s1
	s_xor_b32 s1, exec_lo, s2
; %bb.73:
	v_add_nc_u32_e32 v6, v0, v9
	ds_read_u8 v7, v6 offset:1
; %bb.74:
	s_or_saveexec_b32 s1, s1
	v_mov_b32_e32 v6, v5
	s_xor_b32 exec_lo, exec_lo, s1
	s_cbranch_execz .LBB76_76
; %bb.75:
	v_add_nc_u32_e32 v6, v0, v8
	s_waitcnt lgkmcnt(0)
	v_mov_b32_e32 v7, v4
	ds_read_u8 v6, v6 offset:1
.LBB76_76:
	s_or_b32 exec_lo, exec_lo, s1
	v_add_nc_u32_e32 v10, 1, v9
	v_add_nc_u32_e32 v11, 1, v8
	s_waitcnt lgkmcnt(0)
	v_cmp_ge_i16_sdwa s4, sext(v6), sext(v7) src0_sel:BYTE_0 src1_sel:BYTE_0
                                        ; implicit-def: $vgpr12
	v_cndmask_b32_e32 v10, v10, v9, vcc_lo
	v_cndmask_b32_e32 v8, v8, v11, vcc_lo
                                        ; implicit-def: $vgpr9
	v_cmp_gt_i32_e64 s1, 64, v10
	v_cmp_lt_i32_e64 s2, 0x7f, v8
	s_and_b32 s1, s1, s4
	s_or_b32 s1, s2, s1
	s_and_saveexec_b32 s2, s1
	s_xor_b32 s1, exec_lo, s2
; %bb.77:
	v_add_nc_u32_e32 v0, v0, v10
	v_add_nc_u32_e32 v12, 1, v10
                                        ; implicit-def: $vgpr10
	ds_read_u8 v9, v0 offset:1
                                        ; implicit-def: $vgpr0
; %bb.78:
	s_or_saveexec_b32 s1, s1
	v_mov_b32_e32 v11, v7
	s_xor_b32 exec_lo, exec_lo, s1
	s_cbranch_execz .LBB76_80
; %bb.79:
	v_add_nc_u32_e32 v0, v0, v8
	v_add_nc_u32_e32 v8, 1, v8
	v_mov_b32_e32 v11, v6
	v_mov_b32_e32 v12, v10
	s_waitcnt lgkmcnt(0)
	v_mov_b32_e32 v9, v7
	ds_read_u8 v0, v0 offset:1
	s_waitcnt lgkmcnt(0)
	v_mov_b32_e32 v6, v0
.LBB76_80:
	s_or_b32 exec_lo, exec_lo, s1
	v_cmp_lt_i32_e64 s1, 63, v12
	s_waitcnt lgkmcnt(0)
	v_cmp_lt_i16_sdwa s4, sext(v6), sext(v9) src0_sel:BYTE_0 src1_sel:BYTE_0
	v_cmp_gt_i32_e64 s2, 0x80, v8
	v_cndmask_b32_sdwa v4, v4, v5, vcc_lo dst_sel:BYTE_1 dst_unused:UNUSED_PAD src0_sel:DWORD src1_sel:DWORD
	v_cndmask_b32_e64 v2, v2, v3, s0
	s_or_b32 s1, s1, s4
	s_and_b32 s1, s2, s1
	v_or_b32_sdwa v2, v2, v4 dst_sel:DWORD dst_unused:UNUSED_PAD src0_sel:BYTE_0 src1_sel:DWORD
	v_cndmask_b32_e64 v0, v9, v6, s1
	s_add_u32 s0, s10, s3
	s_addc_u32 s1, s11, 0
	v_lshlrev_b16 v0, 8, v0
	v_or_b32_sdwa v3, v11, v0 dst_sel:WORD_1 dst_unused:UNUSED_PAD src0_sel:BYTE_0 src1_sel:DWORD
	v_add_co_u32 v0, s0, s0, v1
	v_add_co_ci_u32_e64 v1, null, s1, 0, s0
	v_or_b32_sdwa v2, v2, v3 dst_sel:DWORD dst_unused:UNUSED_PAD src0_sel:WORD_0 src1_sel:DWORD
	global_store_dword v[0:1], v2, off
	s_endpgm
	.section	.rodata,"a",@progbits
	.p2align	6, 0x0
	.amdhsa_kernel _Z9sort_keysILj256ELj32ELj4EaN10test_utils4lessEEvPKT2_PS2_T3_
		.amdhsa_group_segment_fixed_size 1032
		.amdhsa_private_segment_fixed_size 0
		.amdhsa_kernarg_size 20
		.amdhsa_user_sgpr_count 6
		.amdhsa_user_sgpr_private_segment_buffer 1
		.amdhsa_user_sgpr_dispatch_ptr 0
		.amdhsa_user_sgpr_queue_ptr 0
		.amdhsa_user_sgpr_kernarg_segment_ptr 1
		.amdhsa_user_sgpr_dispatch_id 0
		.amdhsa_user_sgpr_flat_scratch_init 0
		.amdhsa_user_sgpr_private_segment_size 0
		.amdhsa_wavefront_size32 1
		.amdhsa_uses_dynamic_stack 0
		.amdhsa_system_sgpr_private_segment_wavefront_offset 0
		.amdhsa_system_sgpr_workgroup_id_x 1
		.amdhsa_system_sgpr_workgroup_id_y 0
		.amdhsa_system_sgpr_workgroup_id_z 0
		.amdhsa_system_sgpr_workgroup_info 0
		.amdhsa_system_vgpr_workitem_id 0
		.amdhsa_next_free_vgpr 18
		.amdhsa_next_free_sgpr 12
		.amdhsa_reserve_vcc 1
		.amdhsa_reserve_flat_scratch 0
		.amdhsa_float_round_mode_32 0
		.amdhsa_float_round_mode_16_64 0
		.amdhsa_float_denorm_mode_32 3
		.amdhsa_float_denorm_mode_16_64 3
		.amdhsa_dx10_clamp 1
		.amdhsa_ieee_mode 1
		.amdhsa_fp16_overflow 0
		.amdhsa_workgroup_processor_mode 1
		.amdhsa_memory_ordered 1
		.amdhsa_forward_progress 1
		.amdhsa_shared_vgpr_count 0
		.amdhsa_exception_fp_ieee_invalid_op 0
		.amdhsa_exception_fp_denorm_src 0
		.amdhsa_exception_fp_ieee_div_zero 0
		.amdhsa_exception_fp_ieee_overflow 0
		.amdhsa_exception_fp_ieee_underflow 0
		.amdhsa_exception_fp_ieee_inexact 0
		.amdhsa_exception_int_div_zero 0
	.end_amdhsa_kernel
	.section	.text._Z9sort_keysILj256ELj32ELj4EaN10test_utils4lessEEvPKT2_PS2_T3_,"axG",@progbits,_Z9sort_keysILj256ELj32ELj4EaN10test_utils4lessEEvPKT2_PS2_T3_,comdat
.Lfunc_end76:
	.size	_Z9sort_keysILj256ELj32ELj4EaN10test_utils4lessEEvPKT2_PS2_T3_, .Lfunc_end76-_Z9sort_keysILj256ELj32ELj4EaN10test_utils4lessEEvPKT2_PS2_T3_
                                        ; -- End function
	.set _Z9sort_keysILj256ELj32ELj4EaN10test_utils4lessEEvPKT2_PS2_T3_.num_vgpr, 18
	.set _Z9sort_keysILj256ELj32ELj4EaN10test_utils4lessEEvPKT2_PS2_T3_.num_agpr, 0
	.set _Z9sort_keysILj256ELj32ELj4EaN10test_utils4lessEEvPKT2_PS2_T3_.numbered_sgpr, 12
	.set _Z9sort_keysILj256ELj32ELj4EaN10test_utils4lessEEvPKT2_PS2_T3_.num_named_barrier, 0
	.set _Z9sort_keysILj256ELj32ELj4EaN10test_utils4lessEEvPKT2_PS2_T3_.private_seg_size, 0
	.set _Z9sort_keysILj256ELj32ELj4EaN10test_utils4lessEEvPKT2_PS2_T3_.uses_vcc, 1
	.set _Z9sort_keysILj256ELj32ELj4EaN10test_utils4lessEEvPKT2_PS2_T3_.uses_flat_scratch, 0
	.set _Z9sort_keysILj256ELj32ELj4EaN10test_utils4lessEEvPKT2_PS2_T3_.has_dyn_sized_stack, 0
	.set _Z9sort_keysILj256ELj32ELj4EaN10test_utils4lessEEvPKT2_PS2_T3_.has_recursion, 0
	.set _Z9sort_keysILj256ELj32ELj4EaN10test_utils4lessEEvPKT2_PS2_T3_.has_indirect_call, 0
	.section	.AMDGPU.csdata,"",@progbits
; Kernel info:
; codeLenInByte = 3888
; TotalNumSgprs: 14
; NumVgprs: 18
; ScratchSize: 0
; MemoryBound: 0
; FloatMode: 240
; IeeeMode: 1
; LDSByteSize: 1032 bytes/workgroup (compile time only)
; SGPRBlocks: 0
; VGPRBlocks: 2
; NumSGPRsForWavesPerEU: 14
; NumVGPRsForWavesPerEU: 18
; Occupancy: 16
; WaveLimiterHint : 0
; COMPUTE_PGM_RSRC2:SCRATCH_EN: 0
; COMPUTE_PGM_RSRC2:USER_SGPR: 6
; COMPUTE_PGM_RSRC2:TRAP_HANDLER: 0
; COMPUTE_PGM_RSRC2:TGID_X_EN: 1
; COMPUTE_PGM_RSRC2:TGID_Y_EN: 0
; COMPUTE_PGM_RSRC2:TGID_Z_EN: 0
; COMPUTE_PGM_RSRC2:TIDIG_COMP_CNT: 0
	.section	.text._Z10sort_pairsILj256ELj32ELj4EaN10test_utils4lessEEvPKT2_PS2_T3_,"axG",@progbits,_Z10sort_pairsILj256ELj32ELj4EaN10test_utils4lessEEvPKT2_PS2_T3_,comdat
	.protected	_Z10sort_pairsILj256ELj32ELj4EaN10test_utils4lessEEvPKT2_PS2_T3_ ; -- Begin function _Z10sort_pairsILj256ELj32ELj4EaN10test_utils4lessEEvPKT2_PS2_T3_
	.globl	_Z10sort_pairsILj256ELj32ELj4EaN10test_utils4lessEEvPKT2_PS2_T3_
	.p2align	8
	.type	_Z10sort_pairsILj256ELj32ELj4EaN10test_utils4lessEEvPKT2_PS2_T3_,@function
_Z10sort_pairsILj256ELj32ELj4EaN10test_utils4lessEEvPKT2_PS2_T3_: ; @_Z10sort_pairsILj256ELj32ELj4EaN10test_utils4lessEEvPKT2_PS2_T3_
; %bb.0:
	s_load_dwordx4 s[8:11], s[4:5], 0x0
	s_lshl_b32 s12, s6, 10
	v_lshlrev_b32_e32 v1, 2, v0
	v_mov_b32_e32 v8, 0xffffff00
	v_lshrrev_b32_e32 v0, 5, v0
	v_mov_b32_e32 v11, 0
	s_mov_b32 s6, 0
	s_mov_b32 s7, exec_lo
	s_waitcnt lgkmcnt(0)
	s_add_u32 s0, s8, s12
	s_addc_u32 s1, s9, 0
	global_load_dword v4, v1, s[0:1]
	; wave barrier
	s_waitcnt vmcnt(0)
	v_lshrrev_b32_e32 v5, 8, v4
	v_perm_b32 v2, v4, v4, 0x7060405
	v_cmp_lt_i16_sdwa vcc_lo, sext(v5), sext(v4) src0_sel:BYTE_0 src1_sel:BYTE_0
	v_cndmask_b32_e32 v2, v4, v2, vcc_lo
	v_lshrrev_b32_e32 v3, 16, v2
	v_lshrrev_b32_e32 v7, 24, v2
	v_perm_b32 v6, 0, v3, 0xc0c0001
	v_bfe_i32 v7, v7, 0, 8
	v_bfe_i32 v3, v3, 0, 8
	v_lshlrev_b32_e32 v6, 16, v6
	v_cmp_lt_i16_e64 s0, v7, v3
	v_min_i16 v9, v7, v3
	v_and_or_b32 v6, 0xffff, v2, v6
	v_lshlrev_b16 v3, 8, v9
	v_cndmask_b32_e64 v2, v2, v6, s0
	v_and_b32_sdwa v6, v2, v8 dst_sel:DWORD dst_unused:UNUSED_PAD src0_sel:WORD_1 src1_sel:DWORD
	v_lshrrev_b32_e32 v7, 8, v2
	v_or_b32_sdwa v3, v2, v3 dst_sel:DWORD dst_unused:UNUSED_PAD src0_sel:BYTE_0 src1_sel:DWORD
	v_or_b32_sdwa v6, v2, v6 dst_sel:WORD_1 dst_unused:UNUSED_PAD src0_sel:BYTE_1 src1_sel:DWORD
	v_bfe_i32 v7, v7, 0, 8
	v_or_b32_sdwa v3, v3, v6 dst_sel:DWORD dst_unused:UNUSED_PAD src0_sel:WORD_0 src1_sel:DWORD
	v_cmp_lt_i16_e64 s1, v9, v7
	v_cndmask_b32_e64 v2, v2, v3, s1
	v_min_i16 v3, v9, v7
	v_mbcnt_lo_u32_b32 v9, -1, 0
	v_lshlrev_b16 v6, 8, v2
	v_cmp_lt_i16_sdwa s3, v3, sext(v2) src0_sel:DWORD src1_sel:BYTE_0
	v_or_b32_sdwa v6, v3, v6 dst_sel:DWORD dst_unused:UNUSED_PAD src0_sel:BYTE_0 src1_sel:DWORD
	v_and_b32_e32 v6, 0xffff, v6
	v_and_or_b32 v6, 0xffff0000, v2, v6
	v_cndmask_b32_e64 v2, v2, v6, s3
	v_lshrrev_b32_e32 v3, 16, v2
	v_lshrrev_b32_e32 v7, 24, v2
	v_perm_b32 v6, 0, v3, 0xc0c0001
	v_bfe_i32 v7, v7, 0, 8
	v_bfe_i32 v10, v3, 0, 8
	v_lshlrev_b32_e32 v3, 2, v9
	v_lshlrev_b32_e32 v6, 16, v6
	v_cmp_lt_i16_e64 s4, v7, v10
	v_min_i16 v12, v7, v10
	v_and_b32_e32 v9, 0x78, v3
	v_and_or_b32 v6, 0xffff, v2, v6
	v_cndmask_b32_e64 v10, v2, v6, s4
	v_lshlrev_b16 v2, 8, v12
	v_or_b32_e32 v6, 4, v9
	v_and_b32_sdwa v7, v10, v8 dst_sel:DWORD dst_unused:UNUSED_PAD src0_sel:WORD_1 src1_sel:DWORD
	v_or_b32_sdwa v2, v10, v2 dst_sel:DWORD dst_unused:UNUSED_PAD src0_sel:BYTE_0 src1_sel:DWORD
	v_lshrrev_b32_e32 v14, 8, v10
	v_sub_nc_u32_e32 v13, v6, v9
	v_or_b32_sdwa v8, v10, v7 dst_sel:WORD_1 dst_unused:UNUSED_PAD src0_sel:BYTE_1 src1_sel:DWORD
	v_and_b32_e32 v7, 4, v3
	v_cmp_lt_i16_sdwa s2, v12, sext(v14) src0_sel:DWORD src1_sel:BYTE_0
	v_or_b32_sdwa v15, v2, v8 dst_sel:DWORD dst_unused:UNUSED_PAD src0_sel:WORD_0 src1_sel:DWORD
	v_mad_u32_u24 v2, 0x81, v0, v3
	v_min_i32_e32 v8, v7, v13
	v_mul_u32_u24_e32 v0, 0x81, v0
	v_cndmask_b32_e64 v10, v10, v15, s2
	ds_write_b32 v2, v10
	; wave barrier
	v_cmpx_lt_i32_e32 0, v8
	s_cbranch_execz .LBB77_4
; %bb.1:
	v_add_nc_u32_e32 v10, v0, v9
	v_mov_b32_e32 v11, 0
	v_add_nc_u32_e32 v12, v10, v7
	.p2align	6
.LBB77_2:                               ; =>This Inner Loop Header: Depth=1
	v_sub_nc_u32_e32 v13, v8, v11
	v_lshrrev_b32_e32 v13, 1, v13
	v_add_nc_u32_e32 v13, v13, v11
	v_add_nc_u32_e32 v14, v10, v13
	v_xad_u32 v15, v13, -1, v12
	v_add_nc_u32_e32 v16, 1, v13
	ds_read_i8 v14, v14
	ds_read_i8 v15, v15 offset:4
	s_waitcnt lgkmcnt(0)
	v_cmp_lt_i16_e64 s5, v15, v14
	v_cndmask_b32_e64 v8, v8, v13, s5
	v_cndmask_b32_e64 v11, v16, v11, s5
	v_cmp_ge_i32_e64 s5, v11, v8
	s_or_b32 s6, s5, s6
	s_andn2_b32 exec_lo, exec_lo, s6
	s_cbranch_execnz .LBB77_2
; %bb.3:
	s_or_b32 exec_lo, exec_lo, s6
.LBB77_4:
	s_or_b32 exec_lo, exec_lo, s7
	v_mov_b32_e32 v8, 24
	v_add_nc_u32_e32 v10, v11, v9
	v_add_nc_u32_e32 v15, v6, v7
	v_cmp_lt_i32_e64 s5, 3, v11
	v_lshrrev_b32_e32 v17, 16, v4
	v_lshrrev_b32_sdwa v16, v8, v4 dst_sel:BYTE_1 dst_unused:UNUSED_PAD src0_sel:DWORD src1_sel:DWORD
	v_add_nc_u32_e32 v8, v9, v7
	v_add_nc_u32_e32 v12, v0, v10
	;; [unrolled: 1-line block ×3, first 2 shown]
	v_sub_nc_u32_e32 v8, v8, v11
	v_add_nc_u32_e32 v13, v0, v8
	ds_read_u8 v8, v12
	ds_read_u8 v14, v13 offset:4
	s_waitcnt lgkmcnt(1)
	v_bfe_i32 v7, v8, 0, 8
	s_waitcnt lgkmcnt(0)
	v_bfe_i32 v8, v14, 0, 8
	v_sub_nc_u32_e32 v14, v15, v11
                                        ; implicit-def: $vgpr11
	v_cmp_lt_i16_e64 s6, v8, v7
	v_cmp_gt_i32_e64 s7, v9, v14
	s_or_b32 s5, s5, s6
	s_and_b32 s5, s7, s5
	s_xor_b32 s6, s5, -1
	s_and_saveexec_b32 s7, s6
	s_xor_b32 s6, exec_lo, s7
; %bb.5:
	ds_read_u8 v11, v12 offset:1
                                        ; implicit-def: $vgpr13
; %bb.6:
	s_or_saveexec_b32 s6, s6
	v_mov_b32_e32 v12, v8
	s_xor_b32 exec_lo, exec_lo, s6
	s_cbranch_execz .LBB77_8
; %bb.7:
	ds_read_u8 v12, v13 offset:5
	s_waitcnt lgkmcnt(1)
	v_mov_b32_e32 v11, v7
.LBB77_8:
	s_or_b32 exec_lo, exec_lo, s6
	v_add_nc_u32_e32 v13, 1, v10
	v_add_nc_u32_e32 v15, 1, v14
	s_waitcnt lgkmcnt(0)
	v_cmp_lt_i16_sdwa s8, sext(v12), sext(v11) src0_sel:BYTE_0 src1_sel:BYTE_0
	v_cndmask_b32_e64 v18, v13, v10, s5
	v_cndmask_b32_e64 v19, v14, v15, s5
                                        ; implicit-def: $vgpr13
	v_cmp_ge_i32_e64 s6, v18, v6
	v_cmp_lt_i32_e64 s7, v19, v9
	s_or_b32 s6, s6, s8
	s_and_b32 s6, s7, s6
	s_xor_b32 s7, s6, -1
	s_and_saveexec_b32 s8, s7
	s_xor_b32 s7, exec_lo, s8
; %bb.9:
	v_add_nc_u32_e32 v13, v0, v18
	ds_read_u8 v13, v13 offset:1
; %bb.10:
	s_or_saveexec_b32 s7, s7
	v_mov_b32_e32 v15, v12
	s_xor_b32 exec_lo, exec_lo, s7
	s_cbranch_execz .LBB77_12
; %bb.11:
	s_waitcnt lgkmcnt(0)
	v_add_nc_u32_e32 v13, v0, v19
	ds_read_u8 v15, v13 offset:1
	v_mov_b32_e32 v13, v11
.LBB77_12:
	s_or_b32 exec_lo, exec_lo, s7
	v_add_nc_u32_e32 v20, 1, v18
	v_add_nc_u32_e32 v21, 1, v19
	s_waitcnt lgkmcnt(0)
	v_cmp_lt_i16_sdwa s9, sext(v15), sext(v13) src0_sel:BYTE_0 src1_sel:BYTE_0
	v_cndmask_b32_e64 v23, v20, v18, s6
	v_cndmask_b32_e64 v22, v19, v21, s6
                                        ; implicit-def: $vgpr20
	v_cmp_ge_i32_e64 s7, v23, v6
	v_cmp_lt_i32_e64 s8, v22, v9
	s_or_b32 s7, s7, s9
	s_and_b32 s7, s8, s7
	s_xor_b32 s8, s7, -1
	s_and_saveexec_b32 s9, s8
	s_xor_b32 s8, exec_lo, s9
; %bb.13:
	v_add_nc_u32_e32 v20, v0, v23
	ds_read_u8 v20, v20 offset:1
; %bb.14:
	s_or_saveexec_b32 s8, s8
	v_mov_b32_e32 v21, v15
	s_xor_b32 exec_lo, exec_lo, s8
	s_cbranch_execz .LBB77_16
; %bb.15:
	s_waitcnt lgkmcnt(0)
	v_add_nc_u32_e32 v20, v0, v22
	ds_read_u8 v21, v20 offset:1
	v_mov_b32_e32 v20, v13
.LBB77_16:
	s_or_b32 exec_lo, exec_lo, s8
	v_add_nc_u16 v5, v5, 1
	v_add_nc_u16 v4, v4, 1
	;; [unrolled: 1-line block ×3, first 2 shown]
	v_cndmask_b32_e64 v10, v10, v14, s5
	v_cndmask_b32_e64 v18, v18, v19, s6
	v_lshlrev_b16 v24, 8, v5
	v_lshlrev_b16 v25, 8, v4
	v_or_b32_sdwa v16, v16, v17 dst_sel:DWORD dst_unused:UNUSED_PAD src0_sel:DWORD src1_sel:BYTE_0
	; wave barrier
	v_or_b32_sdwa v4, v4, v24 dst_sel:DWORD dst_unused:UNUSED_PAD src0_sel:BYTE_0 src1_sel:DWORD
	v_or_b32_sdwa v5, v5, v25 dst_sel:DWORD dst_unused:UNUSED_PAD src0_sel:BYTE_0 src1_sel:DWORD
	v_add_nc_u16 v16, 0x100, v16
	v_cndmask_b32_e64 v24, v23, v22, s7
	v_and_b32_e32 v14, 0x70, v3
	v_and_b32_e32 v4, 0xffff, v4
	;; [unrolled: 1-line block ×3, first 2 shown]
	v_lshlrev_b32_e32 v17, 16, v16
	v_perm_b32 v16, 0, v16, 0xc0c0001
	v_cndmask_b32_e64 v15, v13, v15, s7
	v_cndmask_b32_e64 v8, v7, v8, s5
	v_cndmask_b32_e32 v4, v4, v5, vcc_lo
	v_cndmask_b32_e64 v11, v11, v12, s6
	v_lshlrev_b32_e32 v5, 16, v16
	v_add_nc_u32_e32 v16, 1, v23
	v_or_b32_e32 v4, v4, v17
	v_add_nc_u32_e32 v17, 1, v22
	v_cndmask_b32_e64 v16, v16, v23, s7
	v_and_or_b32 v5, 0xffff, v4, v5
	v_cndmask_b32_e64 v17, v22, v17, s7
	v_cmp_ge_i32_e32 vcc_lo, v16, v6
	v_cndmask_b32_e64 v4, v4, v5, s0
	v_cmp_lt_i32_e64 s0, v17, v9
	v_perm_b32 v5, v4, v4, 0x7050604
	v_cndmask_b32_e64 v4, v4, v5, s1
	s_waitcnt lgkmcnt(0)
	v_cmp_lt_i16_sdwa s1, sext(v21), sext(v20) src0_sel:BYTE_0 src1_sel:BYTE_0
	v_perm_b32 v5, 0, v4, 0xc0c0001
	s_or_b32 s1, vcc_lo, s1
	s_and_b32 vcc_lo, s0, s1
	s_mov_b32 s0, exec_lo
	v_and_or_b32 v5, 0xffff0000, v4, v5
	v_cndmask_b32_e32 v6, v16, v17, vcc_lo
	v_add_nc_u32_e32 v16, v0, v24
	v_cndmask_b32_e32 v19, v20, v21, vcc_lo
	v_cndmask_b32_e64 v4, v4, v5, s3
	v_add_nc_u32_e32 v17, v0, v6
	v_lshrrev_b32_e32 v5, 16, v4
	v_perm_b32 v5, 0, v5, 0xc0c0001
	v_lshlrev_b32_e32 v5, 16, v5
	v_and_or_b32 v5, 0xffff, v4, v5
	v_cndmask_b32_e64 v4, v4, v5, s4
	v_perm_b32 v5, v4, v4, 0x7050604
	v_cndmask_b32_e64 v4, v4, v5, s2
	v_add_nc_u32_e32 v5, v0, v10
	v_add_nc_u32_e32 v10, v0, v18
	ds_write_b32 v2, v4
	; wave barrier
	ds_read_u8 v9, v5
	ds_read_u8 v5, v10
	;; [unrolled: 1-line block ×4, first 2 shown]
	v_or_b32_e32 v10, 8, v14
	v_and_b32_e32 v16, 12, v3
	; wave barrier
	ds_write_b8 v2, v8
	ds_write_b8 v2, v11 offset:1
	ds_write_b8 v2, v15 offset:2
	;; [unrolled: 1-line block ×3, first 2 shown]
	v_sub_nc_u32_e32 v17, v10, v14
	v_sub_nc_u32_e64 v13, v16, 8 clamp
	; wave barrier
	v_min_i32_e32 v7, v16, v17
	v_cmpx_lt_i32_e64 v13, v7
	s_cbranch_execz .LBB77_20
; %bb.17:
	v_add_nc_u32_e32 v8, v0, v14
	s_mov_b32 s1, 0
	v_add_nc_u32_e32 v11, v8, v16
	.p2align	6
.LBB77_18:                              ; =>This Inner Loop Header: Depth=1
	v_sub_nc_u32_e32 v12, v7, v13
	v_lshrrev_b32_e32 v12, 1, v12
	v_add_nc_u32_e32 v12, v12, v13
	v_add_nc_u32_e32 v15, v8, v12
	v_xad_u32 v17, v12, -1, v11
	v_add_nc_u32_e32 v18, 1, v12
	ds_read_i8 v15, v15
	ds_read_i8 v17, v17 offset:8
	s_waitcnt lgkmcnt(0)
	v_cmp_lt_i16_e32 vcc_lo, v17, v15
	v_cndmask_b32_e32 v7, v7, v12, vcc_lo
	v_cndmask_b32_e32 v13, v18, v13, vcc_lo
	v_cmp_ge_i32_e32 vcc_lo, v13, v7
	s_or_b32 s1, vcc_lo, s1
	s_andn2_b32 exec_lo, exec_lo, s1
	s_cbranch_execnz .LBB77_18
; %bb.19:
	s_or_b32 exec_lo, exec_lo, s1
.LBB77_20:
	s_or_b32 exec_lo, exec_lo, s0
	v_add_nc_u32_e32 v7, v14, v16
	v_add_nc_u32_e32 v8, v13, v14
	;; [unrolled: 1-line block ×3, first 2 shown]
	v_cmp_lt_i32_e32 vcc_lo, 7, v13
	v_sub_nc_u32_e32 v7, v7, v13
	v_add_nc_u32_e32 v18, v0, v8
	v_sub_nc_u32_e32 v15, v15, v13
                                        ; implicit-def: $vgpr13
	v_add_nc_u32_e32 v17, v0, v7
	ds_read_u8 v7, v18
	ds_read_u8 v12, v17 offset:8
	s_waitcnt lgkmcnt(1)
	v_bfe_i32 v11, v7, 0, 8
	s_waitcnt lgkmcnt(0)
	v_bfe_i32 v12, v12, 0, 8
	v_add_nc_u32_e32 v7, 16, v14
	v_cmp_lt_i16_e64 s0, v12, v11
	v_cmp_gt_i32_e64 s1, v7, v15
	s_or_b32 s0, vcc_lo, s0
	s_and_b32 vcc_lo, s1, s0
	s_xor_b32 s0, vcc_lo, -1
	s_and_saveexec_b32 s1, s0
	s_xor_b32 s0, exec_lo, s1
; %bb.21:
	ds_read_u8 v13, v18 offset:1
                                        ; implicit-def: $vgpr17
; %bb.22:
	s_or_saveexec_b32 s0, s0
	v_mov_b32_e32 v14, v12
	s_xor_b32 exec_lo, exec_lo, s0
	s_cbranch_execz .LBB77_24
; %bb.23:
	ds_read_u8 v14, v17 offset:9
	s_waitcnt lgkmcnt(1)
	v_mov_b32_e32 v13, v11
.LBB77_24:
	s_or_b32 exec_lo, exec_lo, s0
	v_add_nc_u32_e32 v16, 1, v8
	v_add_nc_u32_e32 v17, 1, v15
	s_waitcnt lgkmcnt(0)
	v_cmp_lt_i16_sdwa s2, sext(v14), sext(v13) src0_sel:BYTE_0 src1_sel:BYTE_0
	v_cndmask_b32_e32 v18, v16, v8, vcc_lo
	v_cndmask_b32_e32 v19, v15, v17, vcc_lo
                                        ; implicit-def: $vgpr16
	v_cmp_ge_i32_e64 s0, v18, v10
	v_cmp_lt_i32_e64 s1, v19, v7
	s_or_b32 s0, s0, s2
	s_and_b32 s0, s1, s0
	s_xor_b32 s1, s0, -1
	s_and_saveexec_b32 s2, s1
	s_xor_b32 s1, exec_lo, s2
; %bb.25:
	v_add_nc_u32_e32 v16, v0, v18
	ds_read_u8 v16, v16 offset:1
; %bb.26:
	s_or_saveexec_b32 s1, s1
	v_mov_b32_e32 v17, v14
	s_xor_b32 exec_lo, exec_lo, s1
	s_cbranch_execz .LBB77_28
; %bb.27:
	s_waitcnt lgkmcnt(0)
	v_add_nc_u32_e32 v16, v0, v19
	ds_read_u8 v17, v16 offset:1
	v_mov_b32_e32 v16, v13
.LBB77_28:
	s_or_b32 exec_lo, exec_lo, s1
	v_add_nc_u32_e32 v20, 1, v18
	v_add_nc_u32_e32 v21, 1, v19
	s_waitcnt lgkmcnt(0)
	v_cmp_lt_i16_sdwa s3, sext(v17), sext(v16) src0_sel:BYTE_0 src1_sel:BYTE_0
	v_cndmask_b32_e64 v22, v20, v18, s0
	v_cndmask_b32_e64 v21, v19, v21, s0
                                        ; implicit-def: $vgpr20
	v_cmp_ge_i32_e64 s1, v22, v10
	v_cmp_lt_i32_e64 s2, v21, v7
	s_or_b32 s1, s1, s3
	s_and_b32 s1, s2, s1
	s_xor_b32 s2, s1, -1
	s_and_saveexec_b32 s3, s2
	s_xor_b32 s2, exec_lo, s3
; %bb.29:
	v_add_nc_u32_e32 v20, v0, v22
	ds_read_u8 v20, v20 offset:1
; %bb.30:
	s_or_saveexec_b32 s2, s2
	v_mov_b32_e32 v23, v17
	s_xor_b32 exec_lo, exec_lo, s2
	s_cbranch_execz .LBB77_32
; %bb.31:
	s_waitcnt lgkmcnt(0)
	v_add_nc_u32_e32 v20, v0, v21
	ds_read_u8 v23, v20 offset:1
	v_mov_b32_e32 v20, v16
.LBB77_32:
	s_or_b32 exec_lo, exec_lo, s2
	v_add_nc_u32_e32 v24, 1, v22
	v_add_nc_u32_e32 v25, 1, v21
	v_cndmask_b32_e32 v8, v8, v15, vcc_lo
	v_cndmask_b32_e64 v18, v18, v19, s0
	s_waitcnt lgkmcnt(0)
	v_cmp_lt_i16_sdwa s4, sext(v23), sext(v20) src0_sel:BYTE_0 src1_sel:BYTE_0
	v_cndmask_b32_e64 v15, v24, v22, s1
	v_cndmask_b32_e64 v19, v21, v25, s1
	;; [unrolled: 1-line block ×3, first 2 shown]
	; wave barrier
	v_cmp_ge_i32_e64 s2, v15, v10
	v_cmp_lt_i32_e64 s3, v19, v7
	ds_write_b8 v2, v9
	ds_write_b8 v2, v5 offset:1
	ds_write_b8 v2, v6 offset:2
	;; [unrolled: 1-line block ×3, first 2 shown]
	s_or_b32 s2, s2, s4
	v_add_nc_u32_e32 v5, v0, v8
	s_and_b32 s2, s3, s2
	v_add_nc_u32_e32 v6, v0, v18
	v_cndmask_b32_e64 v4, v15, v19, s2
	v_add_nc_u32_e32 v8, v0, v26
	; wave barrier
	v_and_b32_e32 v15, 0x60, v3
	v_add_nc_u32_e32 v4, v0, v4
	v_and_b32_e32 v9, 28, v3
	ds_read_u8 v7, v5
	ds_read_u8 v5, v6
	;; [unrolled: 1-line block ×4, first 2 shown]
	v_cndmask_b32_e32 v12, v11, v12, vcc_lo
	v_or_b32_e32 v8, 16, v15
	v_cndmask_b32_e64 v13, v13, v14, s0
	v_sub_nc_u32_e64 v11, v9, 16 clamp
	v_cndmask_b32_e64 v16, v16, v17, s1
	v_cndmask_b32_e64 v20, v20, v23, s2
	v_sub_nc_u32_e32 v10, v8, v15
	s_mov_b32 s0, exec_lo
	; wave barrier
	ds_write_b8 v2, v12
	ds_write_b8 v2, v13 offset:1
	ds_write_b8 v2, v16 offset:2
	ds_write_b8 v2, v20 offset:3
	v_min_i32_e32 v10, v9, v10
	; wave barrier
	v_cmpx_lt_i32_e64 v11, v10
	s_cbranch_execz .LBB77_36
; %bb.33:
	v_add_nc_u32_e32 v12, v0, v15
	s_mov_b32 s1, 0
	v_add_nc_u32_e32 v13, v12, v9
	.p2align	6
.LBB77_34:                              ; =>This Inner Loop Header: Depth=1
	v_sub_nc_u32_e32 v14, v10, v11
	v_lshrrev_b32_e32 v14, 1, v14
	v_add_nc_u32_e32 v14, v14, v11
	v_add_nc_u32_e32 v16, v12, v14
	v_xad_u32 v17, v14, -1, v13
	v_add_nc_u32_e32 v18, 1, v14
	ds_read_i8 v16, v16
	ds_read_i8 v17, v17 offset:16
	s_waitcnt lgkmcnt(0)
	v_cmp_lt_i16_e32 vcc_lo, v17, v16
	v_cndmask_b32_e32 v10, v10, v14, vcc_lo
	v_cndmask_b32_e32 v11, v18, v11, vcc_lo
	v_cmp_ge_i32_e32 vcc_lo, v11, v10
	s_or_b32 s1, vcc_lo, s1
	s_andn2_b32 exec_lo, exec_lo, s1
	s_cbranch_execnz .LBB77_34
; %bb.35:
	s_or_b32 exec_lo, exec_lo, s1
.LBB77_36:
	s_or_b32 exec_lo, exec_lo, s0
	v_add_nc_u32_e32 v10, v15, v9
	v_add_nc_u32_e32 v14, v11, v15
	v_add_nc_u32_e32 v17, v8, v9
	v_cmp_lt_i32_e32 vcc_lo, 15, v11
	v_sub_nc_u32_e32 v10, v10, v11
	v_add_nc_u32_e32 v12, v0, v14
	v_add_nc_u32_e32 v16, v0, v10
	ds_read_u8 v10, v12
	ds_read_u8 v13, v16 offset:16
	s_waitcnt lgkmcnt(1)
	v_bfe_i32 v9, v10, 0, 8
	s_waitcnt lgkmcnt(0)
	v_bfe_i32 v10, v13, 0, 8
	v_add_nc_u32_e32 v13, 32, v15
	v_sub_nc_u32_e32 v15, v17, v11
                                        ; implicit-def: $vgpr11
	v_cmp_lt_i16_e64 s0, v10, v9
	v_cmp_gt_i32_e64 s1, v13, v15
	s_or_b32 s0, vcc_lo, s0
	s_and_b32 vcc_lo, s1, s0
	s_xor_b32 s0, vcc_lo, -1
	s_and_saveexec_b32 s1, s0
	s_xor_b32 s0, exec_lo, s1
; %bb.37:
	ds_read_u8 v11, v12 offset:1
                                        ; implicit-def: $vgpr16
; %bb.38:
	s_or_saveexec_b32 s0, s0
	v_mov_b32_e32 v12, v10
	s_xor_b32 exec_lo, exec_lo, s0
	s_cbranch_execz .LBB77_40
; %bb.39:
	ds_read_u8 v12, v16 offset:17
	s_waitcnt lgkmcnt(1)
	v_mov_b32_e32 v11, v9
.LBB77_40:
	s_or_b32 exec_lo, exec_lo, s0
	v_add_nc_u32_e32 v16, 1, v14
	v_add_nc_u32_e32 v17, 1, v15
	s_waitcnt lgkmcnt(0)
	v_cmp_lt_i16_sdwa s2, sext(v12), sext(v11) src0_sel:BYTE_0 src1_sel:BYTE_0
	v_cndmask_b32_e32 v18, v16, v14, vcc_lo
	v_cndmask_b32_e32 v19, v15, v17, vcc_lo
                                        ; implicit-def: $vgpr16
	v_cmp_ge_i32_e64 s0, v18, v8
	v_cmp_lt_i32_e64 s1, v19, v13
	s_or_b32 s0, s0, s2
	s_and_b32 s0, s1, s0
	s_xor_b32 s1, s0, -1
	s_and_saveexec_b32 s2, s1
	s_xor_b32 s1, exec_lo, s2
; %bb.41:
	v_add_nc_u32_e32 v16, v0, v18
	ds_read_u8 v16, v16 offset:1
; %bb.42:
	s_or_saveexec_b32 s1, s1
	v_mov_b32_e32 v17, v12
	s_xor_b32 exec_lo, exec_lo, s1
	s_cbranch_execz .LBB77_44
; %bb.43:
	s_waitcnt lgkmcnt(0)
	v_add_nc_u32_e32 v16, v0, v19
	ds_read_u8 v17, v16 offset:1
	v_mov_b32_e32 v16, v11
.LBB77_44:
	s_or_b32 exec_lo, exec_lo, s1
	v_add_nc_u32_e32 v20, 1, v18
	v_add_nc_u32_e32 v21, 1, v19
	s_waitcnt lgkmcnt(0)
	v_cmp_lt_i16_sdwa s3, sext(v17), sext(v16) src0_sel:BYTE_0 src1_sel:BYTE_0
	v_cndmask_b32_e64 v22, v20, v18, s0
	v_cndmask_b32_e64 v21, v19, v21, s0
                                        ; implicit-def: $vgpr20
	v_cmp_ge_i32_e64 s1, v22, v8
	v_cmp_lt_i32_e64 s2, v21, v13
	s_or_b32 s1, s1, s3
	s_and_b32 s1, s2, s1
	s_xor_b32 s2, s1, -1
	s_and_saveexec_b32 s3, s2
	s_xor_b32 s2, exec_lo, s3
; %bb.45:
	v_add_nc_u32_e32 v20, v0, v22
	ds_read_u8 v20, v20 offset:1
; %bb.46:
	s_or_saveexec_b32 s2, s2
	v_mov_b32_e32 v23, v17
	s_xor_b32 exec_lo, exec_lo, s2
	s_cbranch_execz .LBB77_48
; %bb.47:
	s_waitcnt lgkmcnt(0)
	v_add_nc_u32_e32 v20, v0, v21
	ds_read_u8 v23, v20 offset:1
	v_mov_b32_e32 v20, v16
.LBB77_48:
	s_or_b32 exec_lo, exec_lo, s2
	v_add_nc_u32_e32 v24, 1, v22
	v_add_nc_u32_e32 v25, 1, v21
	v_cndmask_b32_e32 v14, v14, v15, vcc_lo
	v_cndmask_b32_e64 v18, v18, v19, s0
	s_waitcnt lgkmcnt(0)
	v_cmp_lt_i16_sdwa s4, sext(v23), sext(v20) src0_sel:BYTE_0 src1_sel:BYTE_0
	v_cndmask_b32_e64 v15, v24, v22, s1
	v_cndmask_b32_e64 v19, v21, v25, s1
	;; [unrolled: 1-line block ×3, first 2 shown]
	; wave barrier
	v_cmp_ge_i32_e64 s2, v15, v8
	v_cmp_lt_i32_e64 s3, v19, v13
	ds_write_b8 v2, v7
	ds_write_b8 v2, v5 offset:1
	ds_write_b8 v2, v6 offset:2
	;; [unrolled: 1-line block ×3, first 2 shown]
	s_or_b32 s2, s2, s4
	v_add_nc_u32_e32 v5, v0, v14
	s_and_b32 s2, s3, s2
	v_add_nc_u32_e32 v7, v0, v18
	v_cndmask_b32_e64 v4, v15, v19, s2
	v_add_nc_u32_e32 v8, v0, v26
	; wave barrier
	v_and_b32_e32 v13, 64, v3
	v_add_nc_u32_e32 v4, v0, v4
	v_and_b32_e32 v15, 60, v3
	ds_read_u8 v6, v5
	ds_read_u8 v7, v7
	;; [unrolled: 1-line block ×4, first 2 shown]
	v_cndmask_b32_e64 v12, v11, v12, s0
	v_or_b32_e32 v8, 32, v13
	v_cndmask_b32_e32 v10, v9, v10, vcc_lo
	v_sub_nc_u32_e64 v11, v15, 32 clamp
	v_cndmask_b32_e64 v16, v16, v17, s1
	v_cndmask_b32_e64 v20, v20, v23, s2
	v_sub_nc_u32_e32 v14, v8, v13
	s_mov_b32 s0, exec_lo
	; wave barrier
	ds_write_b8 v2, v10
	ds_write_b8 v2, v12 offset:1
	ds_write_b8 v2, v16 offset:2
	;; [unrolled: 1-line block ×3, first 2 shown]
	v_min_i32_e32 v9, v15, v14
	; wave barrier
	v_cmpx_lt_i32_e64 v11, v9
	s_cbranch_execz .LBB77_52
; %bb.49:
	v_add_nc_u32_e32 v10, v0, v13
	s_mov_b32 s1, 0
	v_add_nc_u32_e32 v12, v10, v15
	.p2align	6
.LBB77_50:                              ; =>This Inner Loop Header: Depth=1
	v_sub_nc_u32_e32 v14, v9, v11
	v_lshrrev_b32_e32 v14, 1, v14
	v_add_nc_u32_e32 v14, v14, v11
	v_add_nc_u32_e32 v16, v10, v14
	v_xad_u32 v17, v14, -1, v12
	v_add_nc_u32_e32 v18, 1, v14
	ds_read_i8 v16, v16
	ds_read_i8 v17, v17 offset:32
	s_waitcnt lgkmcnt(0)
	v_cmp_lt_i16_e32 vcc_lo, v17, v16
	v_cndmask_b32_e32 v9, v9, v14, vcc_lo
	v_cndmask_b32_e32 v11, v18, v11, vcc_lo
	v_cmp_ge_i32_e32 vcc_lo, v11, v9
	s_or_b32 s1, vcc_lo, s1
	s_andn2_b32 exec_lo, exec_lo, s1
	s_cbranch_execnz .LBB77_50
; %bb.51:
	s_or_b32 exec_lo, exec_lo, s1
.LBB77_52:
	s_or_b32 exec_lo, exec_lo, s0
	v_add_nc_u32_e32 v9, v13, v15
	v_add_nc_u32_e32 v14, v11, v13
	;; [unrolled: 1-line block ×4, first 2 shown]
	v_cmp_lt_i32_e32 vcc_lo, 31, v11
	v_sub_nc_u32_e32 v9, v9, v11
	v_add_nc_u32_e32 v17, v0, v14
	v_sub_nc_u32_e32 v15, v15, v11
                                        ; implicit-def: $vgpr11
	v_add_nc_u32_e32 v16, v0, v9
	ds_read_u8 v9, v17
	ds_read_u8 v10, v16 offset:32
	v_cmp_gt_i32_e64 s1, v12, v15
	s_waitcnt lgkmcnt(1)
	v_bfe_i32 v9, v9, 0, 8
	s_waitcnt lgkmcnt(0)
	v_bfe_i32 v10, v10, 0, 8
	v_cmp_lt_i16_e64 s0, v10, v9
	s_or_b32 s0, vcc_lo, s0
	s_and_b32 vcc_lo, s1, s0
	s_xor_b32 s0, vcc_lo, -1
	s_and_saveexec_b32 s1, s0
	s_xor_b32 s0, exec_lo, s1
; %bb.53:
	ds_read_u8 v11, v17 offset:1
                                        ; implicit-def: $vgpr16
; %bb.54:
	s_or_saveexec_b32 s0, s0
	v_mov_b32_e32 v13, v10
	s_xor_b32 exec_lo, exec_lo, s0
	s_cbranch_execz .LBB77_56
; %bb.55:
	ds_read_u8 v13, v16 offset:33
	s_waitcnt lgkmcnt(1)
	v_mov_b32_e32 v11, v9
.LBB77_56:
	s_or_b32 exec_lo, exec_lo, s0
	v_add_nc_u32_e32 v16, 1, v14
	v_add_nc_u32_e32 v17, 1, v15
	s_waitcnt lgkmcnt(0)
	v_cmp_lt_i16_sdwa s2, sext(v13), sext(v11) src0_sel:BYTE_0 src1_sel:BYTE_0
	v_cndmask_b32_e32 v18, v16, v14, vcc_lo
	v_cndmask_b32_e32 v19, v15, v17, vcc_lo
                                        ; implicit-def: $vgpr16
	v_cmp_ge_i32_e64 s0, v18, v8
	v_cmp_lt_i32_e64 s1, v19, v12
	s_or_b32 s0, s0, s2
	s_and_b32 s0, s1, s0
	s_xor_b32 s1, s0, -1
	s_and_saveexec_b32 s2, s1
	s_xor_b32 s1, exec_lo, s2
; %bb.57:
	v_add_nc_u32_e32 v16, v0, v18
	ds_read_u8 v16, v16 offset:1
; %bb.58:
	s_or_saveexec_b32 s1, s1
	v_mov_b32_e32 v17, v13
	s_xor_b32 exec_lo, exec_lo, s1
	s_cbranch_execz .LBB77_60
; %bb.59:
	s_waitcnt lgkmcnt(0)
	v_add_nc_u32_e32 v16, v0, v19
	ds_read_u8 v17, v16 offset:1
	v_mov_b32_e32 v16, v11
.LBB77_60:
	s_or_b32 exec_lo, exec_lo, s1
	v_add_nc_u32_e32 v20, 1, v18
	v_add_nc_u32_e32 v21, 1, v19
	s_waitcnt lgkmcnt(0)
	v_cmp_lt_i16_sdwa s3, sext(v17), sext(v16) src0_sel:BYTE_0 src1_sel:BYTE_0
	v_cndmask_b32_e64 v22, v20, v18, s0
	v_cndmask_b32_e64 v21, v19, v21, s0
                                        ; implicit-def: $vgpr20
	v_cmp_ge_i32_e64 s1, v22, v8
	v_cmp_lt_i32_e64 s2, v21, v12
	s_or_b32 s1, s1, s3
	s_and_b32 s1, s2, s1
	s_xor_b32 s2, s1, -1
	s_and_saveexec_b32 s3, s2
	s_xor_b32 s2, exec_lo, s3
; %bb.61:
	v_add_nc_u32_e32 v20, v0, v22
	ds_read_u8 v20, v20 offset:1
; %bb.62:
	s_or_saveexec_b32 s2, s2
	v_mov_b32_e32 v23, v17
	s_xor_b32 exec_lo, exec_lo, s2
	s_cbranch_execz .LBB77_64
; %bb.63:
	s_waitcnt lgkmcnt(0)
	v_add_nc_u32_e32 v20, v0, v21
	ds_read_u8 v23, v20 offset:1
	v_mov_b32_e32 v20, v16
.LBB77_64:
	s_or_b32 exec_lo, exec_lo, s2
	v_add_nc_u32_e32 v24, 1, v22
	v_add_nc_u32_e32 v25, 1, v21
	v_cndmask_b32_e32 v14, v14, v15, vcc_lo
	v_cndmask_b32_e64 v18, v18, v19, s0
	s_waitcnt lgkmcnt(0)
	v_cmp_lt_i16_sdwa s4, sext(v23), sext(v20) src0_sel:BYTE_0 src1_sel:BYTE_0
	v_cndmask_b32_e64 v15, v24, v22, s1
	v_cndmask_b32_e64 v19, v21, v25, s1
	;; [unrolled: 1-line block ×3, first 2 shown]
	v_add_nc_u32_e32 v21, v0, v3
	v_cmp_ge_i32_e64 s2, v15, v8
	v_cmp_lt_i32_e64 s3, v19, v12
	; wave barrier
	ds_write_b8 v21, v6
	ds_write_b8 v21, v7 offset:1
	ds_write_b8 v21, v5 offset:2
	s_or_b32 s2, s2, s4
	ds_write_b8 v21, v4 offset:3
	s_and_b32 s2, s3, s2
	v_add_nc_u32_e32 v4, v0, v14
	v_cndmask_b32_e64 v5, v15, v19, s2
	v_add_nc_u32_e32 v6, v0, v18
	v_add_nc_u32_e32 v7, v0, v26
	; wave barrier
	v_add_nc_u32_e32 v8, v0, v5
	v_cndmask_b32_e32 v10, v9, v10, vcc_lo
	ds_read_u8 v4, v4
	ds_read_u8 v5, v6
	ds_read_u8 v6, v7
	ds_read_u8 v7, v8
	v_sub_nc_u32_e64 v8, v3, 64 clamp
	v_min_u32_e32 v9, 64, v3
	v_cndmask_b32_e64 v11, v11, v13, s0
	v_cndmask_b32_e64 v14, v16, v17, s1
	;; [unrolled: 1-line block ×3, first 2 shown]
	s_mov_b32 s0, exec_lo
	; wave barrier
	ds_write_b8 v21, v10
	ds_write_b8 v21, v11 offset:1
	ds_write_b8 v21, v14 offset:2
	;; [unrolled: 1-line block ×3, first 2 shown]
	; wave barrier
	v_cmpx_lt_u32_e64 v8, v9
	s_cbranch_execz .LBB77_68
; %bb.65:
	s_mov_b32 s1, 0
	.p2align	6
.LBB77_66:                              ; =>This Inner Loop Header: Depth=1
	v_sub_nc_u32_e32 v10, v9, v8
	v_lshrrev_b32_e32 v10, 1, v10
	v_add_nc_u32_e32 v10, v10, v8
	v_add_nc_u32_e32 v11, v0, v10
	v_xad_u32 v12, v10, -1, v2
	v_add_nc_u32_e32 v13, 1, v10
	ds_read_i8 v11, v11
	ds_read_i8 v12, v12 offset:64
	s_waitcnt lgkmcnt(0)
	v_cmp_lt_i16_e32 vcc_lo, v12, v11
	v_cndmask_b32_e32 v9, v9, v10, vcc_lo
	v_cndmask_b32_e32 v8, v13, v8, vcc_lo
	v_cmp_ge_i32_e32 vcc_lo, v8, v9
	s_or_b32 s1, vcc_lo, s1
	s_andn2_b32 exec_lo, exec_lo, s1
	s_cbranch_execnz .LBB77_66
; %bb.67:
	s_or_b32 exec_lo, exec_lo, s1
.LBB77_68:
	s_or_b32 exec_lo, exec_lo, s0
	v_sub_nc_u32_e32 v10, v3, v8
	v_add_nc_u32_e32 v11, v0, v8
	v_cmp_lt_i32_e32 vcc_lo, 63, v8
	v_add_nc_u32_e32 v13, v0, v10
	v_add_nc_u32_e32 v12, 64, v10
                                        ; implicit-def: $vgpr10
	ds_read_u8 v3, v11
	ds_read_u8 v9, v13 offset:64
	v_cmp_gt_i32_e64 s1, 0x80, v12
	s_waitcnt lgkmcnt(1)
	v_bfe_i32 v3, v3, 0, 8
	s_waitcnt lgkmcnt(0)
	v_bfe_i32 v9, v9, 0, 8
	v_cmp_lt_i16_e64 s0, v9, v3
	s_or_b32 s0, vcc_lo, s0
	s_and_b32 vcc_lo, s1, s0
	s_xor_b32 s0, vcc_lo, -1
	s_and_saveexec_b32 s1, s0
	s_xor_b32 s0, exec_lo, s1
; %bb.69:
	ds_read_u8 v10, v11 offset:1
                                        ; implicit-def: $vgpr13
; %bb.70:
	s_or_saveexec_b32 s0, s0
	v_mov_b32_e32 v11, v9
	s_xor_b32 exec_lo, exec_lo, s0
	s_cbranch_execz .LBB77_72
; %bb.71:
	ds_read_u8 v11, v13 offset:65
	s_waitcnt lgkmcnt(1)
	v_mov_b32_e32 v10, v3
.LBB77_72:
	s_or_b32 exec_lo, exec_lo, s0
	v_add_nc_u32_e32 v13, 1, v8
	v_add_nc_u32_e32 v14, 1, v12
	s_waitcnt lgkmcnt(0)
	v_cmp_lt_i16_sdwa s2, sext(v11), sext(v10) src0_sel:BYTE_0 src1_sel:BYTE_0
                                        ; implicit-def: $vgpr16
	v_cndmask_b32_e32 v13, v13, v8, vcc_lo
	v_cndmask_b32_e32 v14, v12, v14, vcc_lo
	v_cmp_lt_i32_e64 s0, 63, v13
	v_cmp_gt_i32_e64 s1, 0x80, v14
	s_or_b32 s0, s0, s2
	s_and_b32 s0, s1, s0
	s_xor_b32 s1, s0, -1
	s_and_saveexec_b32 s2, s1
	s_xor_b32 s1, exec_lo, s2
; %bb.73:
	v_add_nc_u32_e32 v15, v0, v13
	ds_read_u8 v16, v15 offset:1
; %bb.74:
	s_or_saveexec_b32 s1, s1
	v_mov_b32_e32 v15, v11
	s_xor_b32 exec_lo, exec_lo, s1
	s_cbranch_execz .LBB77_76
; %bb.75:
	v_add_nc_u32_e32 v15, v0, v14
	s_waitcnt lgkmcnt(0)
	v_mov_b32_e32 v16, v10
	ds_read_u8 v15, v15 offset:1
.LBB77_76:
	s_or_b32 exec_lo, exec_lo, s1
	v_add_nc_u32_e32 v17, 1, v13
	v_add_nc_u32_e32 v18, 1, v14
	s_waitcnt lgkmcnt(0)
	v_cmp_ge_i16_sdwa s3, sext(v15), sext(v16) src0_sel:BYTE_0 src1_sel:BYTE_0
                                        ; implicit-def: $vgpr21
                                        ; implicit-def: $vgpr20
	v_cndmask_b32_e64 v22, v17, v13, s0
	v_cndmask_b32_e64 v18, v14, v18, s0
	v_cmp_gt_i32_e64 s1, 64, v22
	v_cmp_lt_i32_e64 s2, 0x7f, v18
	s_and_b32 s1, s1, s3
	s_or_b32 s1, s2, s1
	s_and_saveexec_b32 s2, s1
	s_xor_b32 s1, exec_lo, s2
; %bb.77:
	v_add_nc_u32_e32 v17, v0, v22
	v_add_nc_u32_e32 v20, 1, v22
	ds_read_u8 v21, v17 offset:1
; %bb.78:
	s_or_saveexec_b32 s1, s1
	v_mov_b32_e32 v17, v16
	v_mov_b32_e32 v19, v22
	s_xor_b32 exec_lo, exec_lo, s1
	s_cbranch_execz .LBB77_80
; %bb.79:
	v_add_nc_u32_e32 v17, v0, v18
	s_waitcnt lgkmcnt(0)
	v_add_nc_u32_e32 v21, 1, v18
	v_mov_b32_e32 v19, v18
	v_mov_b32_e32 v20, v22
	ds_read_u8 v23, v17 offset:1
	v_mov_b32_e32 v17, v15
	v_mov_b32_e32 v18, v21
	;; [unrolled: 1-line block ×3, first 2 shown]
	s_waitcnt lgkmcnt(0)
	v_mov_b32_e32 v15, v23
.LBB77_80:
	s_or_b32 exec_lo, exec_lo, s1
	v_cmp_lt_i32_e64 s1, 63, v20
	s_waitcnt lgkmcnt(0)
	v_cmp_lt_i16_sdwa s3, sext(v15), sext(v21) src0_sel:BYTE_0 src1_sel:BYTE_0
	v_cmp_gt_i32_e64 s2, 0x80, v18
	v_cndmask_b32_e64 v13, v13, v14, s0
	v_cndmask_b32_e32 v8, v8, v12, vcc_lo
	s_or_b32 s1, s1, s3
	; wave barrier
	s_and_b32 s1, s2, s1
	ds_write_b8 v2, v4
	ds_write_b8 v2, v5 offset:1
	ds_write_b8 v2, v6 offset:2
	;; [unrolled: 1-line block ×3, first 2 shown]
	v_cndmask_b32_e64 v14, v20, v18, s1
	v_add_nc_u32_e32 v2, v0, v13
	v_add_nc_u32_e32 v5, v0, v8
	; wave barrier
	v_add_nc_u32_e32 v4, v0, v14
	v_add_nc_u32_e32 v0, v0, v19
	v_cndmask_b32_e64 v12, v21, v15, s1
	ds_read_u8 v2, v2
	ds_read_u8 v4, v4
	;; [unrolled: 1-line block ×4, first 2 shown]
	v_cndmask_b32_e64 v6, v10, v11, s0
	v_cndmask_b32_e32 v3, v3, v9, vcc_lo
	s_add_u32 s0, s10, s12
	s_addc_u32 s1, s11, 0
	s_waitcnt lgkmcnt(3)
	v_add_nc_u16 v2, v2, v6
	s_waitcnt lgkmcnt(2)
	v_add_nc_u16 v4, v4, v12
	;; [unrolled: 2-line block ×4, first 2 shown]
	v_lshlrev_b16 v2, 8, v2
	v_lshlrev_b16 v4, 8, v4
	v_or_b32_sdwa v2, v3, v2 dst_sel:DWORD dst_unused:UNUSED_PAD src0_sel:BYTE_0 src1_sel:DWORD
	v_or_b32_sdwa v3, v0, v4 dst_sel:WORD_1 dst_unused:UNUSED_PAD src0_sel:BYTE_0 src1_sel:DWORD
	v_add_co_u32 v0, s0, s0, v1
	v_add_co_ci_u32_e64 v1, null, s1, 0, s0
	v_or_b32_sdwa v2, v2, v3 dst_sel:DWORD dst_unused:UNUSED_PAD src0_sel:WORD_0 src1_sel:DWORD
	global_store_dword v[0:1], v2, off
	s_endpgm
	.section	.rodata,"a",@progbits
	.p2align	6, 0x0
	.amdhsa_kernel _Z10sort_pairsILj256ELj32ELj4EaN10test_utils4lessEEvPKT2_PS2_T3_
		.amdhsa_group_segment_fixed_size 1032
		.amdhsa_private_segment_fixed_size 0
		.amdhsa_kernarg_size 20
		.amdhsa_user_sgpr_count 6
		.amdhsa_user_sgpr_private_segment_buffer 1
		.amdhsa_user_sgpr_dispatch_ptr 0
		.amdhsa_user_sgpr_queue_ptr 0
		.amdhsa_user_sgpr_kernarg_segment_ptr 1
		.amdhsa_user_sgpr_dispatch_id 0
		.amdhsa_user_sgpr_flat_scratch_init 0
		.amdhsa_user_sgpr_private_segment_size 0
		.amdhsa_wavefront_size32 1
		.amdhsa_uses_dynamic_stack 0
		.amdhsa_system_sgpr_private_segment_wavefront_offset 0
		.amdhsa_system_sgpr_workgroup_id_x 1
		.amdhsa_system_sgpr_workgroup_id_y 0
		.amdhsa_system_sgpr_workgroup_id_z 0
		.amdhsa_system_sgpr_workgroup_info 0
		.amdhsa_system_vgpr_workitem_id 0
		.amdhsa_next_free_vgpr 27
		.amdhsa_next_free_sgpr 13
		.amdhsa_reserve_vcc 1
		.amdhsa_reserve_flat_scratch 0
		.amdhsa_float_round_mode_32 0
		.amdhsa_float_round_mode_16_64 0
		.amdhsa_float_denorm_mode_32 3
		.amdhsa_float_denorm_mode_16_64 3
		.amdhsa_dx10_clamp 1
		.amdhsa_ieee_mode 1
		.amdhsa_fp16_overflow 0
		.amdhsa_workgroup_processor_mode 1
		.amdhsa_memory_ordered 1
		.amdhsa_forward_progress 1
		.amdhsa_shared_vgpr_count 0
		.amdhsa_exception_fp_ieee_invalid_op 0
		.amdhsa_exception_fp_denorm_src 0
		.amdhsa_exception_fp_ieee_div_zero 0
		.amdhsa_exception_fp_ieee_overflow 0
		.amdhsa_exception_fp_ieee_underflow 0
		.amdhsa_exception_fp_ieee_inexact 0
		.amdhsa_exception_int_div_zero 0
	.end_amdhsa_kernel
	.section	.text._Z10sort_pairsILj256ELj32ELj4EaN10test_utils4lessEEvPKT2_PS2_T3_,"axG",@progbits,_Z10sort_pairsILj256ELj32ELj4EaN10test_utils4lessEEvPKT2_PS2_T3_,comdat
.Lfunc_end77:
	.size	_Z10sort_pairsILj256ELj32ELj4EaN10test_utils4lessEEvPKT2_PS2_T3_, .Lfunc_end77-_Z10sort_pairsILj256ELj32ELj4EaN10test_utils4lessEEvPKT2_PS2_T3_
                                        ; -- End function
	.set _Z10sort_pairsILj256ELj32ELj4EaN10test_utils4lessEEvPKT2_PS2_T3_.num_vgpr, 27
	.set _Z10sort_pairsILj256ELj32ELj4EaN10test_utils4lessEEvPKT2_PS2_T3_.num_agpr, 0
	.set _Z10sort_pairsILj256ELj32ELj4EaN10test_utils4lessEEvPKT2_PS2_T3_.numbered_sgpr, 13
	.set _Z10sort_pairsILj256ELj32ELj4EaN10test_utils4lessEEvPKT2_PS2_T3_.num_named_barrier, 0
	.set _Z10sort_pairsILj256ELj32ELj4EaN10test_utils4lessEEvPKT2_PS2_T3_.private_seg_size, 0
	.set _Z10sort_pairsILj256ELj32ELj4EaN10test_utils4lessEEvPKT2_PS2_T3_.uses_vcc, 1
	.set _Z10sort_pairsILj256ELj32ELj4EaN10test_utils4lessEEvPKT2_PS2_T3_.uses_flat_scratch, 0
	.set _Z10sort_pairsILj256ELj32ELj4EaN10test_utils4lessEEvPKT2_PS2_T3_.has_dyn_sized_stack, 0
	.set _Z10sort_pairsILj256ELj32ELj4EaN10test_utils4lessEEvPKT2_PS2_T3_.has_recursion, 0
	.set _Z10sort_pairsILj256ELj32ELj4EaN10test_utils4lessEEvPKT2_PS2_T3_.has_indirect_call, 0
	.section	.AMDGPU.csdata,"",@progbits
; Kernel info:
; codeLenInByte = 4760
; TotalNumSgprs: 15
; NumVgprs: 27
; ScratchSize: 0
; MemoryBound: 0
; FloatMode: 240
; IeeeMode: 1
; LDSByteSize: 1032 bytes/workgroup (compile time only)
; SGPRBlocks: 0
; VGPRBlocks: 3
; NumSGPRsForWavesPerEU: 15
; NumVGPRsForWavesPerEU: 27
; Occupancy: 16
; WaveLimiterHint : 0
; COMPUTE_PGM_RSRC2:SCRATCH_EN: 0
; COMPUTE_PGM_RSRC2:USER_SGPR: 6
; COMPUTE_PGM_RSRC2:TRAP_HANDLER: 0
; COMPUTE_PGM_RSRC2:TGID_X_EN: 1
; COMPUTE_PGM_RSRC2:TGID_Y_EN: 0
; COMPUTE_PGM_RSRC2:TGID_Z_EN: 0
; COMPUTE_PGM_RSRC2:TIDIG_COMP_CNT: 0
	.section	.text._Z19sort_keys_segmentedILj256ELj32ELj4EaN10test_utils4lessEEvPKT2_PS2_PKjT3_,"axG",@progbits,_Z19sort_keys_segmentedILj256ELj32ELj4EaN10test_utils4lessEEvPKT2_PS2_PKjT3_,comdat
	.protected	_Z19sort_keys_segmentedILj256ELj32ELj4EaN10test_utils4lessEEvPKT2_PS2_PKjT3_ ; -- Begin function _Z19sort_keys_segmentedILj256ELj32ELj4EaN10test_utils4lessEEvPKT2_PS2_PKjT3_
	.globl	_Z19sort_keys_segmentedILj256ELj32ELj4EaN10test_utils4lessEEvPKT2_PS2_PKjT3_
	.p2align	8
	.type	_Z19sort_keys_segmentedILj256ELj32ELj4EaN10test_utils4lessEEvPKT2_PS2_PKjT3_,@function
_Z19sort_keys_segmentedILj256ELj32ELj4EaN10test_utils4lessEEvPKT2_PS2_PKjT3_: ; @_Z19sort_keys_segmentedILj256ELj32ELj4EaN10test_utils4lessEEvPKT2_PS2_PKjT3_
; %bb.0:
	s_clause 0x1
	s_load_dwordx2 s[0:1], s[4:5], 0x10
	s_load_dwordx4 s[8:11], s[4:5], 0x0
	v_lshrrev_b32_e32 v6, 5, v0
	v_mov_b32_e32 v1, 0
	v_mov_b32_e32 v7, 0
	;; [unrolled: 1-line block ×3, first 2 shown]
	v_lshl_or_b32 v0, s6, 3, v6
	v_lshlrev_b64 v[2:3], 2, v[0:1]
	v_lshlrev_b32_e32 v0, 7, v0
	s_waitcnt lgkmcnt(0)
	v_add_co_u32 v2, vcc_lo, s0, v2
	v_add_co_ci_u32_e64 v3, null, s1, v3, vcc_lo
	global_load_dword v5, v[2:3], off
	v_mbcnt_lo_u32_b32 v2, -1, 0
	v_lshlrev_b32_e32 v4, 2, v2
	v_add_co_u32 v2, s0, s8, v0
	v_add_co_ci_u32_e64 v3, null, s9, 0, s0
	v_add_co_u32 v2, vcc_lo, v2, v4
	v_add_co_ci_u32_e64 v3, null, 0, v3, vcc_lo
	s_waitcnt vmcnt(0)
	v_cmp_lt_u32_e32 vcc_lo, v4, v5
	s_and_saveexec_b32 s0, vcc_lo
	s_cbranch_execz .LBB78_2
; %bb.1:
	global_load_ubyte v7, v[2:3], off
	v_mov_b32_e32 v8, 0
.LBB78_2:
	s_or_b32 exec_lo, exec_lo, s0
	v_or_b32_e32 v9, 1, v4
	v_mov_b32_e32 v10, v1
	v_cmp_lt_u32_e64 s0, v9, v5
	s_and_saveexec_b32 s1, s0
	s_cbranch_execz .LBB78_4
; %bb.3:
	global_load_ubyte v10, v[2:3], off offset:1
.LBB78_4:
	s_or_b32 exec_lo, exec_lo, s1
	v_or_b32_e32 v11, 2, v4
	v_cmp_lt_u32_e64 s1, v11, v5
	s_and_saveexec_b32 s2, s1
	s_cbranch_execz .LBB78_6
; %bb.5:
	global_load_ubyte v1, v[2:3], off offset:2
.LBB78_6:
	s_or_b32 exec_lo, exec_lo, s2
	v_or_b32_e32 v12, 3, v4
	v_cmp_lt_u32_e64 s2, v12, v5
	s_and_saveexec_b32 s3, s2
	s_cbranch_execz .LBB78_8
; %bb.7:
	global_load_ubyte v8, v[2:3], off offset:3
.LBB78_8:
	s_or_b32 exec_lo, exec_lo, s3
	s_waitcnt vmcnt(0)
	v_perm_b32 v2, v1, v8, 0xc0c0004
	v_mov_b32_e32 v1, 0x7f00
	v_perm_b32 v3, v7, v10, 0xc0c0004
	v_cmp_lt_i32_e64 s3, v9, v5
	v_mov_b32_e32 v8, 0x7f
	v_lshlrev_b32_e32 v2, 16, v2
	v_or_b32_sdwa v7, v7, v1 dst_sel:DWORD dst_unused:UNUSED_PAD src0_sel:BYTE_0 src1_sel:DWORD
	v_cmp_lt_i32_e64 s4, v12, v5
	s_mov_b32 s5, exec_lo
	v_or_b32_e32 v3, v3, v2
	v_or_b32_sdwa v2, v7, v2 dst_sel:DWORD dst_unused:UNUSED_PAD src0_sel:WORD_0 src1_sel:DWORD
	v_mov_b32_e32 v7, 0xffffff00
	v_cndmask_b32_e64 v2, v2, v3, s3
	v_cmp_lt_i32_e64 s3, v11, v5
	v_and_b32_sdwa v7, v2, v7 dst_sel:DWORD dst_unused:UNUSED_PAD src0_sel:WORD_1 src1_sel:DWORD
	v_or_b32_sdwa v7, v7, v8 dst_sel:WORD_1 dst_unused:UNUSED_PAD src0_sel:DWORD src1_sel:DWORD
	v_and_or_b32 v2, 0xffff, v2, v7
	v_cndmask_b32_e64 v3, v2, v3, s3
	v_cmpx_ge_i32_e64 v12, v5
; %bb.9:
	v_mov_b32_e32 v2, 0xff
	v_cmp_lt_i32_e64 s3, v4, v5
	s_andn2_b32 s4, s4, exec_lo
	v_and_b32_sdwa v2, v3, v2 dst_sel:DWORD dst_unused:UNUSED_PAD src0_sel:WORD_1 src1_sel:DWORD
	s_and_b32 s3, s3, exec_lo
	s_or_b32 s4, s4, s3
	v_or_b32_sdwa v1, v2, v1 dst_sel:WORD_1 dst_unused:UNUSED_PAD src0_sel:DWORD src1_sel:DWORD
	v_and_or_b32 v3, 0xffff, v3, v1
; %bb.10:
	s_or_b32 exec_lo, exec_lo, s5
	s_and_saveexec_b32 s5, s4
	s_cbranch_execz .LBB78_14
; %bb.11:
	v_lshrrev_b32_e32 v1, 8, v3
	v_bfe_i32 v2, v3, 0, 8
	v_perm_b32 v7, v3, v3, 0x7060405
	v_bfe_i32 v1, v1, 0, 8
	v_cmp_lt_i16_e64 s3, v1, v2
	v_cndmask_b32_e64 v3, v3, v7, s3
	v_lshrrev_b32_e32 v7, 16, v3
	v_lshrrev_b32_e32 v8, 24, v3
	v_perm_b32 v9, 0, v7, 0xc0c0001
	v_bfe_i32 v8, v8, 0, 8
	v_bfe_i32 v7, v7, 0, 8
	v_lshlrev_b32_e32 v9, 16, v9
	v_min_i16 v10, v8, v7
	v_cmp_lt_i16_e64 s3, v8, v7
	v_max_i16 v7, v8, v7
	v_and_or_b32 v9, 0xffff, v3, v9
	v_lshlrev_b16 v11, 8, v10
	v_cndmask_b32_e64 v3, v3, v9, s3
	v_min_i16 v9, v1, v2
	v_max_i16 v1, v1, v2
	v_or_b32_sdwa v2, v3, v11 dst_sel:DWORD dst_unused:UNUSED_PAD src0_sel:BYTE_0 src1_sel:DWORD
	v_lshlrev_b16 v11, 8, v9
	v_min_i16 v12, v10, v1
	v_perm_b32 v13, v1, v3, 0xc0c0304
	v_cmp_lt_i16_e64 s3, v10, v1
	v_and_b32_e32 v2, 0xffff, v2
	v_cmp_gt_i16_e64 s4, v1, v7
	v_or_b32_sdwa v11, v12, v11 dst_sel:DWORD dst_unused:UNUSED_PAD src0_sel:BYTE_0 src1_sel:DWORD
	v_lshl_or_b32 v2, v13, 16, v2
	v_max_i16 v13, v10, v1
	v_and_b32_e32 v11, 0xffff, v11
	v_cndmask_b32_e64 v2, v3, v2, s3
	v_lshlrev_b16 v3, 8, v13
	v_cmp_lt_i16_e64 s3, v10, v9
	v_and_or_b32 v8, 0xffff0000, v2, v11
	v_or_b32_sdwa v3, v7, v3 dst_sel:WORD_1 dst_unused:UNUSED_PAD src0_sel:BYTE_0 src1_sel:DWORD
	v_cndmask_b32_e64 v1, v12, v9, s3
	v_cndmask_b32_e64 v2, v2, v8, s3
	v_and_or_b32 v3, 0xffff, v2, v3
	v_cndmask_b32_e64 v3, v2, v3, s4
	v_cndmask_b32_e64 v2, v13, v7, s4
	s_mov_b32 s4, exec_lo
	v_cmpx_lt_i16_e64 v2, v1
; %bb.12:
	v_perm_b32 v2, v3, v2, 0xc0c0004
	v_perm_b32 v1, v1, v3, 0xc0c0304
	v_lshl_or_b32 v3, v1, 16, v2
; %bb.13:
	s_or_b32 exec_lo, exec_lo, s4
.LBB78_14:
	s_or_b32 exec_lo, exec_lo, s5
	v_and_b32_e32 v1, 0x78, v4
	v_and_b32_e32 v9, 4, v4
	v_mad_u32_u24 v12, 0x81, v6, v4
	s_mov_b32 s5, 0
	s_mov_b32 s4, exec_lo
	v_min_i32_e32 v7, v5, v1
	v_min_i32_e32 v9, v5, v9
	; wave barrier
	ds_write_b32 v12, v3
	v_add_nc_u32_e32 v1, 4, v7
	; wave barrier
	v_min_i32_e32 v8, v5, v1
	v_add_nc_u32_e32 v1, 4, v8
	v_sub_nc_u32_e32 v11, v8, v7
	v_min_i32_e32 v2, v5, v1
	v_min_i32_e32 v11, v9, v11
	v_sub_nc_u32_e32 v1, v2, v8
	v_sub_nc_u32_e32 v10, v9, v1
	v_cmp_ge_i32_e64 s3, v9, v1
	v_mul_u32_u24_e32 v1, 0x81, v6
	v_cndmask_b32_e64 v10, 0, v10, s3
	v_cmpx_lt_i32_e64 v10, v11
	s_cbranch_execz .LBB78_18
; %bb.15:
	v_add_nc_u32_e32 v3, v1, v7
	v_add3_u32 v6, v1, v8, v9
	.p2align	6
.LBB78_16:                              ; =>This Inner Loop Header: Depth=1
	v_sub_nc_u32_e32 v12, v11, v10
	v_lshrrev_b32_e32 v12, 1, v12
	v_add_nc_u32_e32 v12, v12, v10
	v_add_nc_u32_e32 v13, v3, v12
	v_xad_u32 v14, v12, -1, v6
	v_add_nc_u32_e32 v15, 1, v12
	ds_read_i8 v13, v13
	ds_read_i8 v14, v14
	s_waitcnt lgkmcnt(0)
	v_cmp_lt_i16_e64 s3, v14, v13
	v_cndmask_b32_e64 v11, v11, v12, s3
	v_cndmask_b32_e64 v10, v15, v10, s3
	v_cmp_ge_i32_e64 s3, v10, v11
	s_or_b32 s5, s3, s5
	s_andn2_b32 exec_lo, exec_lo, s5
	s_cbranch_execnz .LBB78_16
; %bb.17:
	s_or_b32 exec_lo, exec_lo, s5
.LBB78_18:
	s_or_b32 exec_lo, exec_lo, s4
	v_add_nc_u32_e32 v6, v8, v9
	v_add_nc_u32_e32 v3, v10, v7
                                        ; implicit-def: $vgpr9
	v_sub_nc_u32_e32 v11, v6, v10
	v_add_nc_u32_e32 v10, v1, v3
	v_cmp_le_i32_e64 s3, v8, v3
	v_add_nc_u32_e32 v12, v1, v11
	v_cmp_gt_i32_e64 s5, v2, v11
	ds_read_u8 v6, v10
	ds_read_u8 v7, v12
	s_waitcnt lgkmcnt(1)
	v_bfe_i32 v6, v6, 0, 8
	s_waitcnt lgkmcnt(0)
	v_bfe_i32 v7, v7, 0, 8
	v_cmp_lt_i16_e64 s4, v7, v6
	s_or_b32 s3, s3, s4
	s_and_b32 s3, s5, s3
	s_xor_b32 s4, s3, -1
	s_and_saveexec_b32 s5, s4
	s_xor_b32 s4, exec_lo, s5
; %bb.19:
	ds_read_u8 v9, v10 offset:1
                                        ; implicit-def: $vgpr12
; %bb.20:
	s_or_saveexec_b32 s4, s4
	v_mov_b32_e32 v10, v7
	s_xor_b32 exec_lo, exec_lo, s4
	s_cbranch_execz .LBB78_22
; %bb.21:
	ds_read_u8 v10, v12 offset:1
	s_waitcnt lgkmcnt(1)
	v_mov_b32_e32 v9, v6
.LBB78_22:
	s_or_b32 exec_lo, exec_lo, s4
	v_add_nc_u32_e32 v12, 1, v3
	v_add_nc_u32_e32 v13, 1, v11
	s_waitcnt lgkmcnt(0)
	v_cmp_lt_i16_sdwa s6, sext(v10), sext(v9) src0_sel:BYTE_0 src1_sel:BYTE_0
	v_cndmask_b32_e64 v12, v12, v3, s3
	v_cndmask_b32_e64 v3, v11, v13, s3
                                        ; implicit-def: $vgpr11
	v_cmp_ge_i32_e64 s4, v12, v8
	v_cmp_lt_i32_e64 s5, v3, v2
	s_or_b32 s4, s4, s6
	s_and_b32 s4, s5, s4
	s_xor_b32 s5, s4, -1
	s_and_saveexec_b32 s6, s5
	s_xor_b32 s5, exec_lo, s6
; %bb.23:
	v_add_nc_u32_e32 v11, v1, v12
	ds_read_u8 v11, v11 offset:1
; %bb.24:
	s_or_saveexec_b32 s5, s5
	v_mov_b32_e32 v13, v10
	s_xor_b32 exec_lo, exec_lo, s5
	s_cbranch_execz .LBB78_26
; %bb.25:
	s_waitcnt lgkmcnt(0)
	v_add_nc_u32_e32 v11, v1, v3
	ds_read_u8 v13, v11 offset:1
	v_mov_b32_e32 v11, v9
.LBB78_26:
	s_or_b32 exec_lo, exec_lo, s5
	v_add_nc_u32_e32 v14, 1, v12
	v_add_nc_u32_e32 v15, 1, v3
	s_waitcnt lgkmcnt(0)
	v_cmp_lt_i16_sdwa s7, sext(v13), sext(v11) src0_sel:BYTE_0 src1_sel:BYTE_0
	v_cndmask_b32_e64 v16, v14, v12, s4
	v_cndmask_b32_e64 v14, v3, v15, s4
                                        ; implicit-def: $vgpr15
	v_cmp_ge_i32_e64 s5, v16, v8
	v_cmp_lt_i32_e64 s6, v14, v2
	s_or_b32 s5, s5, s7
	s_and_b32 s5, s6, s5
	s_xor_b32 s6, s5, -1
	s_and_saveexec_b32 s7, s6
	s_xor_b32 s6, exec_lo, s7
; %bb.27:
	v_add_nc_u32_e32 v3, v1, v16
	ds_read_u8 v15, v3 offset:1
; %bb.28:
	s_or_saveexec_b32 s6, s6
	v_mov_b32_e32 v17, v13
	s_xor_b32 exec_lo, exec_lo, s6
	s_cbranch_execz .LBB78_30
; %bb.29:
	v_add_nc_u32_e32 v3, v1, v14
	s_waitcnt lgkmcnt(0)
	v_mov_b32_e32 v15, v11
	ds_read_u8 v17, v3 offset:1
.LBB78_30:
	s_or_b32 exec_lo, exec_lo, s6
	v_and_b32_e32 v3, 0x70, v4
	v_add_nc_u32_e32 v18, 1, v16
	v_cndmask_b32_e64 v11, v11, v13, s5
	v_add_nc_u32_e32 v13, 1, v14
	v_cndmask_b32_e64 v10, v9, v10, s4
	v_min_i32_e32 v12, v5, v3
	v_cndmask_b32_e64 v9, v18, v16, s5
	v_cndmask_b32_e64 v20, v6, v7, s3
	;; [unrolled: 1-line block ×3, first 2 shown]
	v_and_b32_e32 v6, 12, v4
	v_add_nc_u32_e32 v3, 8, v12
	s_waitcnt lgkmcnt(0)
	v_cmp_lt_i16_sdwa s6, sext(v17), sext(v15) src0_sel:BYTE_0 src1_sel:BYTE_0
	v_cmp_ge_i32_e64 s3, v9, v8
	v_cmp_lt_i32_e64 s4, v13, v2
	v_min_i32_e32 v6, v5, v6
	v_min_i32_e32 v3, v5, v3
	v_add_nc_u32_e32 v2, v1, v4
	s_or_b32 s3, s3, s6
	s_mov_b32 s5, 0
	s_and_b32 s3, s4, s3
	v_add_nc_u32_e32 v19, 8, v3
	v_sub_nc_u32_e32 v13, v3, v12
	v_cndmask_b32_e64 v14, v15, v17, s3
	s_mov_b32 s4, exec_lo
	v_min_i32_e32 v7, v5, v19
	; wave barrier
	ds_write_b8 v2, v20
	ds_write_b8 v2, v10 offset:1
	ds_write_b8 v2, v11 offset:2
	;; [unrolled: 1-line block ×3, first 2 shown]
	; wave barrier
	v_sub_nc_u32_e32 v8, v7, v3
	v_sub_nc_u32_e32 v9, v6, v8
	v_cmp_ge_i32_e64 s3, v6, v8
	v_cndmask_b32_e64 v8, 0, v9, s3
	v_min_i32_e32 v9, v6, v13
	v_cmpx_lt_i32_e64 v8, v9
	s_cbranch_execz .LBB78_34
; %bb.31:
	v_add_nc_u32_e32 v10, v1, v12
	v_add3_u32 v11, v1, v3, v6
	.p2align	6
.LBB78_32:                              ; =>This Inner Loop Header: Depth=1
	v_sub_nc_u32_e32 v13, v9, v8
	v_lshrrev_b32_e32 v13, 1, v13
	v_add_nc_u32_e32 v13, v13, v8
	v_add_nc_u32_e32 v14, v10, v13
	v_xad_u32 v15, v13, -1, v11
	v_add_nc_u32_e32 v16, 1, v13
	ds_read_i8 v14, v14
	ds_read_i8 v15, v15
	s_waitcnt lgkmcnt(0)
	v_cmp_lt_i16_e64 s3, v15, v14
	v_cndmask_b32_e64 v9, v9, v13, s3
	v_cndmask_b32_e64 v8, v16, v8, s3
	v_cmp_ge_i32_e64 s3, v8, v9
	s_or_b32 s5, s3, s5
	s_andn2_b32 exec_lo, exec_lo, s5
	s_cbranch_execnz .LBB78_32
; %bb.33:
	s_or_b32 exec_lo, exec_lo, s5
.LBB78_34:
	s_or_b32 exec_lo, exec_lo, s4
	v_add_nc_u32_e32 v9, v3, v6
	v_add_nc_u32_e32 v6, v8, v12
	v_sub_nc_u32_e32 v12, v9, v8
	v_add_nc_u32_e32 v11, v1, v6
	v_cmp_le_i32_e64 s3, v3, v6
	v_add_nc_u32_e32 v13, v1, v12
	v_cmp_gt_i32_e64 s5, v7, v12
	ds_read_u8 v8, v11
	ds_read_u8 v10, v13
	s_waitcnt lgkmcnt(1)
	v_bfe_i32 v9, v8, 0, 8
	s_waitcnt lgkmcnt(0)
	v_bfe_i32 v10, v10, 0, 8
                                        ; implicit-def: $vgpr8
	v_cmp_lt_i16_e64 s4, v10, v9
	s_or_b32 s3, s3, s4
	s_and_b32 s3, s5, s3
	s_xor_b32 s4, s3, -1
	s_and_saveexec_b32 s5, s4
	s_xor_b32 s4, exec_lo, s5
; %bb.35:
	ds_read_u8 v8, v11 offset:1
                                        ; implicit-def: $vgpr13
; %bb.36:
	s_or_saveexec_b32 s4, s4
	v_mov_b32_e32 v11, v10
	s_xor_b32 exec_lo, exec_lo, s4
	s_cbranch_execz .LBB78_38
; %bb.37:
	ds_read_u8 v11, v13 offset:1
	s_waitcnt lgkmcnt(1)
	v_mov_b32_e32 v8, v9
.LBB78_38:
	s_or_b32 exec_lo, exec_lo, s4
	v_add_nc_u32_e32 v13, 1, v6
	v_add_nc_u32_e32 v14, 1, v12
	s_waitcnt lgkmcnt(0)
	v_cmp_lt_i16_sdwa s6, sext(v11), sext(v8) src0_sel:BYTE_0 src1_sel:BYTE_0
	v_cndmask_b32_e64 v13, v13, v6, s3
	v_cndmask_b32_e64 v6, v12, v14, s3
                                        ; implicit-def: $vgpr12
	v_cmp_ge_i32_e64 s4, v13, v3
	v_cmp_lt_i32_e64 s5, v6, v7
	s_or_b32 s4, s4, s6
	s_and_b32 s4, s5, s4
	s_xor_b32 s5, s4, -1
	s_and_saveexec_b32 s6, s5
	s_xor_b32 s5, exec_lo, s6
; %bb.39:
	v_add_nc_u32_e32 v12, v1, v13
	ds_read_u8 v12, v12 offset:1
; %bb.40:
	s_or_saveexec_b32 s5, s5
	v_mov_b32_e32 v14, v11
	s_xor_b32 exec_lo, exec_lo, s5
	s_cbranch_execz .LBB78_42
; %bb.41:
	s_waitcnt lgkmcnt(0)
	v_add_nc_u32_e32 v12, v1, v6
	ds_read_u8 v14, v12 offset:1
	v_mov_b32_e32 v12, v8
.LBB78_42:
	s_or_b32 exec_lo, exec_lo, s5
	v_add_nc_u32_e32 v15, 1, v13
	v_add_nc_u32_e32 v16, 1, v6
	s_waitcnt lgkmcnt(0)
	v_cmp_lt_i16_sdwa s7, sext(v14), sext(v12) src0_sel:BYTE_0 src1_sel:BYTE_0
	v_cndmask_b32_e64 v17, v15, v13, s4
	v_cndmask_b32_e64 v15, v6, v16, s4
                                        ; implicit-def: $vgpr16
	v_cmp_ge_i32_e64 s5, v17, v3
	v_cmp_lt_i32_e64 s6, v15, v7
	s_or_b32 s5, s5, s7
	s_and_b32 s5, s6, s5
	s_xor_b32 s6, s5, -1
	s_and_saveexec_b32 s7, s6
	s_xor_b32 s6, exec_lo, s7
; %bb.43:
	v_add_nc_u32_e32 v6, v1, v17
	ds_read_u8 v16, v6 offset:1
; %bb.44:
	s_or_saveexec_b32 s6, s6
	v_mov_b32_e32 v18, v14
	s_xor_b32 exec_lo, exec_lo, s6
	s_cbranch_execz .LBB78_46
; %bb.45:
	v_add_nc_u32_e32 v6, v1, v15
	s_waitcnt lgkmcnt(0)
	v_mov_b32_e32 v16, v12
	ds_read_u8 v18, v6 offset:1
.LBB78_46:
	s_or_b32 exec_lo, exec_lo, s6
	v_and_b32_e32 v6, 0x60, v4
	v_cndmask_b32_e64 v12, v12, v14, s5
	v_add_nc_u32_e32 v14, 1, v17
	v_add_nc_u32_e32 v20, 1, v15
	v_cndmask_b32_e64 v21, v8, v11, s4
	v_min_i32_e32 v13, v5, v6
	v_and_b32_e32 v11, 28, v4
	v_cndmask_b32_e64 v14, v14, v17, s5
	v_cndmask_b32_e64 v15, v15, v20, s5
	s_waitcnt lgkmcnt(0)
	v_cmp_lt_i16_sdwa s6, sext(v18), sext(v16) src0_sel:BYTE_0 src1_sel:BYTE_0
	v_add_nc_u32_e32 v6, 16, v13
	v_cndmask_b32_e64 v9, v9, v10, s3
	v_cmp_ge_i32_e64 s4, v14, v3
	v_cmp_lt_i32_e64 s3, v15, v7
	v_min_i32_e32 v11, v5, v11
	v_min_i32_e32 v6, v5, v6
	s_mov_b32 s5, 0
	s_or_b32 s4, s4, s6
	s_and_b32 s3, s3, s4
	v_add_nc_u32_e32 v19, 16, v6
	v_sub_nc_u32_e32 v10, v6, v13
	v_cndmask_b32_e64 v14, v16, v18, s3
	s_mov_b32 s4, exec_lo
	; wave barrier
	v_min_i32_e32 v8, v5, v19
	ds_write_b8 v2, v9
	ds_write_b8 v2, v21 offset:1
	ds_write_b8 v2, v12 offset:2
	;; [unrolled: 1-line block ×3, first 2 shown]
	; wave barrier
	v_sub_nc_u32_e32 v3, v8, v6
	v_sub_nc_u32_e32 v7, v11, v3
	v_cmp_ge_i32_e64 s3, v11, v3
	v_cndmask_b32_e64 v3, 0, v7, s3
	v_min_i32_e32 v7, v11, v10
	v_cmpx_lt_i32_e64 v3, v7
	s_cbranch_execz .LBB78_50
; %bb.47:
	v_add_nc_u32_e32 v9, v1, v13
	v_add3_u32 v10, v1, v6, v11
	.p2align	6
.LBB78_48:                              ; =>This Inner Loop Header: Depth=1
	v_sub_nc_u32_e32 v12, v7, v3
	v_lshrrev_b32_e32 v12, 1, v12
	v_add_nc_u32_e32 v12, v12, v3
	v_add_nc_u32_e32 v14, v9, v12
	v_xad_u32 v15, v12, -1, v10
	v_add_nc_u32_e32 v16, 1, v12
	ds_read_i8 v14, v14
	ds_read_i8 v15, v15
	s_waitcnt lgkmcnt(0)
	v_cmp_lt_i16_e64 s3, v15, v14
	v_cndmask_b32_e64 v7, v7, v12, s3
	v_cndmask_b32_e64 v3, v16, v3, s3
	v_cmp_ge_i32_e64 s3, v3, v7
	s_or_b32 s5, s3, s5
	s_andn2_b32 exec_lo, exec_lo, s5
	s_cbranch_execnz .LBB78_48
; %bb.49:
	s_or_b32 exec_lo, exec_lo, s5
.LBB78_50:
	s_or_b32 exec_lo, exec_lo, s4
	v_add_nc_u32_e32 v9, v6, v11
	v_add_nc_u32_e32 v7, v3, v13
	v_sub_nc_u32_e32 v12, v9, v3
	v_add_nc_u32_e32 v11, v1, v7
	v_cmp_le_i32_e64 s3, v6, v7
	v_add_nc_u32_e32 v13, v1, v12
	v_cmp_gt_i32_e64 s5, v8, v12
	ds_read_u8 v3, v11
	ds_read_u8 v9, v13
	s_waitcnt lgkmcnt(1)
	v_bfe_i32 v3, v3, 0, 8
	s_waitcnt lgkmcnt(0)
	v_bfe_i32 v10, v9, 0, 8
                                        ; implicit-def: $vgpr9
	v_cmp_lt_i16_e64 s4, v10, v3
	s_or_b32 s3, s3, s4
	s_and_b32 s3, s5, s3
	s_xor_b32 s4, s3, -1
	s_and_saveexec_b32 s5, s4
	s_xor_b32 s4, exec_lo, s5
; %bb.51:
	ds_read_u8 v9, v11 offset:1
                                        ; implicit-def: $vgpr13
; %bb.52:
	s_or_saveexec_b32 s4, s4
	v_mov_b32_e32 v11, v10
	s_xor_b32 exec_lo, exec_lo, s4
	s_cbranch_execz .LBB78_54
; %bb.53:
	ds_read_u8 v11, v13 offset:1
	s_waitcnt lgkmcnt(1)
	v_mov_b32_e32 v9, v3
.LBB78_54:
	s_or_b32 exec_lo, exec_lo, s4
	v_add_nc_u32_e32 v13, 1, v7
	v_add_nc_u32_e32 v14, 1, v12
	s_waitcnt lgkmcnt(0)
	v_cmp_lt_i16_sdwa s6, sext(v11), sext(v9) src0_sel:BYTE_0 src1_sel:BYTE_0
	v_cndmask_b32_e64 v13, v13, v7, s3
	v_cndmask_b32_e64 v7, v12, v14, s3
                                        ; implicit-def: $vgpr12
	v_cmp_ge_i32_e64 s4, v13, v6
	v_cmp_lt_i32_e64 s5, v7, v8
	s_or_b32 s4, s4, s6
	s_and_b32 s4, s5, s4
	s_xor_b32 s5, s4, -1
	s_and_saveexec_b32 s6, s5
	s_xor_b32 s5, exec_lo, s6
; %bb.55:
	v_add_nc_u32_e32 v12, v1, v13
	ds_read_u8 v12, v12 offset:1
; %bb.56:
	s_or_saveexec_b32 s5, s5
	v_mov_b32_e32 v14, v11
	s_xor_b32 exec_lo, exec_lo, s5
	s_cbranch_execz .LBB78_58
; %bb.57:
	s_waitcnt lgkmcnt(0)
	v_add_nc_u32_e32 v12, v1, v7
	ds_read_u8 v14, v12 offset:1
	v_mov_b32_e32 v12, v9
.LBB78_58:
	s_or_b32 exec_lo, exec_lo, s5
	v_add_nc_u32_e32 v15, 1, v13
	v_add_nc_u32_e32 v16, 1, v7
	s_waitcnt lgkmcnt(0)
	v_cmp_lt_i16_sdwa s7, sext(v14), sext(v12) src0_sel:BYTE_0 src1_sel:BYTE_0
	v_cndmask_b32_e64 v17, v15, v13, s4
	v_cndmask_b32_e64 v15, v7, v16, s4
                                        ; implicit-def: $vgpr16
	v_cmp_ge_i32_e64 s5, v17, v6
	v_cmp_lt_i32_e64 s6, v15, v8
	s_or_b32 s5, s5, s7
	s_and_b32 s5, s6, s5
	s_xor_b32 s6, s5, -1
	s_and_saveexec_b32 s7, s6
	s_xor_b32 s6, exec_lo, s7
; %bb.59:
	v_add_nc_u32_e32 v7, v1, v17
	ds_read_u8 v16, v7 offset:1
; %bb.60:
	s_or_saveexec_b32 s6, s6
	v_mov_b32_e32 v18, v14
	s_xor_b32 exec_lo, exec_lo, s6
	s_cbranch_execz .LBB78_62
; %bb.61:
	v_add_nc_u32_e32 v7, v1, v15
	s_waitcnt lgkmcnt(0)
	v_mov_b32_e32 v16, v12
	ds_read_u8 v18, v7 offset:1
.LBB78_62:
	s_or_b32 exec_lo, exec_lo, s6
	v_and_b32_e32 v7, 64, v4
	v_cndmask_b32_e64 v12, v12, v14, s5
	v_add_nc_u32_e32 v14, 1, v17
	v_add_nc_u32_e32 v20, 1, v15
	v_cndmask_b32_e64 v21, v9, v11, s4
	v_min_i32_e32 v13, v5, v7
	v_and_b32_e32 v11, 60, v4
	v_cndmask_b32_e64 v14, v14, v17, s5
	v_cndmask_b32_e64 v15, v15, v20, s5
	s_waitcnt lgkmcnt(0)
	v_cmp_lt_i16_sdwa s6, sext(v18), sext(v16) src0_sel:BYTE_0 src1_sel:BYTE_0
	v_add_nc_u32_e32 v7, 32, v13
	v_cndmask_b32_e64 v10, v3, v10, s3
	v_cmp_ge_i32_e64 s4, v14, v6
	v_cmp_lt_i32_e64 s3, v15, v8
	v_min_i32_e32 v11, v5, v11
	v_min_i32_e32 v7, v5, v7
	s_mov_b32 s5, 0
	s_or_b32 s4, s4, s6
	s_and_b32 s3, s3, s4
	v_add_nc_u32_e32 v19, 32, v7
	v_sub_nc_u32_e32 v8, v7, v13
	v_cndmask_b32_e64 v14, v16, v18, s3
	s_mov_b32 s4, exec_lo
	; wave barrier
	v_min_i32_e32 v9, v5, v19
	ds_write_b8 v2, v10
	ds_write_b8 v2, v21 offset:1
	ds_write_b8 v2, v12 offset:2
	;; [unrolled: 1-line block ×3, first 2 shown]
	; wave barrier
	v_sub_nc_u32_e32 v6, v9, v7
	v_sub_nc_u32_e32 v3, v11, v6
	v_cmp_ge_i32_e64 s3, v11, v6
	v_min_i32_e32 v6, v11, v8
	v_cndmask_b32_e64 v3, 0, v3, s3
	v_cmpx_lt_i32_e64 v3, v6
	s_cbranch_execz .LBB78_66
; %bb.63:
	v_add_nc_u32_e32 v8, v1, v13
	v_add3_u32 v10, v1, v7, v11
	.p2align	6
.LBB78_64:                              ; =>This Inner Loop Header: Depth=1
	v_sub_nc_u32_e32 v12, v6, v3
	v_lshrrev_b32_e32 v12, 1, v12
	v_add_nc_u32_e32 v12, v12, v3
	v_add_nc_u32_e32 v14, v8, v12
	v_xad_u32 v15, v12, -1, v10
	v_add_nc_u32_e32 v16, 1, v12
	ds_read_i8 v14, v14
	ds_read_i8 v15, v15
	s_waitcnt lgkmcnt(0)
	v_cmp_lt_i16_e64 s3, v15, v14
	v_cndmask_b32_e64 v6, v6, v12, s3
	v_cndmask_b32_e64 v3, v16, v3, s3
	v_cmp_ge_i32_e64 s3, v3, v6
	s_or_b32 s5, s3, s5
	s_andn2_b32 exec_lo, exec_lo, s5
	s_cbranch_execnz .LBB78_64
; %bb.65:
	s_or_b32 exec_lo, exec_lo, s5
.LBB78_66:
	s_or_b32 exec_lo, exec_lo, s4
	v_add_nc_u32_e32 v6, v7, v11
	v_add_nc_u32_e32 v12, v3, v13
	v_sub_nc_u32_e32 v3, v6, v3
	v_add_nc_u32_e32 v11, v1, v12
	v_cmp_le_i32_e64 s3, v7, v12
	v_add_nc_u32_e32 v13, v1, v3
	v_cmp_gt_i32_e64 s5, v9, v3
	ds_read_u8 v6, v11
	ds_read_u8 v10, v13
	s_waitcnt lgkmcnt(1)
	v_bfe_i32 v8, v6, 0, 8
	s_waitcnt lgkmcnt(0)
	v_bfe_i32 v10, v10, 0, 8
                                        ; implicit-def: $vgpr6
	v_cmp_lt_i16_e64 s4, v10, v8
	s_or_b32 s3, s3, s4
	s_and_b32 s3, s5, s3
	s_xor_b32 s4, s3, -1
	s_and_saveexec_b32 s5, s4
	s_xor_b32 s4, exec_lo, s5
; %bb.67:
	ds_read_u8 v6, v11 offset:1
                                        ; implicit-def: $vgpr13
; %bb.68:
	s_or_saveexec_b32 s4, s4
	v_mov_b32_e32 v11, v10
	s_xor_b32 exec_lo, exec_lo, s4
	s_cbranch_execz .LBB78_70
; %bb.69:
	ds_read_u8 v11, v13 offset:1
	s_waitcnt lgkmcnt(1)
	v_mov_b32_e32 v6, v8
.LBB78_70:
	s_or_b32 exec_lo, exec_lo, s4
	v_add_nc_u32_e32 v13, 1, v12
	v_add_nc_u32_e32 v14, 1, v3
	s_waitcnt lgkmcnt(0)
	v_cmp_lt_i16_sdwa s6, sext(v11), sext(v6) src0_sel:BYTE_0 src1_sel:BYTE_0
	v_cndmask_b32_e64 v13, v13, v12, s3
	v_cndmask_b32_e64 v3, v3, v14, s3
                                        ; implicit-def: $vgpr12
	v_cmp_ge_i32_e64 s4, v13, v7
	v_cmp_lt_i32_e64 s5, v3, v9
	s_or_b32 s4, s4, s6
	s_and_b32 s4, s5, s4
	s_xor_b32 s5, s4, -1
	s_and_saveexec_b32 s6, s5
	s_xor_b32 s5, exec_lo, s6
; %bb.71:
	v_add_nc_u32_e32 v12, v1, v13
	ds_read_u8 v12, v12 offset:1
; %bb.72:
	s_or_saveexec_b32 s5, s5
	v_mov_b32_e32 v14, v11
	s_xor_b32 exec_lo, exec_lo, s5
	s_cbranch_execz .LBB78_74
; %bb.73:
	s_waitcnt lgkmcnt(0)
	v_add_nc_u32_e32 v12, v1, v3
	ds_read_u8 v14, v12 offset:1
	v_mov_b32_e32 v12, v6
.LBB78_74:
	s_or_b32 exec_lo, exec_lo, s5
	v_add_nc_u32_e32 v15, 1, v13
	v_add_nc_u32_e32 v16, 1, v3
	s_waitcnt lgkmcnt(0)
	v_cmp_lt_i16_sdwa s7, sext(v14), sext(v12) src0_sel:BYTE_0 src1_sel:BYTE_0
	v_cndmask_b32_e64 v17, v15, v13, s4
	v_cndmask_b32_e64 v15, v3, v16, s4
                                        ; implicit-def: $vgpr16
	v_cmp_ge_i32_e64 s5, v17, v7
	v_cmp_lt_i32_e64 s6, v15, v9
	s_or_b32 s5, s5, s7
	s_and_b32 s5, s6, s5
	s_xor_b32 s6, s5, -1
	s_and_saveexec_b32 s7, s6
	s_xor_b32 s6, exec_lo, s7
; %bb.75:
	v_add_nc_u32_e32 v3, v1, v17
	ds_read_u8 v16, v3 offset:1
; %bb.76:
	s_or_saveexec_b32 s6, s6
	v_mov_b32_e32 v18, v14
	s_xor_b32 exec_lo, exec_lo, s6
	s_cbranch_execz .LBB78_78
; %bb.77:
	v_add_nc_u32_e32 v3, v1, v15
	s_waitcnt lgkmcnt(0)
	v_mov_b32_e32 v16, v12
	ds_read_u8 v18, v3 offset:1
.LBB78_78:
	s_or_b32 exec_lo, exec_lo, s6
	v_min_i32_e32 v13, 0, v5
	v_add_nc_u32_e32 v19, 1, v17
	v_cndmask_b32_e64 v12, v12, v14, s5
	v_add_nc_u32_e32 v14, 1, v15
	v_cndmask_b32_e64 v11, v6, v11, s4
	;; [unrolled: 2-line block ×3, first 2 shown]
	s_waitcnt lgkmcnt(0)
	v_cmp_lt_i16_sdwa s6, sext(v18), sext(v16) src0_sel:BYTE_0 src1_sel:BYTE_0
	v_cndmask_b32_e64 v14, v15, v14, s5
	v_cndmask_b32_e64 v10, v8, v10, s3
	v_min_i32_e32 v3, v5, v3
	v_cmp_ge_i32_e64 s4, v17, v7
	s_mov_b32 s5, 0
	v_cmp_lt_i32_e64 s3, v14, v9
	v_add_nc_u32_e32 v20, 64, v3
	s_or_b32 s4, s4, s6
	v_sub_nc_u32_e32 v9, v3, v13
	s_and_b32 s3, s3, s4
	s_mov_b32 s4, exec_lo
	v_min_i32_e32 v6, v5, v20
	v_min_i32_e32 v5, v5, v4
	v_cndmask_b32_e64 v14, v16, v18, s3
	; wave barrier
	ds_write_b8 v2, v10
	ds_write_b8 v2, v11 offset:1
	ds_write_b8 v2, v12 offset:2
	;; [unrolled: 1-line block ×3, first 2 shown]
	v_sub_nc_u32_e32 v7, v6, v3
	; wave barrier
	v_sub_nc_u32_e32 v8, v5, v7
	v_cmp_ge_i32_e64 s3, v5, v7
	v_cndmask_b32_e64 v7, 0, v8, s3
	v_min_i32_e32 v8, v5, v9
	v_cmpx_lt_i32_e64 v7, v8
	s_cbranch_execz .LBB78_82
; %bb.79:
	v_add_nc_u32_e32 v2, v1, v13
	v_add3_u32 v9, v1, v3, v5
	.p2align	6
.LBB78_80:                              ; =>This Inner Loop Header: Depth=1
	v_sub_nc_u32_e32 v10, v8, v7
	v_lshrrev_b32_e32 v10, 1, v10
	v_add_nc_u32_e32 v10, v10, v7
	v_add_nc_u32_e32 v11, v2, v10
	v_xad_u32 v12, v10, -1, v9
	v_add_nc_u32_e32 v14, 1, v10
	ds_read_i8 v11, v11
	ds_read_i8 v12, v12
	s_waitcnt lgkmcnt(0)
	v_cmp_lt_i16_e64 s3, v12, v11
	v_cndmask_b32_e64 v8, v8, v10, s3
	v_cndmask_b32_e64 v7, v14, v7, s3
	v_cmp_ge_i32_e64 s3, v7, v8
	s_or_b32 s5, s3, s5
	s_andn2_b32 exec_lo, exec_lo, s5
	s_cbranch_execnz .LBB78_80
; %bb.81:
	s_or_b32 exec_lo, exec_lo, s5
.LBB78_82:
	s_or_b32 exec_lo, exec_lo, s4
	v_add_nc_u32_e32 v2, v3, v5
	v_add_nc_u32_e32 v9, v7, v13
	v_sub_nc_u32_e32 v10, v2, v7
	v_add_nc_u32_e32 v8, v1, v9
	v_cmp_le_i32_e64 s3, v3, v9
                                        ; implicit-def: $vgpr7
	v_add_nc_u32_e32 v11, v1, v10
	v_cmp_gt_i32_e64 s5, v6, v10
	ds_read_u8 v2, v8
	ds_read_u8 v5, v11
	s_waitcnt lgkmcnt(1)
	v_bfe_i32 v2, v2, 0, 8
	s_waitcnt lgkmcnt(0)
	v_bfe_i32 v5, v5, 0, 8
	v_cmp_lt_i16_e64 s4, v5, v2
	s_or_b32 s3, s3, s4
	s_and_b32 s3, s5, s3
	s_xor_b32 s4, s3, -1
	s_and_saveexec_b32 s5, s4
	s_xor_b32 s4, exec_lo, s5
; %bb.83:
	ds_read_u8 v7, v8 offset:1
                                        ; implicit-def: $vgpr11
; %bb.84:
	s_or_saveexec_b32 s4, s4
	v_mov_b32_e32 v8, v5
	s_xor_b32 exec_lo, exec_lo, s4
	s_cbranch_execz .LBB78_86
; %bb.85:
	ds_read_u8 v8, v11 offset:1
	s_waitcnt lgkmcnt(1)
	v_mov_b32_e32 v7, v2
.LBB78_86:
	s_or_b32 exec_lo, exec_lo, s4
	v_add_nc_u32_e32 v11, 1, v9
	v_add_nc_u32_e32 v13, 1, v10
	s_waitcnt lgkmcnt(0)
	v_cmp_lt_i16_sdwa s6, sext(v8), sext(v7) src0_sel:BYTE_0 src1_sel:BYTE_0
	v_cndmask_b32_e64 v12, v11, v9, s3
	v_cndmask_b32_e64 v11, v10, v13, s3
                                        ; implicit-def: $vgpr9
	v_cmp_ge_i32_e64 s4, v12, v3
	v_cmp_lt_i32_e64 s5, v11, v6
	s_or_b32 s4, s4, s6
	s_and_b32 s4, s5, s4
	s_xor_b32 s5, s4, -1
	s_and_saveexec_b32 s6, s5
	s_xor_b32 s5, exec_lo, s6
; %bb.87:
	v_add_nc_u32_e32 v9, v1, v12
	ds_read_u8 v9, v9 offset:1
; %bb.88:
	s_or_saveexec_b32 s5, s5
	v_mov_b32_e32 v10, v8
	s_xor_b32 exec_lo, exec_lo, s5
	s_cbranch_execz .LBB78_90
; %bb.89:
	s_waitcnt lgkmcnt(0)
	v_add_nc_u32_e32 v9, v1, v11
	ds_read_u8 v10, v9 offset:1
	v_mov_b32_e32 v9, v7
.LBB78_90:
	s_or_b32 exec_lo, exec_lo, s5
	v_add_nc_u32_e32 v13, 1, v12
	v_add_nc_u32_e32 v14, 1, v11
	s_waitcnt lgkmcnt(0)
	v_cmp_lt_i16_sdwa s7, sext(v10), sext(v9) src0_sel:BYTE_0 src1_sel:BYTE_0
	v_cndmask_b32_e64 v15, v13, v12, s4
	v_cndmask_b32_e64 v11, v11, v14, s4
                                        ; implicit-def: $vgpr12
                                        ; implicit-def: $vgpr13
	v_cmp_ge_i32_e64 s5, v15, v3
	v_cmp_lt_i32_e64 s6, v11, v6
	s_or_b32 s5, s5, s7
	s_and_b32 s5, s6, s5
	s_xor_b32 s6, s5, -1
	s_and_saveexec_b32 s7, s6
	s_xor_b32 s6, exec_lo, s7
; %bb.91:
	v_add_nc_u32_e32 v1, v1, v15
	v_add_nc_u32_e32 v13, 1, v15
                                        ; implicit-def: $vgpr15
	ds_read_u8 v12, v1 offset:1
                                        ; implicit-def: $vgpr1
; %bb.92:
	s_or_saveexec_b32 s6, s6
	v_mov_b32_e32 v14, v10
	s_xor_b32 exec_lo, exec_lo, s6
	s_cbranch_execz .LBB78_94
; %bb.93:
	v_add_nc_u32_e32 v1, v1, v11
	v_add_nc_u32_e32 v11, 1, v11
	v_mov_b32_e32 v13, v15
	s_waitcnt lgkmcnt(0)
	v_mov_b32_e32 v12, v9
	ds_read_u8 v14, v1 offset:1
.LBB78_94:
	s_or_b32 exec_lo, exec_lo, s6
	v_add_co_u32 v0, s6, s10, v0
	v_add_co_ci_u32_e64 v1, null, s11, 0, s6
	v_add_co_u32 v0, s6, v0, v4
	v_add_co_ci_u32_e64 v1, null, 0, v1, s6
	s_and_saveexec_b32 s6, vcc_lo
	s_cbranch_execnz .LBB78_99
; %bb.95:
	s_or_b32 exec_lo, exec_lo, s6
	s_and_saveexec_b32 s3, s0
	s_cbranch_execnz .LBB78_100
.LBB78_96:
	s_or_b32 exec_lo, exec_lo, s3
	s_and_saveexec_b32 s0, s1
	s_cbranch_execnz .LBB78_101
.LBB78_97:
	s_or_b32 exec_lo, exec_lo, s0
	s_and_saveexec_b32 s0, s2
	s_cbranch_execnz .LBB78_102
.LBB78_98:
	s_endpgm
.LBB78_99:
	v_cndmask_b32_e64 v2, v2, v5, s3
	global_store_byte v[0:1], v2, off
	s_or_b32 exec_lo, exec_lo, s6
	s_and_saveexec_b32 s3, s0
	s_cbranch_execz .LBB78_96
.LBB78_100:
	v_cndmask_b32_e64 v2, v7, v8, s4
	global_store_byte v[0:1], v2, off offset:1
	s_or_b32 exec_lo, exec_lo, s3
	s_and_saveexec_b32 s0, s1
	s_cbranch_execz .LBB78_97
.LBB78_101:
	v_cndmask_b32_e64 v2, v9, v10, s5
	global_store_byte v[0:1], v2, off offset:2
	s_or_b32 exec_lo, exec_lo, s0
	s_and_saveexec_b32 s0, s2
	s_cbranch_execz .LBB78_98
.LBB78_102:
	v_cmp_ge_i32_e32 vcc_lo, v13, v3
	s_waitcnt lgkmcnt(0)
	v_cmp_lt_i16_sdwa s1, sext(v14), sext(v12) src0_sel:BYTE_0 src1_sel:BYTE_0
	v_cmp_lt_i32_e64 s0, v11, v6
	s_or_b32 s1, vcc_lo, s1
	s_and_b32 vcc_lo, s0, s1
	v_cndmask_b32_e32 v2, v12, v14, vcc_lo
	global_store_byte v[0:1], v2, off offset:3
	s_endpgm
	.section	.rodata,"a",@progbits
	.p2align	6, 0x0
	.amdhsa_kernel _Z19sort_keys_segmentedILj256ELj32ELj4EaN10test_utils4lessEEvPKT2_PS2_PKjT3_
		.amdhsa_group_segment_fixed_size 1032
		.amdhsa_private_segment_fixed_size 0
		.amdhsa_kernarg_size 28
		.amdhsa_user_sgpr_count 6
		.amdhsa_user_sgpr_private_segment_buffer 1
		.amdhsa_user_sgpr_dispatch_ptr 0
		.amdhsa_user_sgpr_queue_ptr 0
		.amdhsa_user_sgpr_kernarg_segment_ptr 1
		.amdhsa_user_sgpr_dispatch_id 0
		.amdhsa_user_sgpr_flat_scratch_init 0
		.amdhsa_user_sgpr_private_segment_size 0
		.amdhsa_wavefront_size32 1
		.amdhsa_uses_dynamic_stack 0
		.amdhsa_system_sgpr_private_segment_wavefront_offset 0
		.amdhsa_system_sgpr_workgroup_id_x 1
		.amdhsa_system_sgpr_workgroup_id_y 0
		.amdhsa_system_sgpr_workgroup_id_z 0
		.amdhsa_system_sgpr_workgroup_info 0
		.amdhsa_system_vgpr_workitem_id 0
		.amdhsa_next_free_vgpr 22
		.amdhsa_next_free_sgpr 12
		.amdhsa_reserve_vcc 1
		.amdhsa_reserve_flat_scratch 0
		.amdhsa_float_round_mode_32 0
		.amdhsa_float_round_mode_16_64 0
		.amdhsa_float_denorm_mode_32 3
		.amdhsa_float_denorm_mode_16_64 3
		.amdhsa_dx10_clamp 1
		.amdhsa_ieee_mode 1
		.amdhsa_fp16_overflow 0
		.amdhsa_workgroup_processor_mode 1
		.amdhsa_memory_ordered 1
		.amdhsa_forward_progress 1
		.amdhsa_shared_vgpr_count 0
		.amdhsa_exception_fp_ieee_invalid_op 0
		.amdhsa_exception_fp_denorm_src 0
		.amdhsa_exception_fp_ieee_div_zero 0
		.amdhsa_exception_fp_ieee_overflow 0
		.amdhsa_exception_fp_ieee_underflow 0
		.amdhsa_exception_fp_ieee_inexact 0
		.amdhsa_exception_int_div_zero 0
	.end_amdhsa_kernel
	.section	.text._Z19sort_keys_segmentedILj256ELj32ELj4EaN10test_utils4lessEEvPKT2_PS2_PKjT3_,"axG",@progbits,_Z19sort_keys_segmentedILj256ELj32ELj4EaN10test_utils4lessEEvPKT2_PS2_PKjT3_,comdat
.Lfunc_end78:
	.size	_Z19sort_keys_segmentedILj256ELj32ELj4EaN10test_utils4lessEEvPKT2_PS2_PKjT3_, .Lfunc_end78-_Z19sort_keys_segmentedILj256ELj32ELj4EaN10test_utils4lessEEvPKT2_PS2_PKjT3_
                                        ; -- End function
	.set _Z19sort_keys_segmentedILj256ELj32ELj4EaN10test_utils4lessEEvPKT2_PS2_PKjT3_.num_vgpr, 22
	.set _Z19sort_keys_segmentedILj256ELj32ELj4EaN10test_utils4lessEEvPKT2_PS2_PKjT3_.num_agpr, 0
	.set _Z19sort_keys_segmentedILj256ELj32ELj4EaN10test_utils4lessEEvPKT2_PS2_PKjT3_.numbered_sgpr, 12
	.set _Z19sort_keys_segmentedILj256ELj32ELj4EaN10test_utils4lessEEvPKT2_PS2_PKjT3_.num_named_barrier, 0
	.set _Z19sort_keys_segmentedILj256ELj32ELj4EaN10test_utils4lessEEvPKT2_PS2_PKjT3_.private_seg_size, 0
	.set _Z19sort_keys_segmentedILj256ELj32ELj4EaN10test_utils4lessEEvPKT2_PS2_PKjT3_.uses_vcc, 1
	.set _Z19sort_keys_segmentedILj256ELj32ELj4EaN10test_utils4lessEEvPKT2_PS2_PKjT3_.uses_flat_scratch, 0
	.set _Z19sort_keys_segmentedILj256ELj32ELj4EaN10test_utils4lessEEvPKT2_PS2_PKjT3_.has_dyn_sized_stack, 0
	.set _Z19sort_keys_segmentedILj256ELj32ELj4EaN10test_utils4lessEEvPKT2_PS2_PKjT3_.has_recursion, 0
	.set _Z19sort_keys_segmentedILj256ELj32ELj4EaN10test_utils4lessEEvPKT2_PS2_PKjT3_.has_indirect_call, 0
	.section	.AMDGPU.csdata,"",@progbits
; Kernel info:
; codeLenInByte = 4816
; TotalNumSgprs: 14
; NumVgprs: 22
; ScratchSize: 0
; MemoryBound: 0
; FloatMode: 240
; IeeeMode: 1
; LDSByteSize: 1032 bytes/workgroup (compile time only)
; SGPRBlocks: 0
; VGPRBlocks: 2
; NumSGPRsForWavesPerEU: 14
; NumVGPRsForWavesPerEU: 22
; Occupancy: 16
; WaveLimiterHint : 0
; COMPUTE_PGM_RSRC2:SCRATCH_EN: 0
; COMPUTE_PGM_RSRC2:USER_SGPR: 6
; COMPUTE_PGM_RSRC2:TRAP_HANDLER: 0
; COMPUTE_PGM_RSRC2:TGID_X_EN: 1
; COMPUTE_PGM_RSRC2:TGID_Y_EN: 0
; COMPUTE_PGM_RSRC2:TGID_Z_EN: 0
; COMPUTE_PGM_RSRC2:TIDIG_COMP_CNT: 0
	.section	.text._Z20sort_pairs_segmentedILj256ELj32ELj4EaN10test_utils4lessEEvPKT2_PS2_PKjT3_,"axG",@progbits,_Z20sort_pairs_segmentedILj256ELj32ELj4EaN10test_utils4lessEEvPKT2_PS2_PKjT3_,comdat
	.protected	_Z20sort_pairs_segmentedILj256ELj32ELj4EaN10test_utils4lessEEvPKT2_PS2_PKjT3_ ; -- Begin function _Z20sort_pairs_segmentedILj256ELj32ELj4EaN10test_utils4lessEEvPKT2_PS2_PKjT3_
	.globl	_Z20sort_pairs_segmentedILj256ELj32ELj4EaN10test_utils4lessEEvPKT2_PS2_PKjT3_
	.p2align	8
	.type	_Z20sort_pairs_segmentedILj256ELj32ELj4EaN10test_utils4lessEEvPKT2_PS2_PKjT3_,@function
_Z20sort_pairs_segmentedILj256ELj32ELj4EaN10test_utils4lessEEvPKT2_PS2_PKjT3_: ; @_Z20sort_pairs_segmentedILj256ELj32ELj4EaN10test_utils4lessEEvPKT2_PS2_PKjT3_
; %bb.0:
	s_clause 0x1
	s_load_dwordx2 s[0:1], s[4:5], 0x10
	s_load_dwordx4 s[8:11], s[4:5], 0x0
	v_lshrrev_b32_e32 v6, 5, v0
	v_mov_b32_e32 v1, 0
	v_mov_b32_e32 v8, 0
	;; [unrolled: 1-line block ×3, first 2 shown]
	v_lshl_or_b32 v0, s6, 3, v6
	v_lshlrev_b64 v[2:3], 2, v[0:1]
	v_lshlrev_b32_e32 v0, 7, v0
	s_waitcnt lgkmcnt(0)
	v_add_co_u32 v2, vcc_lo, s0, v2
	v_add_co_ci_u32_e64 v3, null, s1, v3, vcc_lo
	global_load_dword v5, v[2:3], off
	v_mbcnt_lo_u32_b32 v2, -1, 0
	v_lshlrev_b32_e32 v4, 2, v2
	v_add_co_u32 v2, s0, s8, v0
	v_add_co_ci_u32_e64 v3, null, s9, 0, s0
	v_add_co_u32 v2, vcc_lo, v2, v4
	v_add_co_ci_u32_e64 v3, null, 0, v3, vcc_lo
	s_waitcnt vmcnt(0)
	v_cmp_lt_u32_e64 s0, v4, v5
	s_and_saveexec_b32 s1, s0
	s_cbranch_execz .LBB79_2
; %bb.1:
	global_load_ubyte v8, v[2:3], off
	v_mov_b32_e32 v7, 0
.LBB79_2:
	s_or_b32 exec_lo, exec_lo, s1
	v_or_b32_e32 v9, 1, v4
	v_mov_b32_e32 v12, v1
	v_cmp_lt_u32_e64 s1, v9, v5
	s_and_saveexec_b32 s2, s1
	s_cbranch_execz .LBB79_4
; %bb.3:
	global_load_ubyte v12, v[2:3], off offset:1
.LBB79_4:
	s_or_b32 exec_lo, exec_lo, s2
	v_or_b32_e32 v10, 2, v4
	v_cmp_lt_u32_e64 s2, v10, v5
	s_and_saveexec_b32 s3, s2
	s_cbranch_execz .LBB79_6
; %bb.5:
	global_load_ubyte v1, v[2:3], off offset:2
.LBB79_6:
	s_or_b32 exec_lo, exec_lo, s3
	v_or_b32_e32 v11, 3, v4
	v_cmp_lt_u32_e64 s3, v11, v5
	s_and_saveexec_b32 s4, s3
	s_cbranch_execz .LBB79_8
; %bb.7:
	global_load_ubyte v7, v[2:3], off offset:3
.LBB79_8:
	s_or_b32 exec_lo, exec_lo, s4
	s_waitcnt vmcnt(0)
	v_add_nc_u16 v2, v8, 1
	v_mov_b32_e32 v3, 0xffff
	v_perm_b32 v14, v1, v7, 0xc0c0004
	v_add_nc_u16 v1, v1, 1
	v_cmp_lt_i32_e32 vcc_lo, v9, v5
	v_mov_b32_e32 v9, 0xff
	v_and_b32_sdwa v2, v3, v2 dst_sel:DWORD dst_unused:UNUSED_PAD src0_sel:DWORD src1_sel:BYTE_0
	v_lshlrev_b16 v3, 8, v12
	v_perm_b32 v12, v8, v12, 0xc0c0004
	v_lshlrev_b16 v7, 8, v7
	v_cmp_lt_i32_e64 s5, v11, v5
	v_cndmask_b32_e64 v13, 0, v2, s0
	s_mov_b32 s4, exec_lo
	v_or_b32_e32 v2, v3, v13
	v_add_nc_u16 v2, 0x100, v2
	v_and_b32_e32 v3, 0xffff, v2
	v_mov_b32_e32 v2, 0x7f00
	v_cndmask_b32_e64 v3, v13, v3, s1
	v_lshlrev_b32_e32 v13, 16, v14
	v_or_b32_sdwa v8, v8, v2 dst_sel:DWORD dst_unused:UNUSED_PAD src0_sel:BYTE_0 src1_sel:DWORD
	v_perm_b32 v1, v1, v3, 0xc0c0304
	v_or_b32_e32 v12, v12, v13
	v_or_b32_sdwa v8, v8, v13 dst_sel:DWORD dst_unused:UNUSED_PAD src0_sel:WORD_0 src1_sel:DWORD
	v_mov_b32_e32 v13, 0xffffff00
	v_lshl_or_b32 v1, v1, 16, v3
	v_cndmask_b32_e32 v8, v8, v12, vcc_lo
	v_cmp_lt_i32_e32 vcc_lo, v10, v5
	v_cndmask_b32_e64 v3, v3, v1, s2
	v_mov_b32_e32 v1, 0x7f
	v_and_b32_sdwa v13, v8, v13 dst_sel:DWORD dst_unused:UNUSED_PAD src0_sel:WORD_1 src1_sel:DWORD
	v_and_b32_sdwa v9, v3, v9 dst_sel:DWORD dst_unused:UNUSED_PAD src0_sel:WORD_1 src1_sel:DWORD
	v_or_b32_sdwa v1, v13, v1 dst_sel:WORD_1 dst_unused:UNUSED_PAD src0_sel:DWORD src1_sel:DWORD
	v_or_b32_e32 v7, v7, v9
	v_and_or_b32 v1, 0xffff, v8, v1
	v_add_nc_u16 v7, 0x100, v7
	v_cndmask_b32_e32 v1, v1, v12, vcc_lo
	v_lshlrev_b32_e32 v8, 16, v7
	v_lshrrev_b32_e32 v12, 24, v1
	v_lshrrev_b32_e32 v9, 16, v1
	;; [unrolled: 1-line block ×3, first 2 shown]
	v_and_or_b32 v10, 0xffff, v3, v8
                                        ; implicit-def: $vgpr8
	v_cmpx_ge_i32_e64 v11, v5
; %bb.9:
	v_or_b32_sdwa v2, v9, v2 dst_sel:WORD_1 dst_unused:UNUSED_PAD src0_sel:BYTE_0 src1_sel:DWORD
	v_cmp_lt_i32_e32 vcc_lo, v4, v5
	v_mov_b32_e32 v12, 0x7f
	s_andn2_b32 s5, s5, exec_lo
	v_and_or_b32 v8, 0xffff, v1, v2
	s_and_b32 s6, vcc_lo, exec_lo
	s_or_b32 s5, s5, s6
; %bb.10:
	s_or_b32 exec_lo, exec_lo, s4
	v_cndmask_b32_e64 v3, v3, v10, s3
	s_and_saveexec_b32 s4, s5
	s_cbranch_execz .LBB79_14
; %bb.11:
	v_perm_b32 v2, v9, v12, 0xc0c0004
	v_perm_b32 v8, v7, v1, 0xc0c0004
	;; [unrolled: 1-line block ×4, first 2 shown]
	v_cmp_lt_i16_sdwa vcc_lo, sext(v7), sext(v1) src0_sel:BYTE_0 src1_sel:BYTE_0
	v_lshlrev_b32_e32 v2, 16, v2
	v_cndmask_b32_e32 v1, v3, v10, vcc_lo
	v_or_b32_e32 v8, v8, v2
	v_or_b32_e32 v2, v9, v2
	v_mov_b32_e32 v10, 0xffffff00
	v_lshrrev_b32_e32 v3, 16, v1
	v_cndmask_b32_e32 v2, v2, v8, vcc_lo
	v_perm_b32 v3, 0, v3, 0xc0c0001
	v_lshrrev_b32_e32 v7, 16, v2
	v_lshrrev_b32_e32 v8, 24, v2
	v_lshlrev_b32_e32 v3, 16, v3
	v_perm_b32 v9, 0, v7, 0xc0c0001
	v_bfe_i32 v8, v8, 0, 8
	v_bfe_i32 v7, v7, 0, 8
	v_and_or_b32 v3, 0xffff, v1, v3
	v_lshlrev_b32_e32 v9, 16, v9
	v_cmp_lt_i16_e32 vcc_lo, v8, v7
	v_and_or_b32 v9, 0xffff, v2, v9
	v_cndmask_b32_e32 v1, v1, v3, vcc_lo
	v_min_i16 v3, v8, v7
	v_cndmask_b32_e32 v2, v2, v9, vcc_lo
	v_lshlrev_b16 v7, 8, v3
	v_and_b32_sdwa v8, v2, v10 dst_sel:DWORD dst_unused:UNUSED_PAD src0_sel:WORD_1 src1_sel:DWORD
	v_lshrrev_b32_e32 v9, 8, v2
	v_perm_b32 v10, v1, v1, 0x7050604
	v_or_b32_sdwa v7, v2, v7 dst_sel:DWORD dst_unused:UNUSED_PAD src0_sel:BYTE_0 src1_sel:DWORD
	v_or_b32_sdwa v8, v2, v8 dst_sel:WORD_1 dst_unused:UNUSED_PAD src0_sel:BYTE_1 src1_sel:DWORD
	v_bfe_i32 v9, v9, 0, 8
	v_or_b32_sdwa v7, v7, v8 dst_sel:DWORD dst_unused:UNUSED_PAD src0_sel:WORD_0 src1_sel:DWORD
	v_cmp_lt_i16_e32 vcc_lo, v3, v9
	v_min_i16 v3, v3, v9
	v_cndmask_b32_e32 v2, v2, v7, vcc_lo
	v_cndmask_b32_e32 v1, v1, v10, vcc_lo
	v_lshlrev_b16 v7, 8, v2
	v_perm_b32 v8, 0, v1, 0xc0c0001
	v_cmp_lt_i16_sdwa vcc_lo, v3, sext(v2) src0_sel:DWORD src1_sel:BYTE_0
	v_or_b32_sdwa v7, v3, v7 dst_sel:DWORD dst_unused:UNUSED_PAD src0_sel:BYTE_0 src1_sel:DWORD
	v_and_or_b32 v8, 0xffff0000, v1, v8
	v_and_b32_e32 v7, 0xffff, v7
	v_cndmask_b32_e32 v1, v1, v8, vcc_lo
	v_and_or_b32 v7, 0xffff0000, v2, v7
	v_lshrrev_b32_e32 v3, 16, v1
	v_cndmask_b32_e32 v2, v2, v7, vcc_lo
	v_perm_b32 v3, 0, v3, 0xc0c0001
	v_lshrrev_b32_e32 v7, 16, v2
	v_lshrrev_b32_e32 v8, 24, v2
	v_lshlrev_b32_e32 v3, 16, v3
	v_perm_b32 v9, 0, v7, 0xc0c0001
	v_bfe_i32 v10, v8, 0, 8
	v_bfe_i32 v7, v7, 0, 8
	v_and_or_b32 v3, 0xffff, v1, v3
	v_lshlrev_b32_e32 v8, 16, v9
	v_cmp_lt_i16_e32 vcc_lo, v10, v7
	v_and_or_b32 v8, 0xffff, v2, v8
	v_cndmask_b32_e32 v3, v1, v3, vcc_lo
	v_min_i16 v1, v10, v7
	v_cndmask_b32_e32 v8, v2, v8, vcc_lo
	v_lshrrev_b32_e32 v2, 8, v8
	v_cmp_lt_i16_sdwa s6, v1, sext(v2) src0_sel:DWORD src1_sel:BYTE_0
	s_and_saveexec_b32 s5, s6
; %bb.12:
	v_perm_b32 v8, v8, v1, 0x7050004
	v_perm_b32 v3, v3, v3, 0x7050604
; %bb.13:
	s_or_b32 exec_lo, exec_lo, s5
.LBB79_14:
	s_or_b32 exec_lo, exec_lo, s4
	v_and_b32_e32 v1, 0x78, v4
	v_and_b32_e32 v10, 4, v4
	v_mad_u32_u24 v13, 0x81, v6, v4
	s_mov_b32 s5, 0
	s_mov_b32 s4, exec_lo
	v_min_i32_e32 v9, v5, v1
	v_min_i32_e32 v10, v5, v10
	; wave barrier
	ds_write_b32 v13, v8
	v_add_nc_u32_e32 v1, 4, v9
	; wave barrier
	v_min_i32_e32 v2, v5, v1
	v_add_nc_u32_e32 v1, 4, v2
	v_sub_nc_u32_e32 v12, v2, v9
	v_min_i32_e32 v7, v5, v1
	v_min_i32_e32 v12, v10, v12
	v_sub_nc_u32_e32 v1, v7, v2
	v_sub_nc_u32_e32 v11, v10, v1
	v_cmp_ge_i32_e32 vcc_lo, v10, v1
	v_mul_u32_u24_e32 v1, 0x81, v6
	v_cndmask_b32_e32 v11, 0, v11, vcc_lo
	v_cmpx_lt_i32_e64 v11, v12
	s_cbranch_execz .LBB79_18
; %bb.15:
	v_add_nc_u32_e32 v6, v1, v9
	v_add3_u32 v8, v1, v2, v10
	.p2align	6
.LBB79_16:                              ; =>This Inner Loop Header: Depth=1
	v_sub_nc_u32_e32 v13, v12, v11
	v_lshrrev_b32_e32 v13, 1, v13
	v_add_nc_u32_e32 v13, v13, v11
	v_add_nc_u32_e32 v14, v6, v13
	v_xad_u32 v15, v13, -1, v8
	v_add_nc_u32_e32 v16, 1, v13
	ds_read_i8 v14, v14
	ds_read_i8 v15, v15
	s_waitcnt lgkmcnt(0)
	v_cmp_lt_i16_e32 vcc_lo, v15, v14
	v_cndmask_b32_e32 v12, v12, v13, vcc_lo
	v_cndmask_b32_e32 v11, v16, v11, vcc_lo
	v_cmp_ge_i32_e32 vcc_lo, v11, v12
	s_or_b32 s5, vcc_lo, s5
	s_andn2_b32 exec_lo, exec_lo, s5
	s_cbranch_execnz .LBB79_16
; %bb.17:
	s_or_b32 exec_lo, exec_lo, s5
.LBB79_18:
	s_or_b32 exec_lo, exec_lo, s4
	v_add_nc_u32_e32 v8, v2, v10
	v_add_nc_u32_e32 v6, v11, v9
                                        ; implicit-def: $vgpr13
	v_sub_nc_u32_e32 v8, v8, v11
	v_add_nc_u32_e32 v10, v1, v6
	v_cmp_le_i32_e32 vcc_lo, v2, v6
	v_add_nc_u32_e32 v9, v1, v8
	v_cmp_gt_i32_e64 s5, v7, v8
	ds_read_u8 v11, v10
	ds_read_u8 v12, v9
	s_waitcnt lgkmcnt(1)
	v_bfe_i32 v11, v11, 0, 8
	s_waitcnt lgkmcnt(0)
	v_bfe_i32 v12, v12, 0, 8
	v_cmp_lt_i16_e64 s4, v12, v11
	s_or_b32 s4, vcc_lo, s4
	s_and_b32 vcc_lo, s5, s4
	s_xor_b32 s4, vcc_lo, -1
	s_and_saveexec_b32 s5, s4
	s_xor_b32 s4, exec_lo, s5
; %bb.19:
	ds_read_u8 v13, v10 offset:1
                                        ; implicit-def: $vgpr9
; %bb.20:
	s_or_saveexec_b32 s4, s4
	v_mov_b32_e32 v14, v12
	s_xor_b32 exec_lo, exec_lo, s4
	s_cbranch_execz .LBB79_22
; %bb.21:
	ds_read_u8 v14, v9 offset:1
	s_waitcnt lgkmcnt(1)
	v_mov_b32_e32 v13, v11
.LBB79_22:
	s_or_b32 exec_lo, exec_lo, s4
	v_add_nc_u32_e32 v9, 1, v6
	v_add_nc_u32_e32 v10, 1, v8
	s_waitcnt lgkmcnt(0)
	v_cmp_lt_i16_sdwa s6, sext(v14), sext(v13) src0_sel:BYTE_0 src1_sel:BYTE_0
                                        ; implicit-def: $vgpr15
	v_cndmask_b32_e32 v9, v9, v6, vcc_lo
	v_cndmask_b32_e32 v10, v8, v10, vcc_lo
	v_cmp_ge_i32_e64 s4, v9, v2
	v_cmp_lt_i32_e64 s5, v10, v7
	s_or_b32 s4, s4, s6
	s_and_b32 s4, s5, s4
	s_xor_b32 s5, s4, -1
	s_and_saveexec_b32 s6, s5
	s_xor_b32 s5, exec_lo, s6
; %bb.23:
	v_add_nc_u32_e32 v15, v1, v9
	ds_read_u8 v15, v15 offset:1
; %bb.24:
	s_or_saveexec_b32 s5, s5
	v_mov_b32_e32 v16, v14
	s_xor_b32 exec_lo, exec_lo, s5
	s_cbranch_execz .LBB79_26
; %bb.25:
	s_waitcnt lgkmcnt(0)
	v_add_nc_u32_e32 v15, v1, v10
	ds_read_u8 v16, v15 offset:1
	v_mov_b32_e32 v15, v13
.LBB79_26:
	s_or_b32 exec_lo, exec_lo, s5
	v_add_nc_u32_e32 v17, 1, v9
	v_add_nc_u32_e32 v18, 1, v10
	s_waitcnt lgkmcnt(0)
	v_cmp_lt_i16_sdwa s7, sext(v16), sext(v15) src0_sel:BYTE_0 src1_sel:BYTE_0
                                        ; implicit-def: $vgpr19
	v_cndmask_b32_e64 v17, v17, v9, s4
	v_cndmask_b32_e64 v18, v10, v18, s4
	v_cmp_ge_i32_e64 s5, v17, v2
	v_cmp_lt_i32_e64 s6, v18, v7
	s_or_b32 s5, s5, s7
	s_and_b32 s5, s6, s5
	s_xor_b32 s6, s5, -1
	s_and_saveexec_b32 s7, s6
	s_xor_b32 s6, exec_lo, s7
; %bb.27:
	v_add_nc_u32_e32 v19, v1, v17
	ds_read_u8 v19, v19 offset:1
; %bb.28:
	s_or_saveexec_b32 s6, s6
	v_mov_b32_e32 v20, v16
	s_xor_b32 exec_lo, exec_lo, s6
	s_cbranch_execz .LBB79_30
; %bb.29:
	s_waitcnt lgkmcnt(0)
	v_add_nc_u32_e32 v19, v1, v18
	ds_read_u8 v20, v19 offset:1
	v_mov_b32_e32 v19, v15
.LBB79_30:
	s_or_b32 exec_lo, exec_lo, s6
	v_add_nc_u32_e32 v21, 1, v17
	v_add_nc_u32_e32 v23, 1, v18
	v_and_b32_e32 v22, 0x70, v4
	v_cndmask_b32_e64 v9, v9, v10, s4
	v_cndmask_b32_e64 v24, v17, v18, s5
	;; [unrolled: 1-line block ×4, first 2 shown]
	v_min_i32_e32 v17, v5, v22
	s_waitcnt lgkmcnt(0)
	v_cmp_lt_i16_sdwa s8, sext(v20), sext(v19) src0_sel:BYTE_0 src1_sel:BYTE_0
	v_cndmask_b32_e32 v8, v6, v8, vcc_lo
	v_cmp_ge_i32_e64 s6, v10, v2
	v_cmp_lt_i32_e64 s7, v18, v7
	v_add_nc_u32_e32 v6, 8, v17
	v_add_nc_u32_e32 v2, v1, v4
	v_add_nc_u32_e32 v8, v1, v8
	s_or_b32 s6, s6, s8
	v_add_nc_u32_e32 v9, v1, v9
	s_and_b32 s6, s7, s6
	v_min_i32_e32 v6, v5, v6
	v_cndmask_b32_e64 v7, v10, v18, s6
	v_and_b32_e32 v10, 12, v4
	; wave barrier
	v_cndmask_b32_e64 v19, v19, v20, s6
	ds_write_b32 v2, v3
	v_add_nc_u32_e32 v3, 8, v6
	v_add_nc_u32_e32 v20, v1, v24
	;; [unrolled: 1-line block ×3, first 2 shown]
	; wave barrier
	v_min_i32_e32 v18, v5, v10
	ds_read_u8 v7, v8
	ds_read_u8 v8, v9
	;; [unrolled: 1-line block ×4, first 2 shown]
	v_min_i32_e32 v3, v5, v3
	v_cndmask_b32_e64 v15, v15, v16, s5
	v_cndmask_b32_e64 v13, v13, v14, s4
	v_sub_nc_u32_e32 v16, v6, v17
	v_cndmask_b32_e32 v20, v11, v12, vcc_lo
	v_sub_nc_u32_e32 v22, v3, v6
	s_mov_b32 s5, 0
	s_mov_b32 s4, exec_lo
	v_min_i32_e32 v12, v18, v16
	v_sub_nc_u32_e32 v14, v18, v22
	v_cmp_ge_i32_e32 vcc_lo, v18, v22
	; wave barrier
	ds_write_b8 v2, v20
	ds_write_b8 v2, v13 offset:1
	ds_write_b8 v2, v15 offset:2
	;; [unrolled: 1-line block ×3, first 2 shown]
	; wave barrier
	v_cndmask_b32_e32 v11, 0, v14, vcc_lo
	v_cmpx_lt_i32_e64 v11, v12
	s_cbranch_execz .LBB79_34
; %bb.31:
	v_add_nc_u32_e32 v13, v1, v17
	v_add3_u32 v14, v1, v6, v18
	.p2align	6
.LBB79_32:                              ; =>This Inner Loop Header: Depth=1
	v_sub_nc_u32_e32 v15, v12, v11
	v_lshrrev_b32_e32 v15, 1, v15
	v_add_nc_u32_e32 v15, v15, v11
	v_add_nc_u32_e32 v16, v13, v15
	v_xad_u32 v19, v15, -1, v14
	v_add_nc_u32_e32 v20, 1, v15
	ds_read_i8 v16, v16
	ds_read_i8 v19, v19
	s_waitcnt lgkmcnt(0)
	v_cmp_lt_i16_e32 vcc_lo, v19, v16
	v_cndmask_b32_e32 v12, v12, v15, vcc_lo
	v_cndmask_b32_e32 v11, v20, v11, vcc_lo
	v_cmp_ge_i32_e32 vcc_lo, v11, v12
	s_or_b32 s5, vcc_lo, s5
	s_andn2_b32 exec_lo, exec_lo, s5
	s_cbranch_execnz .LBB79_32
; %bb.33:
	s_or_b32 exec_lo, exec_lo, s5
.LBB79_34:
	s_or_b32 exec_lo, exec_lo, s4
	v_add_nc_u32_e32 v12, v6, v18
	v_add_nc_u32_e32 v14, v11, v17
                                        ; implicit-def: $vgpr13
	v_sub_nc_u32_e32 v16, v12, v11
	v_add_nc_u32_e32 v15, v1, v14
	v_cmp_le_i32_e32 vcc_lo, v6, v14
	v_add_nc_u32_e32 v17, v1, v16
	v_cmp_gt_i32_e64 s5, v3, v16
	ds_read_u8 v11, v15
	ds_read_u8 v12, v17
	s_waitcnt lgkmcnt(1)
	v_bfe_i32 v11, v11, 0, 8
	s_waitcnt lgkmcnt(0)
	v_bfe_i32 v12, v12, 0, 8
	v_cmp_lt_i16_e64 s4, v12, v11
	s_or_b32 s4, vcc_lo, s4
	s_and_b32 vcc_lo, s5, s4
	s_xor_b32 s4, vcc_lo, -1
	s_and_saveexec_b32 s5, s4
	s_xor_b32 s4, exec_lo, s5
; %bb.35:
	ds_read_u8 v13, v15 offset:1
                                        ; implicit-def: $vgpr17
; %bb.36:
	s_or_saveexec_b32 s4, s4
	v_mov_b32_e32 v15, v12
	s_xor_b32 exec_lo, exec_lo, s4
	s_cbranch_execz .LBB79_38
; %bb.37:
	ds_read_u8 v15, v17 offset:1
	s_waitcnt lgkmcnt(1)
	v_mov_b32_e32 v13, v11
.LBB79_38:
	s_or_b32 exec_lo, exec_lo, s4
	v_add_nc_u32_e32 v17, 1, v14
	v_add_nc_u32_e32 v18, 1, v16
	s_waitcnt lgkmcnt(0)
	v_cmp_lt_i16_sdwa s6, sext(v15), sext(v13) src0_sel:BYTE_0 src1_sel:BYTE_0
	v_cndmask_b32_e32 v19, v17, v14, vcc_lo
	v_cndmask_b32_e32 v20, v16, v18, vcc_lo
                                        ; implicit-def: $vgpr17
	v_cmp_ge_i32_e64 s4, v19, v6
	v_cmp_lt_i32_e64 s5, v20, v3
	s_or_b32 s4, s4, s6
	s_and_b32 s4, s5, s4
	s_xor_b32 s5, s4, -1
	s_and_saveexec_b32 s6, s5
	s_xor_b32 s5, exec_lo, s6
; %bb.39:
	v_add_nc_u32_e32 v17, v1, v19
	ds_read_u8 v17, v17 offset:1
; %bb.40:
	s_or_saveexec_b32 s5, s5
	v_mov_b32_e32 v18, v15
	s_xor_b32 exec_lo, exec_lo, s5
	s_cbranch_execz .LBB79_42
; %bb.41:
	s_waitcnt lgkmcnt(0)
	v_add_nc_u32_e32 v17, v1, v20
	ds_read_u8 v18, v17 offset:1
	v_mov_b32_e32 v17, v13
.LBB79_42:
	s_or_b32 exec_lo, exec_lo, s5
	v_add_nc_u32_e32 v21, 1, v19
	v_add_nc_u32_e32 v22, 1, v20
	s_waitcnt lgkmcnt(0)
	v_cmp_lt_i16_sdwa s7, sext(v18), sext(v17) src0_sel:BYTE_0 src1_sel:BYTE_0
	v_cndmask_b32_e64 v23, v21, v19, s4
	v_cndmask_b32_e64 v21, v20, v22, s4
                                        ; implicit-def: $vgpr22
	v_cmp_ge_i32_e64 s5, v23, v6
	v_cmp_lt_i32_e64 s6, v21, v3
	s_or_b32 s5, s5, s7
	s_and_b32 s5, s6, s5
	s_xor_b32 s6, s5, -1
	s_and_saveexec_b32 s7, s6
	s_xor_b32 s6, exec_lo, s7
; %bb.43:
	v_add_nc_u32_e32 v22, v1, v23
	ds_read_u8 v22, v22 offset:1
; %bb.44:
	s_or_saveexec_b32 s6, s6
	v_mov_b32_e32 v24, v18
	s_xor_b32 exec_lo, exec_lo, s6
	s_cbranch_execz .LBB79_46
; %bb.45:
	s_waitcnt lgkmcnt(0)
	v_add_nc_u32_e32 v22, v1, v21
	ds_read_u8 v24, v22 offset:1
	v_mov_b32_e32 v22, v17
.LBB79_46:
	s_or_b32 exec_lo, exec_lo, s6
	v_add_nc_u32_e32 v25, 1, v23
	v_and_b32_e32 v26, 0x60, v4
	v_add_nc_u32_e32 v27, 1, v21
	v_cndmask_b32_e64 v28, v23, v21, s5
	v_cndmask_b32_e64 v20, v19, v20, s4
	;; [unrolled: 1-line block ×3, first 2 shown]
	v_min_i32_e32 v19, v5, v26
	v_cndmask_b32_e64 v21, v21, v27, s5
	s_waitcnt lgkmcnt(0)
	v_cmp_lt_i16_sdwa s8, sext(v24), sext(v22) src0_sel:BYTE_0 src1_sel:BYTE_0
	v_cndmask_b32_e32 v14, v14, v16, vcc_lo
	v_cmp_ge_i32_e64 s6, v23, v6
	v_add_nc_u32_e32 v6, 16, v19
	v_cmp_lt_i32_e64 s7, v21, v3
	; wave barrier
	s_or_b32 s6, s6, s8
	v_min_i32_e32 v3, v5, v6
	s_and_b32 s6, s7, s6
	ds_write_b8 v2, v7
	ds_write_b8 v2, v8 offset:1
	ds_write_b8 v2, v9 offset:2
	;; [unrolled: 1-line block ×3, first 2 shown]
	v_cndmask_b32_e64 v6, v23, v21, s6
	v_add_nc_u32_e32 v8, v1, v14
	v_add_nc_u32_e32 v7, 16, v3
	v_and_b32_e32 v9, 28, v4
	v_add_nc_u32_e32 v21, v1, v6
	; wave barrier
	v_min_i32_e32 v10, v5, v7
	v_add_nc_u32_e32 v7, v1, v20
	v_add_nc_u32_e32 v20, v1, v28
	v_min_i32_e32 v14, v5, v9
	ds_read_u8 v6, v8
	ds_read_u8 v7, v7
	;; [unrolled: 1-line block ×4, first 2 shown]
	v_cndmask_b32_e64 v16, v22, v24, s6
	v_sub_nc_u32_e32 v22, v10, v3
	v_cndmask_b32_e64 v17, v17, v18, s5
	v_cndmask_b32_e64 v13, v13, v15, s4
	v_sub_nc_u32_e32 v18, v3, v19
	v_cndmask_b32_e32 v20, v11, v12, vcc_lo
	v_sub_nc_u32_e32 v15, v14, v22
	v_cmp_ge_i32_e32 vcc_lo, v14, v22
	s_mov_b32 s5, 0
	v_min_i32_e32 v12, v14, v18
	s_mov_b32 s4, exec_lo
	v_cndmask_b32_e32 v11, 0, v15, vcc_lo
	; wave barrier
	ds_write_b8 v2, v20
	ds_write_b8 v2, v13 offset:1
	ds_write_b8 v2, v17 offset:2
	;; [unrolled: 1-line block ×3, first 2 shown]
	; wave barrier
	v_cmpx_lt_i32_e64 v11, v12
	s_cbranch_execz .LBB79_50
; %bb.47:
	v_add_nc_u32_e32 v13, v1, v19
	v_add3_u32 v15, v1, v3, v14
	.p2align	6
.LBB79_48:                              ; =>This Inner Loop Header: Depth=1
	v_sub_nc_u32_e32 v16, v12, v11
	v_lshrrev_b32_e32 v16, 1, v16
	v_add_nc_u32_e32 v16, v16, v11
	v_add_nc_u32_e32 v17, v13, v16
	v_xad_u32 v18, v16, -1, v15
	v_add_nc_u32_e32 v20, 1, v16
	ds_read_i8 v17, v17
	ds_read_i8 v18, v18
	s_waitcnt lgkmcnt(0)
	v_cmp_lt_i16_e32 vcc_lo, v18, v17
	v_cndmask_b32_e32 v12, v12, v16, vcc_lo
	v_cndmask_b32_e32 v11, v20, v11, vcc_lo
	v_cmp_ge_i32_e32 vcc_lo, v11, v12
	s_or_b32 s5, vcc_lo, s5
	s_andn2_b32 exec_lo, exec_lo, s5
	s_cbranch_execnz .LBB79_48
; %bb.49:
	s_or_b32 exec_lo, exec_lo, s5
.LBB79_50:
	s_or_b32 exec_lo, exec_lo, s4
	v_add_nc_u32_e32 v12, v3, v14
	v_add_nc_u32_e32 v14, v11, v19
                                        ; implicit-def: $vgpr13
	v_sub_nc_u32_e32 v16, v12, v11
	v_add_nc_u32_e32 v15, v1, v14
	v_cmp_le_i32_e32 vcc_lo, v3, v14
	v_add_nc_u32_e32 v17, v1, v16
	v_cmp_gt_i32_e64 s5, v10, v16
	ds_read_u8 v11, v15
	ds_read_u8 v12, v17
	s_waitcnt lgkmcnt(1)
	v_bfe_i32 v11, v11, 0, 8
	s_waitcnt lgkmcnt(0)
	v_bfe_i32 v12, v12, 0, 8
	v_cmp_lt_i16_e64 s4, v12, v11
	s_or_b32 s4, vcc_lo, s4
	s_and_b32 vcc_lo, s5, s4
	s_xor_b32 s4, vcc_lo, -1
	s_and_saveexec_b32 s5, s4
	s_xor_b32 s4, exec_lo, s5
; %bb.51:
	ds_read_u8 v13, v15 offset:1
                                        ; implicit-def: $vgpr17
; %bb.52:
	s_or_saveexec_b32 s4, s4
	v_mov_b32_e32 v15, v12
	s_xor_b32 exec_lo, exec_lo, s4
	s_cbranch_execz .LBB79_54
; %bb.53:
	ds_read_u8 v15, v17 offset:1
	s_waitcnt lgkmcnt(1)
	v_mov_b32_e32 v13, v11
.LBB79_54:
	s_or_b32 exec_lo, exec_lo, s4
	v_add_nc_u32_e32 v17, 1, v14
	v_add_nc_u32_e32 v18, 1, v16
	s_waitcnt lgkmcnt(0)
	v_cmp_lt_i16_sdwa s6, sext(v15), sext(v13) src0_sel:BYTE_0 src1_sel:BYTE_0
	v_cndmask_b32_e32 v19, v17, v14, vcc_lo
	v_cndmask_b32_e32 v20, v16, v18, vcc_lo
                                        ; implicit-def: $vgpr17
	v_cmp_ge_i32_e64 s4, v19, v3
	v_cmp_lt_i32_e64 s5, v20, v10
	s_or_b32 s4, s4, s6
	s_and_b32 s4, s5, s4
	s_xor_b32 s5, s4, -1
	s_and_saveexec_b32 s6, s5
	s_xor_b32 s5, exec_lo, s6
; %bb.55:
	v_add_nc_u32_e32 v17, v1, v19
	ds_read_u8 v17, v17 offset:1
; %bb.56:
	s_or_saveexec_b32 s5, s5
	v_mov_b32_e32 v18, v15
	s_xor_b32 exec_lo, exec_lo, s5
	s_cbranch_execz .LBB79_58
; %bb.57:
	s_waitcnt lgkmcnt(0)
	v_add_nc_u32_e32 v17, v1, v20
	ds_read_u8 v18, v17 offset:1
	v_mov_b32_e32 v17, v13
.LBB79_58:
	s_or_b32 exec_lo, exec_lo, s5
	v_add_nc_u32_e32 v21, 1, v19
	v_add_nc_u32_e32 v22, 1, v20
	s_waitcnt lgkmcnt(0)
	v_cmp_lt_i16_sdwa s7, sext(v18), sext(v17) src0_sel:BYTE_0 src1_sel:BYTE_0
	v_cndmask_b32_e64 v23, v21, v19, s4
	v_cndmask_b32_e64 v21, v20, v22, s4
                                        ; implicit-def: $vgpr22
	v_cmp_ge_i32_e64 s5, v23, v3
	v_cmp_lt_i32_e64 s6, v21, v10
	s_or_b32 s5, s5, s7
	s_and_b32 s5, s6, s5
	s_xor_b32 s6, s5, -1
	s_and_saveexec_b32 s7, s6
	s_xor_b32 s6, exec_lo, s7
; %bb.59:
	v_add_nc_u32_e32 v22, v1, v23
	ds_read_u8 v22, v22 offset:1
; %bb.60:
	s_or_saveexec_b32 s6, s6
	v_mov_b32_e32 v24, v18
	s_xor_b32 exec_lo, exec_lo, s6
	s_cbranch_execz .LBB79_62
; %bb.61:
	s_waitcnt lgkmcnt(0)
	v_add_nc_u32_e32 v22, v1, v21
	ds_read_u8 v24, v22 offset:1
	v_mov_b32_e32 v22, v17
.LBB79_62:
	s_or_b32 exec_lo, exec_lo, s6
	v_add_nc_u32_e32 v25, 1, v23
	v_and_b32_e32 v26, 64, v4
	v_add_nc_u32_e32 v27, 1, v21
	v_cndmask_b32_e64 v28, v23, v21, s5
	v_cndmask_b32_e64 v20, v19, v20, s4
	;; [unrolled: 1-line block ×3, first 2 shown]
	v_min_i32_e32 v19, v5, v26
	v_cndmask_b32_e64 v21, v21, v27, s5
	s_waitcnt lgkmcnt(0)
	v_cmp_lt_i16_sdwa s8, sext(v24), sext(v22) src0_sel:BYTE_0 src1_sel:BYTE_0
	v_cndmask_b32_e32 v14, v14, v16, vcc_lo
	v_cmp_ge_i32_e64 s6, v23, v3
	v_add_nc_u32_e32 v3, 32, v19
	v_cmp_lt_i32_e64 s7, v21, v10
	; wave barrier
	s_or_b32 s6, s6, s8
	v_min_i32_e32 v3, v5, v3
	s_and_b32 s6, s7, s6
	ds_write_b8 v2, v6
	ds_write_b8 v2, v7 offset:1
	ds_write_b8 v2, v8 offset:2
	;; [unrolled: 1-line block ×3, first 2 shown]
	v_cndmask_b32_e64 v10, v23, v21, s6
	v_add_nc_u32_e32 v7, v1, v14
	v_add_nc_u32_e32 v6, 32, v3
	v_and_b32_e32 v8, 60, v4
	v_add_nc_u32_e32 v21, v1, v10
	; wave barrier
	v_min_i32_e32 v9, v5, v6
	v_add_nc_u32_e32 v6, v1, v20
	v_add_nc_u32_e32 v20, v1, v28
	v_min_i32_e32 v14, v5, v8
	ds_read_u8 v10, v7
	ds_read_u8 v7, v6
	;; [unrolled: 1-line block ×4, first 2 shown]
	v_cndmask_b32_e64 v16, v22, v24, s6
	v_sub_nc_u32_e32 v22, v9, v3
	v_cndmask_b32_e64 v17, v17, v18, s5
	v_cndmask_b32_e64 v13, v13, v15, s4
	v_sub_nc_u32_e32 v18, v3, v19
	v_cndmask_b32_e32 v20, v11, v12, vcc_lo
	v_sub_nc_u32_e32 v15, v14, v22
	v_cmp_ge_i32_e32 vcc_lo, v14, v22
	s_mov_b32 s5, 0
	v_min_i32_e32 v12, v14, v18
	s_mov_b32 s4, exec_lo
	v_cndmask_b32_e32 v11, 0, v15, vcc_lo
	; wave barrier
	ds_write_b8 v2, v20
	ds_write_b8 v2, v13 offset:1
	ds_write_b8 v2, v17 offset:2
	;; [unrolled: 1-line block ×3, first 2 shown]
	; wave barrier
	v_cmpx_lt_i32_e64 v11, v12
	s_cbranch_execz .LBB79_66
; %bb.63:
	v_add_nc_u32_e32 v13, v1, v19
	v_add3_u32 v15, v1, v3, v14
	.p2align	6
.LBB79_64:                              ; =>This Inner Loop Header: Depth=1
	v_sub_nc_u32_e32 v16, v12, v11
	v_lshrrev_b32_e32 v16, 1, v16
	v_add_nc_u32_e32 v16, v16, v11
	v_add_nc_u32_e32 v17, v13, v16
	v_xad_u32 v18, v16, -1, v15
	v_add_nc_u32_e32 v20, 1, v16
	ds_read_i8 v17, v17
	ds_read_i8 v18, v18
	s_waitcnt lgkmcnt(0)
	v_cmp_lt_i16_e32 vcc_lo, v18, v17
	v_cndmask_b32_e32 v12, v12, v16, vcc_lo
	v_cndmask_b32_e32 v11, v20, v11, vcc_lo
	v_cmp_ge_i32_e32 vcc_lo, v11, v12
	s_or_b32 s5, vcc_lo, s5
	s_andn2_b32 exec_lo, exec_lo, s5
	s_cbranch_execnz .LBB79_64
; %bb.65:
	s_or_b32 exec_lo, exec_lo, s5
.LBB79_66:
	s_or_b32 exec_lo, exec_lo, s4
	v_add_nc_u32_e32 v12, v3, v14
	v_add_nc_u32_e32 v16, v11, v19
                                        ; implicit-def: $vgpr13
	v_sub_nc_u32_e32 v17, v12, v11
	v_add_nc_u32_e32 v14, v1, v16
	v_cmp_le_i32_e32 vcc_lo, v3, v16
	v_add_nc_u32_e32 v15, v1, v17
	v_cmp_gt_i32_e64 s5, v9, v17
	ds_read_u8 v11, v14
	ds_read_u8 v12, v15
	s_waitcnt lgkmcnt(1)
	v_bfe_i32 v11, v11, 0, 8
	s_waitcnt lgkmcnt(0)
	v_bfe_i32 v12, v12, 0, 8
	v_cmp_lt_i16_e64 s4, v12, v11
	s_or_b32 s4, vcc_lo, s4
	s_and_b32 vcc_lo, s5, s4
	s_xor_b32 s4, vcc_lo, -1
	s_and_saveexec_b32 s5, s4
	s_xor_b32 s4, exec_lo, s5
; %bb.67:
	ds_read_u8 v13, v14 offset:1
                                        ; implicit-def: $vgpr15
; %bb.68:
	s_or_saveexec_b32 s4, s4
	v_mov_b32_e32 v14, v12
	s_xor_b32 exec_lo, exec_lo, s4
	s_cbranch_execz .LBB79_70
; %bb.69:
	ds_read_u8 v14, v15 offset:1
	s_waitcnt lgkmcnt(1)
	v_mov_b32_e32 v13, v11
.LBB79_70:
	s_or_b32 exec_lo, exec_lo, s4
	v_add_nc_u32_e32 v15, 1, v16
	v_add_nc_u32_e32 v18, 1, v17
	s_waitcnt lgkmcnt(0)
	v_cmp_lt_i16_sdwa s6, sext(v14), sext(v13) src0_sel:BYTE_0 src1_sel:BYTE_0
	v_cndmask_b32_e32 v19, v15, v16, vcc_lo
	v_cndmask_b32_e32 v20, v17, v18, vcc_lo
                                        ; implicit-def: $vgpr15
	v_cmp_ge_i32_e64 s4, v19, v3
	v_cmp_lt_i32_e64 s5, v20, v9
	s_or_b32 s4, s4, s6
	s_and_b32 s4, s5, s4
	s_xor_b32 s5, s4, -1
	s_and_saveexec_b32 s6, s5
	s_xor_b32 s5, exec_lo, s6
; %bb.71:
	v_add_nc_u32_e32 v15, v1, v19
	ds_read_u8 v15, v15 offset:1
; %bb.72:
	s_or_saveexec_b32 s5, s5
	v_mov_b32_e32 v18, v14
	s_xor_b32 exec_lo, exec_lo, s5
	s_cbranch_execz .LBB79_74
; %bb.73:
	s_waitcnt lgkmcnt(0)
	v_add_nc_u32_e32 v15, v1, v20
	ds_read_u8 v18, v15 offset:1
	v_mov_b32_e32 v15, v13
.LBB79_74:
	s_or_b32 exec_lo, exec_lo, s5
	v_add_nc_u32_e32 v21, 1, v19
	v_add_nc_u32_e32 v22, 1, v20
	s_waitcnt lgkmcnt(0)
	v_cmp_lt_i16_sdwa s7, sext(v18), sext(v15) src0_sel:BYTE_0 src1_sel:BYTE_0
	v_cndmask_b32_e64 v24, v21, v19, s4
	v_cndmask_b32_e64 v21, v20, v22, s4
                                        ; implicit-def: $vgpr22
	v_cmp_ge_i32_e64 s5, v24, v3
	v_cmp_lt_i32_e64 s6, v21, v9
	s_or_b32 s5, s5, s7
	s_and_b32 s5, s6, s5
	s_xor_b32 s6, s5, -1
	s_and_saveexec_b32 s7, s6
	s_xor_b32 s6, exec_lo, s7
; %bb.75:
	v_add_nc_u32_e32 v22, v1, v24
	ds_read_u8 v22, v22 offset:1
; %bb.76:
	s_or_saveexec_b32 s6, s6
	v_mov_b32_e32 v23, v18
	s_xor_b32 exec_lo, exec_lo, s6
	s_cbranch_execz .LBB79_78
; %bb.77:
	s_waitcnt lgkmcnt(0)
	v_add_nc_u32_e32 v22, v1, v21
	ds_read_u8 v23, v22 offset:1
	v_mov_b32_e32 v22, v15
.LBB79_78:
	s_or_b32 exec_lo, exec_lo, s6
	v_add_nc_u32_e32 v25, 1, v24
	v_add_nc_u32_e32 v26, 1, v21
	v_cndmask_b32_e64 v19, v19, v20, s4
	v_cndmask_b32_e32 v17, v16, v17, vcc_lo
	v_min_i32_e32 v16, 0, v5
	v_cndmask_b32_e64 v20, v25, v24, s5
	v_cndmask_b32_e64 v27, v24, v21, s5
	;; [unrolled: 1-line block ×3, first 2 shown]
	s_waitcnt lgkmcnt(0)
	v_cmp_lt_i16_sdwa s8, sext(v23), sext(v22) src0_sel:BYTE_0 src1_sel:BYTE_0
	v_cmp_ge_i32_e64 s6, v20, v3
	v_add_nc_u32_e32 v3, 64, v16
	v_cmp_lt_i32_e64 s7, v21, v9
	; wave barrier
	ds_write_b8 v2, v10
	s_or_b32 s6, s6, s8
	v_min_i32_e32 v9, v5, v3
	s_and_b32 s6, s7, s6
	ds_write_b8 v2, v7 offset:1
	ds_write_b8 v2, v8 offset:2
	v_cndmask_b32_e64 v10, v20, v21, s6
	ds_write_b8 v2, v6 offset:3
	v_add_nc_u32_e32 v3, 64, v9
	v_add_nc_u32_e32 v6, v1, v17
	;; [unrolled: 1-line block ×5, first 2 shown]
	; wave barrier
	v_min_i32_e32 v3, v5, v3
	v_min_i32_e32 v10, v5, v4
	ds_read_u8 v7, v6
	ds_read_u8 v8, v8
	ds_read_u8 v5, v17
	ds_read_u8 v6, v19
	v_cndmask_b32_e64 v15, v15, v18, s5
	v_cndmask_b32_e64 v13, v13, v14, s4
	v_sub_nc_u32_e32 v20, v3, v9
	v_sub_nc_u32_e32 v17, v9, v16
	v_cndmask_b32_e32 v18, v11, v12, vcc_lo
	v_cndmask_b32_e64 v22, v22, v23, s6
	s_mov_b32 s5, 0
	v_sub_nc_u32_e32 v14, v10, v20
	v_cmp_ge_i32_e32 vcc_lo, v10, v20
	v_min_i32_e32 v12, v10, v17
	s_mov_b32 s4, exec_lo
	; wave barrier
	v_cndmask_b32_e32 v11, 0, v14, vcc_lo
	ds_write_b8 v2, v18
	ds_write_b8 v2, v13 offset:1
	ds_write_b8 v2, v15 offset:2
	;; [unrolled: 1-line block ×3, first 2 shown]
	; wave barrier
	v_cmpx_lt_i32_e64 v11, v12
	s_cbranch_execz .LBB79_82
; %bb.79:
	v_add_nc_u32_e32 v13, v1, v16
	v_add3_u32 v14, v1, v9, v10
	.p2align	6
.LBB79_80:                              ; =>This Inner Loop Header: Depth=1
	v_sub_nc_u32_e32 v15, v12, v11
	v_lshrrev_b32_e32 v15, 1, v15
	v_add_nc_u32_e32 v15, v15, v11
	v_add_nc_u32_e32 v17, v13, v15
	v_xad_u32 v18, v15, -1, v14
	v_add_nc_u32_e32 v19, 1, v15
	ds_read_i8 v17, v17
	ds_read_i8 v18, v18
	s_waitcnt lgkmcnt(0)
	v_cmp_lt_i16_e32 vcc_lo, v18, v17
	v_cndmask_b32_e32 v12, v12, v15, vcc_lo
	v_cndmask_b32_e32 v11, v19, v11, vcc_lo
	v_cmp_ge_i32_e32 vcc_lo, v11, v12
	s_or_b32 s5, vcc_lo, s5
	s_andn2_b32 exec_lo, exec_lo, s5
	s_cbranch_execnz .LBB79_80
; %bb.81:
	s_or_b32 exec_lo, exec_lo, s5
.LBB79_82:
	s_or_b32 exec_lo, exec_lo, s4
	v_add_nc_u32_e32 v10, v9, v10
	v_add_nc_u32_e32 v14, v11, v16
                                        ; implicit-def: $vgpr12
	v_sub_nc_u32_e32 v15, v10, v11
	v_add_nc_u32_e32 v13, v1, v14
	v_cmp_le_i32_e32 vcc_lo, v9, v14
	v_add_nc_u32_e32 v16, v1, v15
	v_cmp_gt_i32_e64 s5, v3, v15
	ds_read_u8 v10, v13
	ds_read_u8 v11, v16
	s_waitcnt lgkmcnt(1)
	v_bfe_i32 v10, v10, 0, 8
	s_waitcnt lgkmcnt(0)
	v_bfe_i32 v11, v11, 0, 8
	v_cmp_lt_i16_e64 s4, v11, v10
	s_or_b32 s4, vcc_lo, s4
	s_and_b32 s4, s5, s4
	s_xor_b32 s5, s4, -1
	s_and_saveexec_b32 s6, s5
	s_xor_b32 s5, exec_lo, s6
; %bb.83:
	ds_read_u8 v12, v13 offset:1
                                        ; implicit-def: $vgpr16
; %bb.84:
	s_or_saveexec_b32 s5, s5
	v_mov_b32_e32 v13, v11
	s_xor_b32 exec_lo, exec_lo, s5
	s_cbranch_execz .LBB79_86
; %bb.85:
	ds_read_u8 v13, v16 offset:1
	s_waitcnt lgkmcnt(1)
	v_mov_b32_e32 v12, v10
.LBB79_86:
	s_or_b32 exec_lo, exec_lo, s5
	v_add_nc_u32_e32 v16, 1, v14
	v_add_nc_u32_e32 v17, 1, v15
	s_waitcnt lgkmcnt(0)
	v_cmp_lt_i16_sdwa s6, sext(v13), sext(v12) src0_sel:BYTE_0 src1_sel:BYTE_0
                                        ; implicit-def: $vgpr18
	v_cndmask_b32_e64 v16, v16, v14, s4
	v_cndmask_b32_e64 v17, v15, v17, s4
	v_cmp_ge_i32_e32 vcc_lo, v16, v9
	v_cmp_lt_i32_e64 s5, v17, v3
	s_or_b32 s6, vcc_lo, s6
	s_and_b32 vcc_lo, s5, s6
	s_xor_b32 s5, vcc_lo, -1
	s_and_saveexec_b32 s6, s5
	s_xor_b32 s5, exec_lo, s6
; %bb.87:
	v_add_nc_u32_e32 v18, v1, v16
	ds_read_u8 v18, v18 offset:1
; %bb.88:
	s_or_saveexec_b32 s5, s5
	v_mov_b32_e32 v19, v13
	s_xor_b32 exec_lo, exec_lo, s5
	s_cbranch_execz .LBB79_90
; %bb.89:
	s_waitcnt lgkmcnt(0)
	v_add_nc_u32_e32 v18, v1, v17
	ds_read_u8 v19, v18 offset:1
	v_mov_b32_e32 v18, v12
.LBB79_90:
	s_or_b32 exec_lo, exec_lo, s5
	v_add_nc_u32_e32 v20, 1, v16
	v_add_nc_u32_e32 v21, 1, v17
	s_waitcnt lgkmcnt(0)
	v_cmp_lt_i16_sdwa s7, sext(v19), sext(v18) src0_sel:BYTE_0 src1_sel:BYTE_0
                                        ; implicit-def: $vgpr22
	v_cndmask_b32_e32 v25, v20, v16, vcc_lo
	v_cndmask_b32_e32 v20, v17, v21, vcc_lo
                                        ; implicit-def: $vgpr21
	v_cmp_ge_i32_e64 s5, v25, v9
	v_cmp_lt_i32_e64 s6, v20, v3
	s_or_b32 s5, s5, s7
	s_and_b32 s5, s6, s5
	s_xor_b32 s6, s5, -1
	s_and_saveexec_b32 s7, s6
	s_xor_b32 s6, exec_lo, s7
; %bb.91:
	v_add_nc_u32_e32 v21, v1, v25
	ds_read_u8 v22, v21 offset:1
	v_add_nc_u32_e32 v21, 1, v25
; %bb.92:
	s_or_saveexec_b32 s6, s6
	v_mov_b32_e32 v23, v25
	v_mov_b32_e32 v24, v19
	s_xor_b32 exec_lo, exec_lo, s6
	s_cbranch_execz .LBB79_94
; %bb.93:
	v_add_nc_u32_e32 v21, v1, v20
	s_waitcnt lgkmcnt(0)
	v_add_nc_u32_e32 v22, 1, v20
	v_mov_b32_e32 v23, v20
	ds_read_u8 v24, v21 offset:1
	v_mov_b32_e32 v21, v25
	v_mov_b32_e32 v20, v22
	;; [unrolled: 1-line block ×3, first 2 shown]
.LBB79_94:
	s_or_b32 exec_lo, exec_lo, s6
	v_cndmask_b32_e64 v14, v14, v15, s4
	; wave barrier
	ds_write_b8 v2, v7
	ds_write_b8 v2, v8 offset:1
	ds_write_b8 v2, v5 offset:2
	;; [unrolled: 1-line block ×3, first 2 shown]
	v_add_nc_u32_e32 v7, v1, v14
	; wave barrier
	v_cmp_ge_i32_e64 s6, v21, v9
	s_waitcnt lgkmcnt(4)
	v_cmp_lt_i16_sdwa s8, sext(v24), sext(v22) src0_sel:BYTE_0 src1_sel:BYTE_0
	ds_read_u8 v2, v7
	v_cmp_lt_i32_e64 s7, v20, v3
	v_cndmask_b32_e32 v3, v16, v17, vcc_lo
	v_cndmask_b32_e64 v7, v10, v11, s4
	s_or_b32 s6, s6, s8
	v_cndmask_b32_e64 v8, v18, v19, s5
	s_and_b32 s6, s7, s6
	v_add_nc_u32_e32 v3, v1, v3
	v_cndmask_b32_e64 v5, v22, v24, s6
	v_cndmask_b32_e64 v6, v21, v20, s6
	v_add_nc_u32_e32 v9, v1, v23
	v_add_co_u32 v0, s4, s10, v0
	v_lshlrev_b16 v5, 8, v5
	v_add_nc_u32_e32 v1, v1, v6
	v_cndmask_b32_sdwa v6, v12, v13, vcc_lo dst_sel:BYTE_1 dst_unused:UNUSED_PAD src0_sel:DWORD src1_sel:DWORD
	ds_read_u8 v3, v3
	ds_read_u8 v9, v9
	;; [unrolled: 1-line block ×3, first 2 shown]
	v_or_b32_sdwa v5, v8, v5 dst_sel:WORD_1 dst_unused:UNUSED_PAD src0_sel:BYTE_0 src1_sel:DWORD
	v_add_co_u32 v0, vcc_lo, v0, v4
	s_waitcnt lgkmcnt(3)
	v_add_nc_u16 v2, v2, v7
	v_or_b32_sdwa v7, v7, v6 dst_sel:DWORD dst_unused:UNUSED_PAD src0_sel:BYTE_0 src1_sel:DWORD
	v_or_b32_sdwa v2, v2, v6 dst_sel:DWORD dst_unused:UNUSED_PAD src0_sel:BYTE_0 src1_sel:DWORD
	v_or_b32_sdwa v6, v7, v5 dst_sel:DWORD dst_unused:UNUSED_PAD src0_sel:WORD_0 src1_sel:DWORD
	v_or_b32_sdwa v2, v2, v5 dst_sel:DWORD dst_unused:UNUSED_PAD src0_sel:WORD_0 src1_sel:DWORD
	v_cndmask_b32_e64 v2, v6, v2, s0
	v_lshrrev_b32_e32 v5, 8, v2
	s_waitcnt lgkmcnt(2)
	v_add_nc_u16 v3, v5, v3
	v_mov_b32_e32 v5, 0xff
	v_lshlrev_b16 v3, 8, v3
	v_or_b32_sdwa v3, v2, v3 dst_sel:DWORD dst_unused:UNUSED_PAD src0_sel:BYTE_0 src1_sel:DWORD
	v_and_b32_e32 v3, 0xffff, v3
	v_and_or_b32 v3, 0xffff0000, v2, v3
	v_cndmask_b32_e64 v2, v2, v3, s1
	v_lshrrev_b32_e32 v3, 16, v2
	s_waitcnt lgkmcnt(1)
	v_add_nc_u16 v3, v3, v9
	v_perm_b32 v3, v3, v2, 0xc0c0304
	v_lshlrev_b32_e32 v3, 16, v3
	v_and_or_b32 v3, 0xffff, v2, v3
	v_cndmask_b32_e64 v2, v2, v3, s2
	v_lshrrev_b32_e32 v3, 24, v2
	s_waitcnt lgkmcnt(0)
	v_add_nc_u16 v1, v3, v1
	v_and_b32_sdwa v3, v2, v5 dst_sel:DWORD dst_unused:UNUSED_PAD src0_sel:WORD_1 src1_sel:DWORD
	v_lshlrev_b16 v1, 8, v1
	v_or_b32_sdwa v1, v3, v1 dst_sel:WORD_1 dst_unused:UNUSED_PAD src0_sel:DWORD src1_sel:DWORD
	v_add_co_ci_u32_e64 v3, null, s11, 0, s4
	v_and_or_b32 v1, 0xffff, v2, v1
	v_cndmask_b32_e64 v2, v2, v1, s3
	v_add_co_ci_u32_e64 v1, null, 0, v3, vcc_lo
	s_and_saveexec_b32 s4, s0
	s_cbranch_execnz .LBB79_99
; %bb.95:
	s_or_b32 exec_lo, exec_lo, s4
	s_and_saveexec_b32 s0, s1
	s_cbranch_execnz .LBB79_100
.LBB79_96:
	s_or_b32 exec_lo, exec_lo, s0
	s_and_saveexec_b32 s0, s2
	s_cbranch_execnz .LBB79_101
.LBB79_97:
	s_or_b32 exec_lo, exec_lo, s0
	s_and_saveexec_b32 s0, s3
	s_cbranch_execnz .LBB79_102
.LBB79_98:
	s_endpgm
.LBB79_99:
	global_store_byte v[0:1], v2, off
	s_or_b32 exec_lo, exec_lo, s4
	s_and_saveexec_b32 s0, s1
	s_cbranch_execz .LBB79_96
.LBB79_100:
	v_lshrrev_b32_e32 v3, 8, v2
	global_store_byte v[0:1], v3, off offset:1
	s_or_b32 exec_lo, exec_lo, s0
	s_and_saveexec_b32 s0, s2
	s_cbranch_execz .LBB79_97
.LBB79_101:
	global_store_byte_d16_hi v[0:1], v2, off offset:2
	s_or_b32 exec_lo, exec_lo, s0
	s_and_saveexec_b32 s0, s3
	s_cbranch_execz .LBB79_98
.LBB79_102:
	v_lshrrev_b32_e32 v2, 24, v2
	global_store_byte v[0:1], v2, off offset:3
	s_endpgm
	.section	.rodata,"a",@progbits
	.p2align	6, 0x0
	.amdhsa_kernel _Z20sort_pairs_segmentedILj256ELj32ELj4EaN10test_utils4lessEEvPKT2_PS2_PKjT3_
		.amdhsa_group_segment_fixed_size 1032
		.amdhsa_private_segment_fixed_size 0
		.amdhsa_kernarg_size 28
		.amdhsa_user_sgpr_count 6
		.amdhsa_user_sgpr_private_segment_buffer 1
		.amdhsa_user_sgpr_dispatch_ptr 0
		.amdhsa_user_sgpr_queue_ptr 0
		.amdhsa_user_sgpr_kernarg_segment_ptr 1
		.amdhsa_user_sgpr_dispatch_id 0
		.amdhsa_user_sgpr_flat_scratch_init 0
		.amdhsa_user_sgpr_private_segment_size 0
		.amdhsa_wavefront_size32 1
		.amdhsa_uses_dynamic_stack 0
		.amdhsa_system_sgpr_private_segment_wavefront_offset 0
		.amdhsa_system_sgpr_workgroup_id_x 1
		.amdhsa_system_sgpr_workgroup_id_y 0
		.amdhsa_system_sgpr_workgroup_id_z 0
		.amdhsa_system_sgpr_workgroup_info 0
		.amdhsa_system_vgpr_workitem_id 0
		.amdhsa_next_free_vgpr 29
		.amdhsa_next_free_sgpr 12
		.amdhsa_reserve_vcc 1
		.amdhsa_reserve_flat_scratch 0
		.amdhsa_float_round_mode_32 0
		.amdhsa_float_round_mode_16_64 0
		.amdhsa_float_denorm_mode_32 3
		.amdhsa_float_denorm_mode_16_64 3
		.amdhsa_dx10_clamp 1
		.amdhsa_ieee_mode 1
		.amdhsa_fp16_overflow 0
		.amdhsa_workgroup_processor_mode 1
		.amdhsa_memory_ordered 1
		.amdhsa_forward_progress 1
		.amdhsa_shared_vgpr_count 0
		.amdhsa_exception_fp_ieee_invalid_op 0
		.amdhsa_exception_fp_denorm_src 0
		.amdhsa_exception_fp_ieee_div_zero 0
		.amdhsa_exception_fp_ieee_overflow 0
		.amdhsa_exception_fp_ieee_underflow 0
		.amdhsa_exception_fp_ieee_inexact 0
		.amdhsa_exception_int_div_zero 0
	.end_amdhsa_kernel
	.section	.text._Z20sort_pairs_segmentedILj256ELj32ELj4EaN10test_utils4lessEEvPKT2_PS2_PKjT3_,"axG",@progbits,_Z20sort_pairs_segmentedILj256ELj32ELj4EaN10test_utils4lessEEvPKT2_PS2_PKjT3_,comdat
.Lfunc_end79:
	.size	_Z20sort_pairs_segmentedILj256ELj32ELj4EaN10test_utils4lessEEvPKT2_PS2_PKjT3_, .Lfunc_end79-_Z20sort_pairs_segmentedILj256ELj32ELj4EaN10test_utils4lessEEvPKT2_PS2_PKjT3_
                                        ; -- End function
	.set _Z20sort_pairs_segmentedILj256ELj32ELj4EaN10test_utils4lessEEvPKT2_PS2_PKjT3_.num_vgpr, 29
	.set _Z20sort_pairs_segmentedILj256ELj32ELj4EaN10test_utils4lessEEvPKT2_PS2_PKjT3_.num_agpr, 0
	.set _Z20sort_pairs_segmentedILj256ELj32ELj4EaN10test_utils4lessEEvPKT2_PS2_PKjT3_.numbered_sgpr, 12
	.set _Z20sort_pairs_segmentedILj256ELj32ELj4EaN10test_utils4lessEEvPKT2_PS2_PKjT3_.num_named_barrier, 0
	.set _Z20sort_pairs_segmentedILj256ELj32ELj4EaN10test_utils4lessEEvPKT2_PS2_PKjT3_.private_seg_size, 0
	.set _Z20sort_pairs_segmentedILj256ELj32ELj4EaN10test_utils4lessEEvPKT2_PS2_PKjT3_.uses_vcc, 1
	.set _Z20sort_pairs_segmentedILj256ELj32ELj4EaN10test_utils4lessEEvPKT2_PS2_PKjT3_.uses_flat_scratch, 0
	.set _Z20sort_pairs_segmentedILj256ELj32ELj4EaN10test_utils4lessEEvPKT2_PS2_PKjT3_.has_dyn_sized_stack, 0
	.set _Z20sort_pairs_segmentedILj256ELj32ELj4EaN10test_utils4lessEEvPKT2_PS2_PKjT3_.has_recursion, 0
	.set _Z20sort_pairs_segmentedILj256ELj32ELj4EaN10test_utils4lessEEvPKT2_PS2_PKjT3_.has_indirect_call, 0
	.section	.AMDGPU.csdata,"",@progbits
; Kernel info:
; codeLenInByte = 5608
; TotalNumSgprs: 14
; NumVgprs: 29
; ScratchSize: 0
; MemoryBound: 0
; FloatMode: 240
; IeeeMode: 1
; LDSByteSize: 1032 bytes/workgroup (compile time only)
; SGPRBlocks: 0
; VGPRBlocks: 3
; NumSGPRsForWavesPerEU: 14
; NumVGPRsForWavesPerEU: 29
; Occupancy: 16
; WaveLimiterHint : 0
; COMPUTE_PGM_RSRC2:SCRATCH_EN: 0
; COMPUTE_PGM_RSRC2:USER_SGPR: 6
; COMPUTE_PGM_RSRC2:TRAP_HANDLER: 0
; COMPUTE_PGM_RSRC2:TGID_X_EN: 1
; COMPUTE_PGM_RSRC2:TGID_Y_EN: 0
; COMPUTE_PGM_RSRC2:TGID_Z_EN: 0
; COMPUTE_PGM_RSRC2:TIDIG_COMP_CNT: 0
	.section	.text._Z9sort_keysILj256ELj32ELj8EaN10test_utils4lessEEvPKT2_PS2_T3_,"axG",@progbits,_Z9sort_keysILj256ELj32ELj8EaN10test_utils4lessEEvPKT2_PS2_T3_,comdat
	.protected	_Z9sort_keysILj256ELj32ELj8EaN10test_utils4lessEEvPKT2_PS2_T3_ ; -- Begin function _Z9sort_keysILj256ELj32ELj8EaN10test_utils4lessEEvPKT2_PS2_T3_
	.globl	_Z9sort_keysILj256ELj32ELj8EaN10test_utils4lessEEvPKT2_PS2_T3_
	.p2align	8
	.type	_Z9sort_keysILj256ELj32ELj8EaN10test_utils4lessEEvPKT2_PS2_T3_,@function
_Z9sort_keysILj256ELj32ELj8EaN10test_utils4lessEEvPKT2_PS2_T3_: ; @_Z9sort_keysILj256ELj32ELj8EaN10test_utils4lessEEvPKT2_PS2_T3_
; %bb.0:
	s_load_dwordx4 s[8:11], s[4:5], 0x0
	s_lshl_b32 s7, s6, 11
	v_lshlrev_b32_e32 v1, 3, v0
	v_mov_b32_e32 v14, 0xff
	v_lshrrev_b32_e32 v0, 5, v0
	s_waitcnt lgkmcnt(0)
	s_add_u32 s0, s8, s7
	s_addc_u32 s1, s9, 0
	global_load_dwordx2 v[2:3], v1, s[0:1]
	; wave barrier
	s_waitcnt vmcnt(0)
	v_lshrrev_b32_e32 v4, 8, v2
	v_perm_b32 v5, 0, v2, 0xc0c0001
	v_bfe_i32 v6, v2, 0, 8
	v_lshrrev_b32_e32 v11, 8, v3
	v_bfe_i32 v13, v3, 0, 8
	v_bfe_i32 v4, v4, 0, 8
	v_and_or_b32 v5, 0xffff0000, v2, v5
	v_perm_b32 v15, v3, v3, 0x7060405
	v_bfe_i32 v11, v11, 0, 8
	v_cmp_lt_i16_e32 vcc_lo, v4, v6
	v_min_i16 v16, v11, v13
	v_cndmask_b32_e32 v2, v2, v5, vcc_lo
	v_lshrrev_b32_e32 v5, 16, v2
	v_lshrrev_b32_e32 v7, 24, v2
	v_perm_b32 v8, 0, v5, 0xc0c0001
	v_bfe_i32 v7, v7, 0, 8
	v_bfe_i32 v5, v5, 0, 8
	v_lshlrev_b32_e32 v8, 16, v8
	v_min_i16 v9, v7, v5
	v_cmp_lt_i16_e32 vcc_lo, v7, v5
	v_max_i16 v5, v7, v5
	v_and_or_b32 v8, 0xffff, v2, v8
	v_lshlrev_b16 v10, 8, v9
	v_cndmask_b32_e32 v2, v2, v8, vcc_lo
	v_max_i16 v8, v4, v6
	v_min_i16 v4, v4, v6
	v_max_i16 v6, v11, v13
	v_or_b32_sdwa v10, v2, v10 dst_sel:DWORD dst_unused:UNUSED_PAD src0_sel:BYTE_0 src1_sel:DWORD
	v_perm_b32 v12, v8, v2, 0xc0c0304
	v_cmp_lt_i16_e32 vcc_lo, v9, v8
	v_min_i16 v17, v9, v8
	v_max_i16 v8, v9, v8
	v_and_b32_e32 v10, 0xffff, v10
	v_lshl_or_b32 v10, v12, 16, v10
	v_mov_b32_e32 v12, 0xffffff00
	v_cndmask_b32_e32 v2, v2, v10, vcc_lo
	v_cmp_lt_i16_e32 vcc_lo, v11, v13
	v_lshlrev_b16 v10, 8, v16
	v_and_b32_sdwa v11, v2, v14 dst_sel:DWORD dst_unused:UNUSED_PAD src0_sel:WORD_1 src1_sel:DWORD
	v_cndmask_b32_e32 v3, v3, v15, vcc_lo
	v_lshlrev_b16 v15, 8, v4
	v_cmp_lt_i16_e32 vcc_lo, v16, v5
	v_or_b32_sdwa v10, v11, v10 dst_sel:WORD_1 dst_unused:UNUSED_PAD src0_sel:DWORD src1_sel:DWORD
	v_lshrrev_b32_e32 v13, 24, v3
	v_lshrrev_b32_e32 v18, 16, v3
	v_or_b32_sdwa v15, v17, v15 dst_sel:DWORD dst_unused:UNUSED_PAD src0_sel:BYTE_0 src1_sel:DWORD
	v_perm_b32 v11, v3, v3, 0x6070504
	v_and_or_b32 v7, 0xffff, v2, v10
	v_bfe_i32 v13, v13, 0, 8
	v_bfe_i32 v10, v18, 0, 8
	v_and_b32_e32 v15, 0xffff, v15
	v_lshlrev_b16 v18, 8, v8
	v_cndmask_b32_e32 v2, v2, v7, vcc_lo
	v_min_i16 v7, v16, v5
	v_cmp_lt_i16_e64 s0, v13, v10
	v_cmp_lt_i16_e64 s1, v7, v8
	v_cndmask_b32_e64 v3, v3, v11, s0
	v_and_or_b32 v11, 0xffff0000, v2, v15
	v_cmp_lt_i16_e64 s0, v9, v4
	v_max_i16 v15, v13, v10
	v_min_i16 v10, v13, v10
	v_or_b32_sdwa v13, v7, v18 dst_sel:WORD_1 dst_unused:UNUSED_PAD src0_sel:BYTE_0 src1_sel:DWORD
	v_perm_b32 v9, v5, v3, 0x3020104
	v_cndmask_b32_e64 v2, v2, v11, s0
	v_min_i16 v11, v7, v8
	v_max_i16 v5, v16, v5
	v_cndmask_b32_e64 v21, v17, v4, s0
	v_cndmask_b32_e32 v3, v3, v9, vcc_lo
	v_and_or_b32 v13, 0xffff, v2, v13
	v_lshlrev_b16 v20, 8, v11
	v_lshlrev_b16 v16, 8, v10
	v_min_i16 v19, v10, v6
	v_and_b32_sdwa v24, v3, v12 dst_sel:DWORD dst_unused:UNUSED_PAD src0_sel:WORD_1 src1_sel:DWORD
	v_cndmask_b32_e64 v2, v2, v13, s1
	v_lshlrev_b16 v13, 8, v5
	v_or_b32_sdwa v16, v3, v16 dst_sel:DWORD dst_unused:UNUSED_PAD src0_sel:BYTE_0 src1_sel:DWORD
	v_cmp_lt_i16_e32 vcc_lo, v11, v21
	v_or_b32_sdwa v24, v6, v24 dst_sel:WORD_1 dst_unused:UNUSED_PAD src0_sel:BYTE_0 src1_sel:DWORD
	v_or_b32_sdwa v20, v2, v20 dst_sel:DWORD dst_unused:UNUSED_PAD src0_sel:BYTE_0 src1_sel:DWORD
	v_perm_b32 v9, v21, v2, 0xc0c0304
	v_or_b32_sdwa v13, v19, v13 dst_sel:DWORD dst_unused:UNUSED_PAD src0_sel:BYTE_0 src1_sel:DWORD
	v_min_i16 v22, v19, v5
	v_max_i16 v18, v10, v6
	v_and_b32_e32 v20, 0xffff, v20
	v_cndmask_b32_e64 v4, v4, v17, s0
	v_max_i16 v7, v7, v8
	v_lshlrev_b16 v25, 8, v22
	v_lshlrev_b16 v23, 8, v18
	v_lshl_or_b32 v9, v9, 16, v20
	v_cmp_gt_i16_e64 s0, v6, v15
	v_max_i16 v8, v19, v5
	v_max_i16 v20, v22, v7
	v_or_b32_sdwa v23, v15, v23 dst_sel:WORD_1 dst_unused:UNUSED_PAD src0_sel:BYTE_0 src1_sel:DWORD
	v_cndmask_b32_e32 v2, v2, v9, vcc_lo
	v_and_b32_e32 v9, 0xffff, v13
	v_or_b32_sdwa v13, v16, v24 dst_sel:DWORD dst_unused:UNUSED_PAD src0_sel:WORD_0 src1_sel:DWORD
	v_cmp_lt_i16_e32 vcc_lo, v10, v6
	v_min_i16 v16, v11, v21
	v_and_b32_sdwa v17, v2, v14 dst_sel:DWORD dst_unused:UNUSED_PAD src0_sel:WORD_1 src1_sel:DWORD
	v_lshlrev_b16 v24, 8, v4
	v_max_i16 v11, v11, v21
	v_cndmask_b32_e32 v3, v3, v13, vcc_lo
	v_cmp_lt_i16_e32 vcc_lo, v19, v5
	v_or_b32_sdwa v13, v17, v25 dst_sel:WORD_1 dst_unused:UNUSED_PAD src0_sel:DWORD src1_sel:DWORD
	v_or_b32_sdwa v17, v16, v24 dst_sel:DWORD dst_unused:UNUSED_PAD src0_sel:BYTE_0 src1_sel:DWORD
	v_min_i16 v10, v22, v7
	v_and_or_b32 v9, 0xffff0000, v3, v9
	v_lshlrev_b16 v5, 8, v11
	v_and_or_b32 v13, 0xffff, v2, v13
	v_and_b32_e32 v17, 0xffff, v17
	v_cmp_lt_i16_e64 s1, v16, v4
	v_cndmask_b32_e32 v3, v3, v9, vcc_lo
	v_cmp_lt_i16_e32 vcc_lo, v22, v7
	v_or_b32_sdwa v5, v10, v5 dst_sel:WORD_1 dst_unused:UNUSED_PAD src0_sel:BYTE_0 src1_sel:DWORD
	v_min_i16 v19, v10, v11
	v_lshlrev_b16 v24, 8, v20
	v_max_i16 v9, v16, v4
	v_cndmask_b32_e32 v2, v2, v13, vcc_lo
	v_and_or_b32 v13, 0xffff, v3, v23
	v_lshlrev_b16 v6, 8, v19
	v_min_i16 v4, v16, v4
	v_min_i16 v16, v19, v9
	v_and_or_b32 v17, 0xffff0000, v2, v17
	v_cndmask_b32_e64 v3, v3, v13, s0
	v_max_i16 v13, v19, v9
	v_cndmask_b32_e64 v2, v2, v17, s1
	v_perm_b32 v7, v7, v3, 0x3020104
	v_cndmask_b32_e64 v17, v18, v15, s0
	v_cndmask_b32_e64 v15, v15, v18, s0
	s_mov_b32 s1, exec_lo
	v_and_or_b32 v5, 0xffff, v2, v5
	v_cndmask_b32_e32 v3, v3, v7, vcc_lo
	v_cmp_lt_i16_e32 vcc_lo, v10, v11
	v_lshlrev_b16 v7, 8, v17
	v_min_i16 v18, v17, v8
	v_and_b32_sdwa v21, v3, v12 dst_sel:DWORD dst_unused:UNUSED_PAD src0_sel:WORD_1 src1_sel:DWORD
	v_cndmask_b32_e32 v2, v2, v5, vcc_lo
	v_or_b32_sdwa v7, v3, v7 dst_sel:DWORD dst_unused:UNUSED_PAD src0_sel:BYTE_0 src1_sel:DWORD
	v_or_b32_sdwa v23, v18, v24 dst_sel:DWORD dst_unused:UNUSED_PAD src0_sel:BYTE_0 src1_sel:DWORD
	v_cmp_lt_i16_e32 vcc_lo, v17, v8
	v_or_b32_sdwa v21, v8, v21 dst_sel:WORD_1 dst_unused:UNUSED_PAD src0_sel:BYTE_0 src1_sel:DWORD
	v_or_b32_sdwa v6, v2, v6 dst_sel:DWORD dst_unused:UNUSED_PAD src0_sel:BYTE_0 src1_sel:DWORD
	v_perm_b32 v22, v9, v2, 0xc0c0304
	v_max_i16 v24, v17, v8
	v_lshlrev_b16 v5, 8, v4
	v_or_b32_sdwa v7, v7, v21 dst_sel:DWORD dst_unused:UNUSED_PAD src0_sel:WORD_0 src1_sel:DWORD
	v_and_b32_e32 v6, 0xffff, v6
	v_min_i16 v21, v18, v20
	v_or_b32_sdwa v5, v16, v5 dst_sel:DWORD dst_unused:UNUSED_PAD src0_sel:BYTE_0 src1_sel:DWORD
	v_cndmask_b32_e32 v3, v3, v7, vcc_lo
	v_lshl_or_b32 v6, v22, 16, v6
	v_and_b32_e32 v22, 0xffff, v23
	v_cmp_lt_i16_e32 vcc_lo, v19, v9
	v_lshlrev_b16 v8, 8, v21
	v_and_b32_e32 v5, 0xffff, v5
	v_and_or_b32 v7, 0xffff0000, v3, v22
	v_cndmask_b32_e32 v2, v2, v6, vcc_lo
	v_lshlrev_b16 v6, 8, v24
	v_cmp_lt_i16_e32 vcc_lo, v18, v20
	v_and_b32_sdwa v9, v2, v14 dst_sel:DWORD dst_unused:UNUSED_PAD src0_sel:WORD_1 src1_sel:DWORD
	v_or_b32_sdwa v6, v15, v6 dst_sel:WORD_1 dst_unused:UNUSED_PAD src0_sel:BYTE_0 src1_sel:DWORD
	v_cndmask_b32_e32 v3, v3, v7, vcc_lo
	v_max_i16 v7, v10, v11
	v_cmp_lt_i16_e32 vcc_lo, v15, v24
	v_or_b32_sdwa v8, v9, v8 dst_sel:WORD_1 dst_unused:UNUSED_PAD src0_sel:DWORD src1_sel:DWORD
	v_max_i16 v11, v15, v24
	v_and_or_b32 v6, 0xffff, v3, v6
	v_lshlrev_b16 v9, 8, v13
	v_max_i16 v10, v18, v20
	v_and_or_b32 v8, 0xffff, v2, v8
	v_cndmask_b32_e32 v3, v3, v6, vcc_lo
	v_cmp_lt_i16_e32 vcc_lo, v21, v7
	v_min_i16 v6, v15, v24
	v_perm_b32 v15, v7, v3, 0x3020104
	v_cndmask_b32_e32 v2, v2, v8, vcc_lo
	v_min_i16 v8, v21, v7
	v_max_i16 v7, v21, v7
	v_lshlrev_b16 v17, 8, v6
	v_cndmask_b32_e32 v3, v3, v15, vcc_lo
	v_and_or_b32 v5, 0xffff0000, v2, v5
	v_cmp_lt_i16_e32 vcc_lo, v19, v4
	v_or_b32_sdwa v9, v8, v9 dst_sel:WORD_1 dst_unused:UNUSED_PAD src0_sel:BYTE_0 src1_sel:DWORD
	v_min_i16 v15, v6, v10
	v_and_b32_sdwa v18, v3, v12 dst_sel:DWORD dst_unused:UNUSED_PAD src0_sel:WORD_1 src1_sel:DWORD
	v_lshlrev_b16 v19, 8, v7
	v_cndmask_b32_e32 v2, v2, v5, vcc_lo
	v_min_i16 v5, v8, v13
	v_or_b32_sdwa v17, v3, v17 dst_sel:DWORD dst_unused:UNUSED_PAD src0_sel:BYTE_0 src1_sel:DWORD
	v_or_b32_sdwa v18, v10, v18 dst_sel:WORD_1 dst_unused:UNUSED_PAD src0_sel:BYTE_0 src1_sel:DWORD
	v_cmp_lt_i16_e64 s0, v8, v13
	v_and_or_b32 v9, 0xffff, v2, v9
	v_lshlrev_b16 v20, 8, v5
	v_cndmask_b32_e32 v4, v16, v4, vcc_lo
	v_or_b32_sdwa v17, v17, v18 dst_sel:DWORD dst_unused:UNUSED_PAD src0_sel:WORD_0 src1_sel:DWORD
	v_cmp_lt_i16_e32 vcc_lo, v6, v10
	v_cndmask_b32_e64 v2, v2, v9, s0
	v_or_b32_sdwa v9, v15, v19 dst_sel:DWORD dst_unused:UNUSED_PAD src0_sel:BYTE_0 src1_sel:DWORD
	v_max_i16 v19, v6, v10
	v_min_i16 v18, v15, v7
	v_cndmask_b32_e32 v3, v3, v17, vcc_lo
	v_or_b32_sdwa v16, v2, v20 dst_sel:DWORD dst_unused:UNUSED_PAD src0_sel:BYTE_0 src1_sel:DWORD
	v_and_b32_e32 v9, 0xffff, v9
	v_perm_b32 v6, v4, v2, 0xc0c0304
	v_cmp_lt_i16_e32 vcc_lo, v15, v7
	v_lshlrev_b16 v17, 8, v19
	v_and_b32_e32 v16, 0xffff, v16
	v_and_or_b32 v9, 0xffff0000, v3, v9
	v_max_i16 v8, v8, v13
	v_lshl_or_b32 v6, v6, 16, v16
	v_cndmask_b32_e32 v3, v3, v9, vcc_lo
	v_cmp_lt_i16_e32 vcc_lo, v5, v4
	v_or_b32_sdwa v16, v11, v17 dst_sel:WORD_1 dst_unused:UNUSED_PAD src0_sel:BYTE_0 src1_sel:DWORD
	v_cmp_lt_i16_e64 s0, v18, v8
	v_cndmask_b32_e32 v4, v2, v6, vcc_lo
	v_lshlrev_b16 v2, 8, v18
	v_and_or_b32 v5, 0xffff, v3, v16
	v_cmp_gt_i16_e32 vcc_lo, v10, v11
	v_mov_b32_e32 v10, 0
	v_and_b32_sdwa v6, v4, v14 dst_sel:DWORD dst_unused:UNUSED_PAD src0_sel:WORD_1 src1_sel:DWORD
	v_max_i16 v14, v15, v7
	v_mov_b32_e32 v7, 0
	v_cndmask_b32_e32 v3, v3, v5, vcc_lo
	v_mbcnt_lo_u32_b32 v5, -1, 0
	v_or_b32_sdwa v2, v6, v2 dst_sel:WORD_1 dst_unused:UNUSED_PAD src0_sel:DWORD src1_sel:DWORD
	v_cndmask_b32_e32 v13, v19, v11, vcc_lo
	v_perm_b32 v6, v8, v3, 0x3020104
	v_and_or_b32 v9, 0xffff, v4, v2
	v_lshlrev_b32_e32 v2, 3, v5
	v_cmp_lt_i16_e32 vcc_lo, v13, v14
	v_cndmask_b32_e64 v11, v4, v9, s0
	v_cndmask_b32_e64 v9, v3, v6, s0
	v_and_b32_e32 v5, 0xf0, v2
	v_lshlrev_b16 v3, 8, v13
	s_mov_b32 s0, 0
	v_and_b32_sdwa v6, v9, v12 dst_sel:DWORD dst_unused:UNUSED_PAD src0_sel:WORD_1 src1_sel:DWORD
	v_or_b32_e32 v4, 8, v5
	v_or_b32_sdwa v3, v9, v3 dst_sel:DWORD dst_unused:UNUSED_PAD src0_sel:BYTE_0 src1_sel:DWORD
	v_or_b32_sdwa v8, v14, v6 dst_sel:WORD_1 dst_unused:UNUSED_PAD src0_sel:BYTE_0 src1_sel:DWORD
	v_and_b32_e32 v6, 8, v2
	v_sub_nc_u32_e32 v12, v4, v5
	v_or_b32_sdwa v15, v3, v8 dst_sel:DWORD dst_unused:UNUSED_PAD src0_sel:WORD_0 src1_sel:DWORD
	v_mad_u32_u24 v3, 0x101, v0, v2
	v_min_i32_e32 v8, v6, v12
	v_mul_u32_u24_e32 v0, 0x101, v0
	v_cndmask_b32_e32 v12, v9, v15, vcc_lo
	ds_write_b64 v3, v[11:12]
	; wave barrier
	v_cmpx_lt_i32_e32 0, v8
	s_cbranch_execz .LBB80_4
; %bb.1:
	v_add_nc_u32_e32 v9, v0, v5
	v_add_nc_u32_e32 v10, v9, v6
	.p2align	6
.LBB80_2:                               ; =>This Inner Loop Header: Depth=1
	v_sub_nc_u32_e32 v11, v8, v7
	v_lshrrev_b32_e32 v11, 1, v11
	v_add_nc_u32_e32 v11, v11, v7
	v_add_nc_u32_e32 v12, v9, v11
	v_xad_u32 v13, v11, -1, v10
	v_add_nc_u32_e32 v14, 1, v11
	ds_read_i8 v12, v12
	ds_read_i8 v13, v13 offset:8
	s_waitcnt lgkmcnt(0)
	v_cmp_lt_i16_e32 vcc_lo, v13, v12
	v_cndmask_b32_e32 v8, v8, v11, vcc_lo
	v_cndmask_b32_e32 v7, v14, v7, vcc_lo
	v_cmp_ge_i32_e32 vcc_lo, v7, v8
	s_or_b32 s0, vcc_lo, s0
	s_andn2_b32 exec_lo, exec_lo, s0
	s_cbranch_execnz .LBB80_2
; %bb.3:
	s_or_b32 exec_lo, exec_lo, s0
	v_mov_b32_e32 v10, v7
.LBB80_4:
	s_or_b32 exec_lo, exec_lo, s1
	v_add_nc_u32_e32 v7, v5, v6
	v_add_nc_u32_e32 v9, v10, v5
	;; [unrolled: 1-line block ×4, first 2 shown]
	v_cmp_lt_i32_e32 vcc_lo, 7, v10
	v_sub_nc_u32_e32 v7, v7, v10
	v_add_nc_u32_e32 v13, v0, v9
	v_sub_nc_u32_e32 v11, v11, v10
	v_add_nc_u32_e32 v12, v0, v7
	ds_read_u8 v7, v13
	ds_read_u8 v8, v12 offset:8
	v_cmp_gt_i32_e64 s1, v5, v11
	s_waitcnt lgkmcnt(1)
	v_bfe_i32 v6, v7, 0, 8
	s_waitcnt lgkmcnt(0)
	v_bfe_i32 v7, v8, 0, 8
                                        ; implicit-def: $vgpr8
	v_cmp_lt_i16_e64 s0, v7, v6
	s_or_b32 s0, vcc_lo, s0
	s_and_b32 s0, s1, s0
	s_xor_b32 s1, s0, -1
	s_and_saveexec_b32 s2, s1
	s_xor_b32 s1, exec_lo, s2
; %bb.5:
	ds_read_u8 v8, v13 offset:1
                                        ; implicit-def: $vgpr12
; %bb.6:
	s_or_saveexec_b32 s1, s1
	v_mov_b32_e32 v10, v7
	s_xor_b32 exec_lo, exec_lo, s1
	s_cbranch_execz .LBB80_8
; %bb.7:
	ds_read_u8 v10, v12 offset:9
	s_waitcnt lgkmcnt(1)
	v_mov_b32_e32 v8, v6
.LBB80_8:
	s_or_b32 exec_lo, exec_lo, s1
	v_add_nc_u32_e32 v12, 1, v9
	v_add_nc_u32_e32 v14, 1, v11
	s_waitcnt lgkmcnt(0)
	v_cmp_lt_i16_sdwa s2, sext(v10), sext(v8) src0_sel:BYTE_0 src1_sel:BYTE_0
	v_cndmask_b32_e64 v13, v12, v9, s0
	v_cndmask_b32_e64 v12, v11, v14, s0
                                        ; implicit-def: $vgpr9
	v_cmp_ge_i32_e32 vcc_lo, v13, v4
	v_cmp_lt_i32_e64 s1, v12, v5
	s_or_b32 s2, vcc_lo, s2
	s_and_b32 s1, s1, s2
	s_xor_b32 s2, s1, -1
	s_and_saveexec_b32 s3, s2
	s_xor_b32 s2, exec_lo, s3
; %bb.9:
	v_add_nc_u32_e32 v9, v0, v13
	ds_read_u8 v9, v9 offset:1
; %bb.10:
	s_or_saveexec_b32 s2, s2
	v_mov_b32_e32 v11, v10
	s_xor_b32 exec_lo, exec_lo, s2
	s_cbranch_execz .LBB80_12
; %bb.11:
	s_waitcnt lgkmcnt(0)
	v_add_nc_u32_e32 v9, v0, v12
	ds_read_u8 v11, v9 offset:1
	v_mov_b32_e32 v9, v8
.LBB80_12:
	s_or_b32 exec_lo, exec_lo, s2
	v_add_nc_u32_e32 v14, 1, v13
	v_add_nc_u32_e32 v16, 1, v12
	s_waitcnt lgkmcnt(0)
	v_cmp_lt_i16_sdwa s3, sext(v11), sext(v9) src0_sel:BYTE_0 src1_sel:BYTE_0
	v_cndmask_b32_e64 v15, v14, v13, s1
	v_cndmask_b32_e64 v14, v12, v16, s1
                                        ; implicit-def: $vgpr12
	v_cmp_ge_i32_e32 vcc_lo, v15, v4
	v_cmp_lt_i32_e64 s2, v14, v5
	s_or_b32 s3, vcc_lo, s3
	s_and_b32 s2, s2, s3
	s_xor_b32 s3, s2, -1
	s_and_saveexec_b32 s4, s3
	s_xor_b32 s3, exec_lo, s4
; %bb.13:
	v_add_nc_u32_e32 v12, v0, v15
	ds_read_u8 v12, v12 offset:1
; %bb.14:
	s_or_saveexec_b32 s3, s3
	v_mov_b32_e32 v13, v11
	s_xor_b32 exec_lo, exec_lo, s3
	s_cbranch_execz .LBB80_16
; %bb.15:
	s_waitcnt lgkmcnt(0)
	v_add_nc_u32_e32 v12, v0, v14
	ds_read_u8 v13, v12 offset:1
	v_mov_b32_e32 v12, v9
.LBB80_16:
	s_or_b32 exec_lo, exec_lo, s3
	v_add_nc_u32_e32 v16, 1, v15
	v_add_nc_u32_e32 v18, 1, v14
	s_waitcnt lgkmcnt(0)
	v_cmp_lt_i16_sdwa s4, sext(v13), sext(v12) src0_sel:BYTE_0 src1_sel:BYTE_0
	v_cndmask_b32_e64 v17, v16, v15, s2
	v_cndmask_b32_e64 v16, v14, v18, s2
                                        ; implicit-def: $vgpr14
	v_cmp_ge_i32_e32 vcc_lo, v17, v4
	v_cmp_lt_i32_e64 s3, v16, v5
	s_or_b32 s4, vcc_lo, s4
	s_and_b32 s3, s3, s4
	s_xor_b32 s4, s3, -1
	s_and_saveexec_b32 s5, s4
	s_xor_b32 s4, exec_lo, s5
; %bb.17:
	v_add_nc_u32_e32 v14, v0, v17
	ds_read_u8 v14, v14 offset:1
; %bb.18:
	s_or_saveexec_b32 s4, s4
	v_mov_b32_e32 v15, v13
	s_xor_b32 exec_lo, exec_lo, s4
	s_cbranch_execz .LBB80_20
; %bb.19:
	s_waitcnt lgkmcnt(0)
	v_add_nc_u32_e32 v14, v0, v16
	ds_read_u8 v15, v14 offset:1
	v_mov_b32_e32 v14, v12
.LBB80_20:
	s_or_b32 exec_lo, exec_lo, s4
	v_add_nc_u32_e32 v18, 1, v17
	v_add_nc_u32_e32 v20, 1, v16
	s_waitcnt lgkmcnt(0)
	v_cmp_lt_i16_sdwa s5, sext(v15), sext(v14) src0_sel:BYTE_0 src1_sel:BYTE_0
	v_cndmask_b32_e64 v19, v18, v17, s3
	v_cndmask_b32_e64 v18, v16, v20, s3
                                        ; implicit-def: $vgpr16
	v_cmp_ge_i32_e32 vcc_lo, v19, v4
	v_cmp_lt_i32_e64 s4, v18, v5
	s_or_b32 s5, vcc_lo, s5
	s_and_b32 s4, s4, s5
	s_xor_b32 s5, s4, -1
	s_and_saveexec_b32 s6, s5
	s_xor_b32 s5, exec_lo, s6
; %bb.21:
	v_add_nc_u32_e32 v16, v0, v19
	ds_read_u8 v16, v16 offset:1
; %bb.22:
	s_or_saveexec_b32 s5, s5
	v_mov_b32_e32 v17, v15
	s_xor_b32 exec_lo, exec_lo, s5
	s_cbranch_execz .LBB80_24
; %bb.23:
	s_waitcnt lgkmcnt(0)
	v_add_nc_u32_e32 v16, v0, v18
	ds_read_u8 v17, v16 offset:1
	v_mov_b32_e32 v16, v14
.LBB80_24:
	s_or_b32 exec_lo, exec_lo, s5
	v_add_nc_u32_e32 v20, 1, v19
	v_add_nc_u32_e32 v22, 1, v18
	s_waitcnt lgkmcnt(0)
	v_cmp_lt_i16_sdwa s6, sext(v17), sext(v16) src0_sel:BYTE_0 src1_sel:BYTE_0
	v_cndmask_b32_e64 v21, v20, v19, s4
	v_cndmask_b32_e64 v19, v18, v22, s4
                                        ; implicit-def: $vgpr18
	v_cmp_ge_i32_e32 vcc_lo, v21, v4
	v_cmp_lt_i32_e64 s5, v19, v5
	s_or_b32 s6, vcc_lo, s6
	s_and_b32 vcc_lo, s5, s6
	s_xor_b32 s5, vcc_lo, -1
	s_and_saveexec_b32 s6, s5
	s_xor_b32 s5, exec_lo, s6
; %bb.25:
	v_add_nc_u32_e32 v18, v0, v21
	ds_read_u8 v18, v18 offset:1
; %bb.26:
	s_or_saveexec_b32 s5, s5
	v_mov_b32_e32 v20, v17
	s_xor_b32 exec_lo, exec_lo, s5
	s_cbranch_execz .LBB80_28
; %bb.27:
	s_waitcnt lgkmcnt(0)
	v_add_nc_u32_e32 v18, v0, v19
	ds_read_u8 v20, v18 offset:1
	v_mov_b32_e32 v18, v16
.LBB80_28:
	s_or_b32 exec_lo, exec_lo, s5
	v_add_nc_u32_e32 v22, 1, v21
	v_add_nc_u32_e32 v23, 1, v19
	s_waitcnt lgkmcnt(0)
	v_cmp_lt_i16_sdwa s8, sext(v20), sext(v18) src0_sel:BYTE_0 src1_sel:BYTE_0
	v_cndmask_b32_e32 v22, v22, v21, vcc_lo
	v_cndmask_b32_e32 v23, v19, v23, vcc_lo
                                        ; implicit-def: $vgpr19
	v_cmp_ge_i32_e64 s5, v22, v4
	v_cmp_lt_i32_e64 s6, v23, v5
	s_or_b32 s5, s5, s8
	s_and_b32 s5, s6, s5
	s_xor_b32 s6, s5, -1
	s_and_saveexec_b32 s8, s6
	s_xor_b32 s6, exec_lo, s8
; %bb.29:
	v_add_nc_u32_e32 v19, v0, v22
	ds_read_u8 v19, v19 offset:1
; %bb.30:
	s_or_saveexec_b32 s6, s6
	v_mov_b32_e32 v21, v20
	s_xor_b32 exec_lo, exec_lo, s6
	s_cbranch_execz .LBB80_32
; %bb.31:
	s_waitcnt lgkmcnt(0)
	v_add_nc_u32_e32 v19, v0, v23
	ds_read_u8 v21, v19 offset:1
	v_mov_b32_e32 v19, v18
.LBB80_32:
	s_or_b32 exec_lo, exec_lo, s6
	v_add_nc_u32_e32 v25, 1, v22
	v_add_nc_u32_e32 v24, 1, v23
	v_cndmask_b32_e64 v18, v18, v20, s5
	v_cndmask_b32_e64 v8, v8, v10, s1
	;; [unrolled: 1-line block ×5, first 2 shown]
	s_waitcnt lgkmcnt(0)
	v_cmp_lt_i16_sdwa s5, sext(v21), sext(v19) src0_sel:BYTE_0 src1_sel:BYTE_0
	v_cndmask_b32_sdwa v7, v16, v17, vcc_lo dst_sel:BYTE_1 dst_unused:UNUSED_PAD src0_sel:DWORD src1_sel:DWORD
	s_mov_b32 vcc_lo, s3
	v_cmp_ge_i32_e64 s1, v22, v4
	v_cmp_lt_i32_e64 s0, v20, v5
	v_cndmask_b32_sdwa v10, v12, v13, vcc_lo dst_sel:BYTE_1 dst_unused:UNUSED_PAD src0_sel:DWORD src1_sel:DWORD
	v_and_b32_e32 v5, 0xe0, v2
	v_lshlrev_b16 v8, 8, v8
	s_or_b32 s1, s1, s5
	v_cndmask_b32_e64 v9, v9, v11, s2
	s_and_b32 vcc_lo, s0, s1
	v_cndmask_b32_e64 v11, v14, v15, s4
	v_cndmask_b32_e32 v12, v19, v21, vcc_lo
	v_or_b32_e32 v4, 16, v5
	v_or_b32_sdwa v13, v6, v8 dst_sel:DWORD dst_unused:UNUSED_PAD src0_sel:BYTE_0 src1_sel:DWORD
	v_or_b32_sdwa v9, v9, v10 dst_sel:WORD_1 dst_unused:UNUSED_PAD src0_sel:BYTE_0 src1_sel:DWORD
	v_and_b32_e32 v6, 24, v2
	v_lshlrev_b16 v8, 8, v12
	v_sub_nc_u32_e32 v10, v4, v5
	v_or_b32_sdwa v11, v11, v7 dst_sel:DWORD dst_unused:UNUSED_PAD src0_sel:BYTE_0 src1_sel:DWORD
	v_or_b32_sdwa v9, v13, v9 dst_sel:DWORD dst_unused:UNUSED_PAD src0_sel:WORD_0 src1_sel:DWORD
	s_mov_b32 s0, exec_lo
	v_or_b32_sdwa v12, v18, v8 dst_sel:WORD_1 dst_unused:UNUSED_PAD src0_sel:BYTE_0 src1_sel:DWORD
	v_sub_nc_u32_e64 v8, v6, 16 clamp
	v_min_i32_e32 v7, v6, v10
	; wave barrier
	v_or_b32_sdwa v10, v11, v12 dst_sel:DWORD dst_unused:UNUSED_PAD src0_sel:WORD_0 src1_sel:DWORD
	ds_write_b64 v3, v[9:10]
	; wave barrier
	v_cmpx_lt_i32_e64 v8, v7
	s_cbranch_execz .LBB80_36
; %bb.33:
	v_add_nc_u32_e32 v9, v0, v5
	s_mov_b32 s1, 0
	v_add_nc_u32_e32 v10, v9, v6
	.p2align	6
.LBB80_34:                              ; =>This Inner Loop Header: Depth=1
	v_sub_nc_u32_e32 v11, v7, v8
	v_lshrrev_b32_e32 v11, 1, v11
	v_add_nc_u32_e32 v11, v11, v8
	v_add_nc_u32_e32 v12, v9, v11
	v_xad_u32 v13, v11, -1, v10
	v_add_nc_u32_e32 v14, 1, v11
	ds_read_i8 v12, v12
	ds_read_i8 v13, v13 offset:16
	s_waitcnt lgkmcnt(0)
	v_cmp_lt_i16_e32 vcc_lo, v13, v12
	v_cndmask_b32_e32 v7, v7, v11, vcc_lo
	v_cndmask_b32_e32 v8, v14, v8, vcc_lo
	v_cmp_ge_i32_e32 vcc_lo, v8, v7
	s_or_b32 s1, vcc_lo, s1
	s_andn2_b32 exec_lo, exec_lo, s1
	s_cbranch_execnz .LBB80_34
; %bb.35:
	s_or_b32 exec_lo, exec_lo, s1
.LBB80_36:
	s_or_b32 exec_lo, exec_lo, s0
	v_add_nc_u32_e32 v7, v5, v6
	v_add_nc_u32_e32 v9, v8, v5
	;; [unrolled: 1-line block ×4, first 2 shown]
	v_cmp_lt_i32_e32 vcc_lo, 15, v8
	v_sub_nc_u32_e32 v7, v7, v8
	v_add_nc_u32_e32 v10, v0, v9
	v_add_nc_u32_e32 v12, v0, v7
	ds_read_u8 v7, v10
	ds_read_u8 v11, v12 offset:16
	s_waitcnt lgkmcnt(1)
	v_bfe_i32 v6, v7, 0, 8
	s_waitcnt lgkmcnt(0)
	v_bfe_i32 v7, v11, 0, 8
	v_sub_nc_u32_e32 v11, v13, v8
                                        ; implicit-def: $vgpr8
	v_cmp_lt_i16_e64 s0, v7, v6
	v_cmp_gt_i32_e64 s1, v5, v11
	s_or_b32 s0, vcc_lo, s0
	s_and_b32 s0, s1, s0
	s_xor_b32 s1, s0, -1
	s_and_saveexec_b32 s2, s1
	s_xor_b32 s1, exec_lo, s2
; %bb.37:
	ds_read_u8 v8, v10 offset:1
                                        ; implicit-def: $vgpr12
; %bb.38:
	s_or_saveexec_b32 s1, s1
	v_mov_b32_e32 v10, v7
	s_xor_b32 exec_lo, exec_lo, s1
	s_cbranch_execz .LBB80_40
; %bb.39:
	ds_read_u8 v10, v12 offset:17
	s_waitcnt lgkmcnt(1)
	v_mov_b32_e32 v8, v6
.LBB80_40:
	s_or_b32 exec_lo, exec_lo, s1
	v_add_nc_u32_e32 v12, 1, v9
	v_add_nc_u32_e32 v14, 1, v11
	s_waitcnt lgkmcnt(0)
	v_cmp_lt_i16_sdwa s2, sext(v10), sext(v8) src0_sel:BYTE_0 src1_sel:BYTE_0
	v_cndmask_b32_e64 v13, v12, v9, s0
	v_cndmask_b32_e64 v12, v11, v14, s0
                                        ; implicit-def: $vgpr9
	v_cmp_ge_i32_e32 vcc_lo, v13, v4
	v_cmp_lt_i32_e64 s1, v12, v5
	s_or_b32 s2, vcc_lo, s2
	s_and_b32 s1, s1, s2
	s_xor_b32 s2, s1, -1
	s_and_saveexec_b32 s3, s2
	s_xor_b32 s2, exec_lo, s3
; %bb.41:
	v_add_nc_u32_e32 v9, v0, v13
	ds_read_u8 v9, v9 offset:1
; %bb.42:
	s_or_saveexec_b32 s2, s2
	v_mov_b32_e32 v11, v10
	s_xor_b32 exec_lo, exec_lo, s2
	s_cbranch_execz .LBB80_44
; %bb.43:
	s_waitcnt lgkmcnt(0)
	v_add_nc_u32_e32 v9, v0, v12
	ds_read_u8 v11, v9 offset:1
	v_mov_b32_e32 v9, v8
.LBB80_44:
	s_or_b32 exec_lo, exec_lo, s2
	v_add_nc_u32_e32 v14, 1, v13
	v_add_nc_u32_e32 v16, 1, v12
	s_waitcnt lgkmcnt(0)
	v_cmp_lt_i16_sdwa s3, sext(v11), sext(v9) src0_sel:BYTE_0 src1_sel:BYTE_0
	v_cndmask_b32_e64 v15, v14, v13, s1
	v_cndmask_b32_e64 v14, v12, v16, s1
                                        ; implicit-def: $vgpr12
	v_cmp_ge_i32_e32 vcc_lo, v15, v4
	v_cmp_lt_i32_e64 s2, v14, v5
	s_or_b32 s3, vcc_lo, s3
	s_and_b32 s2, s2, s3
	s_xor_b32 s3, s2, -1
	s_and_saveexec_b32 s4, s3
	s_xor_b32 s3, exec_lo, s4
; %bb.45:
	v_add_nc_u32_e32 v12, v0, v15
	ds_read_u8 v12, v12 offset:1
; %bb.46:
	s_or_saveexec_b32 s3, s3
	v_mov_b32_e32 v13, v11
	s_xor_b32 exec_lo, exec_lo, s3
	s_cbranch_execz .LBB80_48
; %bb.47:
	s_waitcnt lgkmcnt(0)
	v_add_nc_u32_e32 v12, v0, v14
	ds_read_u8 v13, v12 offset:1
	v_mov_b32_e32 v12, v9
.LBB80_48:
	s_or_b32 exec_lo, exec_lo, s3
	v_add_nc_u32_e32 v16, 1, v15
	v_add_nc_u32_e32 v18, 1, v14
	s_waitcnt lgkmcnt(0)
	v_cmp_lt_i16_sdwa s4, sext(v13), sext(v12) src0_sel:BYTE_0 src1_sel:BYTE_0
	v_cndmask_b32_e64 v17, v16, v15, s2
	v_cndmask_b32_e64 v16, v14, v18, s2
                                        ; implicit-def: $vgpr14
	v_cmp_ge_i32_e32 vcc_lo, v17, v4
	v_cmp_lt_i32_e64 s3, v16, v5
	s_or_b32 s4, vcc_lo, s4
	s_and_b32 s3, s3, s4
	s_xor_b32 s4, s3, -1
	s_and_saveexec_b32 s5, s4
	s_xor_b32 s4, exec_lo, s5
; %bb.49:
	v_add_nc_u32_e32 v14, v0, v17
	ds_read_u8 v14, v14 offset:1
; %bb.50:
	s_or_saveexec_b32 s4, s4
	v_mov_b32_e32 v15, v13
	s_xor_b32 exec_lo, exec_lo, s4
	s_cbranch_execz .LBB80_52
; %bb.51:
	s_waitcnt lgkmcnt(0)
	v_add_nc_u32_e32 v14, v0, v16
	ds_read_u8 v15, v14 offset:1
	v_mov_b32_e32 v14, v12
.LBB80_52:
	s_or_b32 exec_lo, exec_lo, s4
	v_add_nc_u32_e32 v18, 1, v17
	v_add_nc_u32_e32 v20, 1, v16
	s_waitcnt lgkmcnt(0)
	v_cmp_lt_i16_sdwa s5, sext(v15), sext(v14) src0_sel:BYTE_0 src1_sel:BYTE_0
	v_cndmask_b32_e64 v19, v18, v17, s3
	v_cndmask_b32_e64 v18, v16, v20, s3
                                        ; implicit-def: $vgpr16
	v_cmp_ge_i32_e32 vcc_lo, v19, v4
	v_cmp_lt_i32_e64 s4, v18, v5
	s_or_b32 s5, vcc_lo, s5
	s_and_b32 s4, s4, s5
	s_xor_b32 s5, s4, -1
	s_and_saveexec_b32 s6, s5
	s_xor_b32 s5, exec_lo, s6
; %bb.53:
	v_add_nc_u32_e32 v16, v0, v19
	ds_read_u8 v16, v16 offset:1
; %bb.54:
	s_or_saveexec_b32 s5, s5
	v_mov_b32_e32 v17, v15
	s_xor_b32 exec_lo, exec_lo, s5
	s_cbranch_execz .LBB80_56
; %bb.55:
	s_waitcnt lgkmcnt(0)
	v_add_nc_u32_e32 v16, v0, v18
	ds_read_u8 v17, v16 offset:1
	v_mov_b32_e32 v16, v14
.LBB80_56:
	s_or_b32 exec_lo, exec_lo, s5
	v_add_nc_u32_e32 v20, 1, v19
	v_add_nc_u32_e32 v22, 1, v18
	s_waitcnt lgkmcnt(0)
	v_cmp_lt_i16_sdwa s6, sext(v17), sext(v16) src0_sel:BYTE_0 src1_sel:BYTE_0
	v_cndmask_b32_e64 v21, v20, v19, s4
	v_cndmask_b32_e64 v19, v18, v22, s4
                                        ; implicit-def: $vgpr18
	v_cmp_ge_i32_e32 vcc_lo, v21, v4
	v_cmp_lt_i32_e64 s5, v19, v5
	s_or_b32 s6, vcc_lo, s6
	s_and_b32 vcc_lo, s5, s6
	s_xor_b32 s5, vcc_lo, -1
	s_and_saveexec_b32 s6, s5
	s_xor_b32 s5, exec_lo, s6
; %bb.57:
	v_add_nc_u32_e32 v18, v0, v21
	ds_read_u8 v18, v18 offset:1
; %bb.58:
	s_or_saveexec_b32 s5, s5
	v_mov_b32_e32 v20, v17
	s_xor_b32 exec_lo, exec_lo, s5
	s_cbranch_execz .LBB80_60
; %bb.59:
	s_waitcnt lgkmcnt(0)
	v_add_nc_u32_e32 v18, v0, v19
	ds_read_u8 v20, v18 offset:1
	v_mov_b32_e32 v18, v16
.LBB80_60:
	s_or_b32 exec_lo, exec_lo, s5
	v_add_nc_u32_e32 v22, 1, v21
	v_add_nc_u32_e32 v23, 1, v19
	s_waitcnt lgkmcnt(0)
	v_cmp_lt_i16_sdwa s8, sext(v20), sext(v18) src0_sel:BYTE_0 src1_sel:BYTE_0
	v_cndmask_b32_e32 v22, v22, v21, vcc_lo
	v_cndmask_b32_e32 v23, v19, v23, vcc_lo
                                        ; implicit-def: $vgpr19
	v_cmp_ge_i32_e64 s5, v22, v4
	v_cmp_lt_i32_e64 s6, v23, v5
	s_or_b32 s5, s5, s8
	s_and_b32 s5, s6, s5
	s_xor_b32 s6, s5, -1
	s_and_saveexec_b32 s8, s6
	s_xor_b32 s6, exec_lo, s8
; %bb.61:
	v_add_nc_u32_e32 v19, v0, v22
	ds_read_u8 v19, v19 offset:1
; %bb.62:
	s_or_saveexec_b32 s6, s6
	v_mov_b32_e32 v21, v20
	s_xor_b32 exec_lo, exec_lo, s6
	s_cbranch_execz .LBB80_64
; %bb.63:
	s_waitcnt lgkmcnt(0)
	v_add_nc_u32_e32 v19, v0, v23
	ds_read_u8 v21, v19 offset:1
	v_mov_b32_e32 v19, v18
.LBB80_64:
	s_or_b32 exec_lo, exec_lo, s6
	v_add_nc_u32_e32 v25, 1, v22
	v_add_nc_u32_e32 v24, 1, v23
	v_cndmask_b32_e64 v18, v18, v20, s5
	v_cndmask_b32_e64 v8, v8, v10, s1
	;; [unrolled: 1-line block ×5, first 2 shown]
	s_waitcnt lgkmcnt(0)
	v_cmp_lt_i16_sdwa s5, sext(v21), sext(v19) src0_sel:BYTE_0 src1_sel:BYTE_0
	v_cndmask_b32_sdwa v7, v16, v17, vcc_lo dst_sel:BYTE_1 dst_unused:UNUSED_PAD src0_sel:DWORD src1_sel:DWORD
	s_mov_b32 vcc_lo, s3
	v_cmp_ge_i32_e64 s1, v22, v4
	v_cmp_lt_i32_e64 s0, v20, v5
	v_cndmask_b32_sdwa v10, v12, v13, vcc_lo dst_sel:BYTE_1 dst_unused:UNUSED_PAD src0_sel:DWORD src1_sel:DWORD
	v_and_b32_e32 v5, 0xc0, v2
	v_lshlrev_b16 v8, 8, v8
	s_or_b32 s1, s1, s5
	v_cndmask_b32_e64 v9, v9, v11, s2
	s_and_b32 vcc_lo, s0, s1
	v_cndmask_b32_e64 v11, v14, v15, s4
	v_cndmask_b32_e32 v12, v19, v21, vcc_lo
	v_or_b32_e32 v4, 32, v5
	v_or_b32_sdwa v13, v6, v8 dst_sel:DWORD dst_unused:UNUSED_PAD src0_sel:BYTE_0 src1_sel:DWORD
	v_or_b32_sdwa v9, v9, v10 dst_sel:WORD_1 dst_unused:UNUSED_PAD src0_sel:BYTE_0 src1_sel:DWORD
	v_and_b32_e32 v6, 56, v2
	v_lshlrev_b16 v8, 8, v12
	v_sub_nc_u32_e32 v10, v4, v5
	v_or_b32_sdwa v11, v11, v7 dst_sel:DWORD dst_unused:UNUSED_PAD src0_sel:BYTE_0 src1_sel:DWORD
	v_or_b32_sdwa v9, v13, v9 dst_sel:DWORD dst_unused:UNUSED_PAD src0_sel:WORD_0 src1_sel:DWORD
	s_mov_b32 s0, exec_lo
	v_or_b32_sdwa v12, v18, v8 dst_sel:WORD_1 dst_unused:UNUSED_PAD src0_sel:BYTE_0 src1_sel:DWORD
	v_sub_nc_u32_e64 v8, v6, 32 clamp
	v_min_i32_e32 v7, v6, v10
	; wave barrier
	v_or_b32_sdwa v10, v11, v12 dst_sel:DWORD dst_unused:UNUSED_PAD src0_sel:WORD_0 src1_sel:DWORD
	ds_write_b64 v3, v[9:10]
	; wave barrier
	v_cmpx_lt_i32_e64 v8, v7
	s_cbranch_execz .LBB80_68
; %bb.65:
	v_add_nc_u32_e32 v9, v0, v5
	s_mov_b32 s1, 0
	v_add_nc_u32_e32 v10, v9, v6
	.p2align	6
.LBB80_66:                              ; =>This Inner Loop Header: Depth=1
	v_sub_nc_u32_e32 v11, v7, v8
	v_lshrrev_b32_e32 v11, 1, v11
	v_add_nc_u32_e32 v11, v11, v8
	v_add_nc_u32_e32 v12, v9, v11
	v_xad_u32 v13, v11, -1, v10
	v_add_nc_u32_e32 v14, 1, v11
	ds_read_i8 v12, v12
	ds_read_i8 v13, v13 offset:32
	s_waitcnt lgkmcnt(0)
	v_cmp_lt_i16_e32 vcc_lo, v13, v12
	v_cndmask_b32_e32 v7, v7, v11, vcc_lo
	v_cndmask_b32_e32 v8, v14, v8, vcc_lo
	v_cmp_ge_i32_e32 vcc_lo, v8, v7
	s_or_b32 s1, vcc_lo, s1
	s_andn2_b32 exec_lo, exec_lo, s1
	s_cbranch_execnz .LBB80_66
; %bb.67:
	s_or_b32 exec_lo, exec_lo, s1
.LBB80_68:
	s_or_b32 exec_lo, exec_lo, s0
	v_add_nc_u32_e32 v7, v5, v6
	v_add_nc_u32_e32 v9, v8, v5
	;; [unrolled: 1-line block ×4, first 2 shown]
	v_cmp_lt_i32_e32 vcc_lo, 31, v8
	v_sub_nc_u32_e32 v7, v7, v8
	v_add_nc_u32_e32 v10, v0, v9
	v_add_nc_u32_e32 v12, v0, v7
	ds_read_u8 v7, v10
	ds_read_u8 v11, v12 offset:32
	s_waitcnt lgkmcnt(1)
	v_bfe_i32 v6, v7, 0, 8
	s_waitcnt lgkmcnt(0)
	v_bfe_i32 v7, v11, 0, 8
	v_sub_nc_u32_e32 v11, v13, v8
                                        ; implicit-def: $vgpr8
	v_cmp_lt_i16_e64 s0, v7, v6
	v_cmp_gt_i32_e64 s1, v5, v11
	s_or_b32 s0, vcc_lo, s0
	s_and_b32 s0, s1, s0
	s_xor_b32 s1, s0, -1
	s_and_saveexec_b32 s2, s1
	s_xor_b32 s1, exec_lo, s2
; %bb.69:
	ds_read_u8 v8, v10 offset:1
                                        ; implicit-def: $vgpr12
; %bb.70:
	s_or_saveexec_b32 s1, s1
	v_mov_b32_e32 v10, v7
	s_xor_b32 exec_lo, exec_lo, s1
	s_cbranch_execz .LBB80_72
; %bb.71:
	ds_read_u8 v10, v12 offset:33
	s_waitcnt lgkmcnt(1)
	v_mov_b32_e32 v8, v6
.LBB80_72:
	s_or_b32 exec_lo, exec_lo, s1
	v_add_nc_u32_e32 v12, 1, v9
	v_add_nc_u32_e32 v14, 1, v11
	s_waitcnt lgkmcnt(0)
	v_cmp_lt_i16_sdwa s2, sext(v10), sext(v8) src0_sel:BYTE_0 src1_sel:BYTE_0
	v_cndmask_b32_e64 v13, v12, v9, s0
	v_cndmask_b32_e64 v12, v11, v14, s0
                                        ; implicit-def: $vgpr9
	v_cmp_ge_i32_e32 vcc_lo, v13, v4
	v_cmp_lt_i32_e64 s1, v12, v5
	s_or_b32 s2, vcc_lo, s2
	s_and_b32 s1, s1, s2
	s_xor_b32 s2, s1, -1
	s_and_saveexec_b32 s3, s2
	s_xor_b32 s2, exec_lo, s3
; %bb.73:
	v_add_nc_u32_e32 v9, v0, v13
	ds_read_u8 v9, v9 offset:1
; %bb.74:
	s_or_saveexec_b32 s2, s2
	v_mov_b32_e32 v11, v10
	s_xor_b32 exec_lo, exec_lo, s2
	s_cbranch_execz .LBB80_76
; %bb.75:
	s_waitcnt lgkmcnt(0)
	v_add_nc_u32_e32 v9, v0, v12
	ds_read_u8 v11, v9 offset:1
	v_mov_b32_e32 v9, v8
.LBB80_76:
	s_or_b32 exec_lo, exec_lo, s2
	v_add_nc_u32_e32 v14, 1, v13
	v_add_nc_u32_e32 v16, 1, v12
	s_waitcnt lgkmcnt(0)
	v_cmp_lt_i16_sdwa s3, sext(v11), sext(v9) src0_sel:BYTE_0 src1_sel:BYTE_0
	v_cndmask_b32_e64 v15, v14, v13, s1
	v_cndmask_b32_e64 v14, v12, v16, s1
                                        ; implicit-def: $vgpr12
	v_cmp_ge_i32_e32 vcc_lo, v15, v4
	v_cmp_lt_i32_e64 s2, v14, v5
	s_or_b32 s3, vcc_lo, s3
	s_and_b32 s2, s2, s3
	s_xor_b32 s3, s2, -1
	s_and_saveexec_b32 s4, s3
	s_xor_b32 s3, exec_lo, s4
; %bb.77:
	v_add_nc_u32_e32 v12, v0, v15
	ds_read_u8 v12, v12 offset:1
; %bb.78:
	s_or_saveexec_b32 s3, s3
	v_mov_b32_e32 v13, v11
	s_xor_b32 exec_lo, exec_lo, s3
	s_cbranch_execz .LBB80_80
; %bb.79:
	s_waitcnt lgkmcnt(0)
	v_add_nc_u32_e32 v12, v0, v14
	ds_read_u8 v13, v12 offset:1
	v_mov_b32_e32 v12, v9
.LBB80_80:
	s_or_b32 exec_lo, exec_lo, s3
	v_add_nc_u32_e32 v16, 1, v15
	v_add_nc_u32_e32 v18, 1, v14
	s_waitcnt lgkmcnt(0)
	v_cmp_lt_i16_sdwa s4, sext(v13), sext(v12) src0_sel:BYTE_0 src1_sel:BYTE_0
	v_cndmask_b32_e64 v17, v16, v15, s2
	v_cndmask_b32_e64 v16, v14, v18, s2
                                        ; implicit-def: $vgpr14
	v_cmp_ge_i32_e32 vcc_lo, v17, v4
	v_cmp_lt_i32_e64 s3, v16, v5
	s_or_b32 s4, vcc_lo, s4
	s_and_b32 s3, s3, s4
	s_xor_b32 s4, s3, -1
	s_and_saveexec_b32 s5, s4
	s_xor_b32 s4, exec_lo, s5
; %bb.81:
	v_add_nc_u32_e32 v14, v0, v17
	ds_read_u8 v14, v14 offset:1
; %bb.82:
	s_or_saveexec_b32 s4, s4
	v_mov_b32_e32 v15, v13
	s_xor_b32 exec_lo, exec_lo, s4
	s_cbranch_execz .LBB80_84
; %bb.83:
	s_waitcnt lgkmcnt(0)
	v_add_nc_u32_e32 v14, v0, v16
	ds_read_u8 v15, v14 offset:1
	v_mov_b32_e32 v14, v12
.LBB80_84:
	s_or_b32 exec_lo, exec_lo, s4
	v_add_nc_u32_e32 v18, 1, v17
	v_add_nc_u32_e32 v20, 1, v16
	s_waitcnt lgkmcnt(0)
	v_cmp_lt_i16_sdwa s5, sext(v15), sext(v14) src0_sel:BYTE_0 src1_sel:BYTE_0
	v_cndmask_b32_e64 v19, v18, v17, s3
	v_cndmask_b32_e64 v18, v16, v20, s3
                                        ; implicit-def: $vgpr16
	v_cmp_ge_i32_e32 vcc_lo, v19, v4
	v_cmp_lt_i32_e64 s4, v18, v5
	s_or_b32 s5, vcc_lo, s5
	s_and_b32 s4, s4, s5
	s_xor_b32 s5, s4, -1
	s_and_saveexec_b32 s6, s5
	s_xor_b32 s5, exec_lo, s6
; %bb.85:
	v_add_nc_u32_e32 v16, v0, v19
	ds_read_u8 v16, v16 offset:1
; %bb.86:
	s_or_saveexec_b32 s5, s5
	v_mov_b32_e32 v17, v15
	s_xor_b32 exec_lo, exec_lo, s5
	s_cbranch_execz .LBB80_88
; %bb.87:
	s_waitcnt lgkmcnt(0)
	v_add_nc_u32_e32 v16, v0, v18
	ds_read_u8 v17, v16 offset:1
	v_mov_b32_e32 v16, v14
.LBB80_88:
	s_or_b32 exec_lo, exec_lo, s5
	v_add_nc_u32_e32 v20, 1, v19
	v_add_nc_u32_e32 v22, 1, v18
	s_waitcnt lgkmcnt(0)
	v_cmp_lt_i16_sdwa s6, sext(v17), sext(v16) src0_sel:BYTE_0 src1_sel:BYTE_0
	v_cndmask_b32_e64 v21, v20, v19, s4
	v_cndmask_b32_e64 v19, v18, v22, s4
                                        ; implicit-def: $vgpr18
	v_cmp_ge_i32_e32 vcc_lo, v21, v4
	v_cmp_lt_i32_e64 s5, v19, v5
	s_or_b32 s6, vcc_lo, s6
	s_and_b32 vcc_lo, s5, s6
	s_xor_b32 s5, vcc_lo, -1
	s_and_saveexec_b32 s6, s5
	s_xor_b32 s5, exec_lo, s6
; %bb.89:
	v_add_nc_u32_e32 v18, v0, v21
	ds_read_u8 v18, v18 offset:1
; %bb.90:
	s_or_saveexec_b32 s5, s5
	v_mov_b32_e32 v20, v17
	s_xor_b32 exec_lo, exec_lo, s5
	s_cbranch_execz .LBB80_92
; %bb.91:
	s_waitcnt lgkmcnt(0)
	v_add_nc_u32_e32 v18, v0, v19
	ds_read_u8 v20, v18 offset:1
	v_mov_b32_e32 v18, v16
.LBB80_92:
	s_or_b32 exec_lo, exec_lo, s5
	v_add_nc_u32_e32 v22, 1, v21
	v_add_nc_u32_e32 v23, 1, v19
	s_waitcnt lgkmcnt(0)
	v_cmp_lt_i16_sdwa s8, sext(v20), sext(v18) src0_sel:BYTE_0 src1_sel:BYTE_0
	v_cndmask_b32_e32 v22, v22, v21, vcc_lo
	v_cndmask_b32_e32 v23, v19, v23, vcc_lo
                                        ; implicit-def: $vgpr19
	v_cmp_ge_i32_e64 s5, v22, v4
	v_cmp_lt_i32_e64 s6, v23, v5
	s_or_b32 s5, s5, s8
	s_and_b32 s5, s6, s5
	s_xor_b32 s6, s5, -1
	s_and_saveexec_b32 s8, s6
	s_xor_b32 s6, exec_lo, s8
; %bb.93:
	v_add_nc_u32_e32 v19, v0, v22
	ds_read_u8 v19, v19 offset:1
; %bb.94:
	s_or_saveexec_b32 s6, s6
	v_mov_b32_e32 v21, v20
	s_xor_b32 exec_lo, exec_lo, s6
	s_cbranch_execz .LBB80_96
; %bb.95:
	s_waitcnt lgkmcnt(0)
	v_add_nc_u32_e32 v19, v0, v23
	ds_read_u8 v21, v19 offset:1
	v_mov_b32_e32 v19, v18
.LBB80_96:
	s_or_b32 exec_lo, exec_lo, s6
	v_add_nc_u32_e32 v25, 1, v22
	v_add_nc_u32_e32 v24, 1, v23
	v_cndmask_b32_e64 v18, v18, v20, s5
	v_cndmask_b32_e64 v8, v8, v10, s1
	;; [unrolled: 1-line block ×5, first 2 shown]
	s_waitcnt lgkmcnt(0)
	v_cmp_lt_i16_sdwa s5, sext(v21), sext(v19) src0_sel:BYTE_0 src1_sel:BYTE_0
	v_cndmask_b32_sdwa v10, v16, v17, vcc_lo dst_sel:BYTE_1 dst_unused:UNUSED_PAD src0_sel:DWORD src1_sel:DWORD
	s_mov_b32 vcc_lo, s3
	v_cmp_ge_i32_e64 s1, v22, v4
	v_cmp_lt_i32_e64 s0, v20, v5
	v_cndmask_b32_sdwa v5, v12, v13, vcc_lo dst_sel:BYTE_1 dst_unused:UNUSED_PAD src0_sel:DWORD src1_sel:DWORD
	v_and_b32_e32 v7, 0x80, v2
	v_lshlrev_b16 v8, 8, v8
	s_or_b32 s1, s1, s5
	v_cndmask_b32_e64 v9, v9, v11, s2
	s_and_b32 vcc_lo, s0, s1
	v_cndmask_b32_e64 v11, v14, v15, s4
	v_cndmask_b32_e32 v12, v19, v21, vcc_lo
	v_or_b32_e32 v4, 64, v7
	v_or_b32_sdwa v13, v6, v8 dst_sel:DWORD dst_unused:UNUSED_PAD src0_sel:BYTE_0 src1_sel:DWORD
	v_or_b32_sdwa v9, v9, v5 dst_sel:WORD_1 dst_unused:UNUSED_PAD src0_sel:BYTE_0 src1_sel:DWORD
	v_and_b32_e32 v5, 0x78, v2
	v_lshlrev_b16 v6, 8, v12
	v_sub_nc_u32_e32 v12, v4, v7
	v_or_b32_sdwa v10, v11, v10 dst_sel:DWORD dst_unused:UNUSED_PAD src0_sel:BYTE_0 src1_sel:DWORD
	v_or_b32_sdwa v9, v13, v9 dst_sel:DWORD dst_unused:UNUSED_PAD src0_sel:WORD_0 src1_sel:DWORD
	v_sub_nc_u32_e64 v8, v5, 64 clamp
	v_or_b32_sdwa v11, v18, v6 dst_sel:WORD_1 dst_unused:UNUSED_PAD src0_sel:BYTE_0 src1_sel:DWORD
	v_min_i32_e32 v6, v5, v12
	s_mov_b32 s0, exec_lo
	; wave barrier
	v_or_b32_sdwa v10, v10, v11 dst_sel:DWORD dst_unused:UNUSED_PAD src0_sel:WORD_0 src1_sel:DWORD
	ds_write_b64 v3, v[9:10]
	; wave barrier
	v_cmpx_lt_i32_e64 v8, v6
	s_cbranch_execz .LBB80_100
; %bb.97:
	v_add_nc_u32_e32 v9, v0, v7
	s_mov_b32 s1, 0
	v_add_nc_u32_e32 v10, v9, v5
	.p2align	6
.LBB80_98:                              ; =>This Inner Loop Header: Depth=1
	v_sub_nc_u32_e32 v11, v6, v8
	v_lshrrev_b32_e32 v11, 1, v11
	v_add_nc_u32_e32 v11, v11, v8
	v_add_nc_u32_e32 v12, v9, v11
	v_xad_u32 v13, v11, -1, v10
	v_add_nc_u32_e32 v14, 1, v11
	ds_read_i8 v12, v12
	ds_read_i8 v13, v13 offset:64
	s_waitcnt lgkmcnt(0)
	v_cmp_lt_i16_e32 vcc_lo, v13, v12
	v_cndmask_b32_e32 v6, v6, v11, vcc_lo
	v_cndmask_b32_e32 v8, v14, v8, vcc_lo
	v_cmp_ge_i32_e32 vcc_lo, v8, v6
	s_or_b32 s1, vcc_lo, s1
	s_andn2_b32 exec_lo, exec_lo, s1
	s_cbranch_execnz .LBB80_98
; %bb.99:
	s_or_b32 exec_lo, exec_lo, s1
.LBB80_100:
	s_or_b32 exec_lo, exec_lo, s0
	v_add_nc_u32_e32 v6, v7, v5
	v_add_nc_u32_e32 v10, v8, v7
	;; [unrolled: 1-line block ×4, first 2 shown]
	v_cmp_lt_i32_e32 vcc_lo, 63, v8
	v_sub_nc_u32_e32 v6, v6, v8
	v_add_nc_u32_e32 v9, v0, v10
	v_add_nc_u32_e32 v12, v0, v6
	ds_read_u8 v6, v9
	ds_read_u8 v11, v12 offset:64
	s_waitcnt lgkmcnt(1)
	v_bfe_i32 v5, v6, 0, 8
	s_waitcnt lgkmcnt(0)
	v_bfe_i32 v6, v11, 0, 8
	v_sub_nc_u32_e32 v11, v13, v8
                                        ; implicit-def: $vgpr8
	v_cmp_lt_i16_e64 s0, v6, v5
	v_cmp_gt_i32_e64 s1, v7, v11
	s_or_b32 s0, vcc_lo, s0
	s_and_b32 s0, s1, s0
	s_xor_b32 s1, s0, -1
	s_and_saveexec_b32 s2, s1
	s_xor_b32 s1, exec_lo, s2
; %bb.101:
	ds_read_u8 v8, v9 offset:1
                                        ; implicit-def: $vgpr12
; %bb.102:
	s_or_saveexec_b32 s1, s1
	v_mov_b32_e32 v9, v6
	s_xor_b32 exec_lo, exec_lo, s1
	s_cbranch_execz .LBB80_104
; %bb.103:
	ds_read_u8 v9, v12 offset:65
	s_waitcnt lgkmcnt(1)
	v_mov_b32_e32 v8, v5
.LBB80_104:
	s_or_b32 exec_lo, exec_lo, s1
	v_add_nc_u32_e32 v12, 1, v10
	v_add_nc_u32_e32 v14, 1, v11
	s_waitcnt lgkmcnt(0)
	v_cmp_lt_i16_sdwa s2, sext(v9), sext(v8) src0_sel:BYTE_0 src1_sel:BYTE_0
	v_cndmask_b32_e64 v13, v12, v10, s0
	v_cndmask_b32_e64 v12, v11, v14, s0
                                        ; implicit-def: $vgpr10
	v_cmp_ge_i32_e32 vcc_lo, v13, v4
	v_cmp_lt_i32_e64 s1, v12, v7
	s_or_b32 s2, vcc_lo, s2
	s_and_b32 s1, s1, s2
	s_xor_b32 s2, s1, -1
	s_and_saveexec_b32 s3, s2
	s_xor_b32 s2, exec_lo, s3
; %bb.105:
	v_add_nc_u32_e32 v10, v0, v13
	ds_read_u8 v10, v10 offset:1
; %bb.106:
	s_or_saveexec_b32 s2, s2
	v_mov_b32_e32 v11, v9
	s_xor_b32 exec_lo, exec_lo, s2
	s_cbranch_execz .LBB80_108
; %bb.107:
	s_waitcnt lgkmcnt(0)
	v_add_nc_u32_e32 v10, v0, v12
	ds_read_u8 v11, v10 offset:1
	v_mov_b32_e32 v10, v8
.LBB80_108:
	s_or_b32 exec_lo, exec_lo, s2
	v_add_nc_u32_e32 v14, 1, v13
	v_add_nc_u32_e32 v16, 1, v12
	s_waitcnt lgkmcnt(0)
	v_cmp_lt_i16_sdwa s3, sext(v11), sext(v10) src0_sel:BYTE_0 src1_sel:BYTE_0
	v_cndmask_b32_e64 v15, v14, v13, s1
	v_cndmask_b32_e64 v14, v12, v16, s1
                                        ; implicit-def: $vgpr12
	v_cmp_ge_i32_e32 vcc_lo, v15, v4
	v_cmp_lt_i32_e64 s2, v14, v7
	s_or_b32 s3, vcc_lo, s3
	s_and_b32 s2, s2, s3
	s_xor_b32 s3, s2, -1
	s_and_saveexec_b32 s4, s3
	s_xor_b32 s3, exec_lo, s4
; %bb.109:
	v_add_nc_u32_e32 v12, v0, v15
	ds_read_u8 v12, v12 offset:1
; %bb.110:
	s_or_saveexec_b32 s3, s3
	v_mov_b32_e32 v13, v11
	s_xor_b32 exec_lo, exec_lo, s3
	s_cbranch_execz .LBB80_112
; %bb.111:
	s_waitcnt lgkmcnt(0)
	v_add_nc_u32_e32 v12, v0, v14
	ds_read_u8 v13, v12 offset:1
	v_mov_b32_e32 v12, v10
.LBB80_112:
	s_or_b32 exec_lo, exec_lo, s3
	v_add_nc_u32_e32 v16, 1, v15
	v_add_nc_u32_e32 v18, 1, v14
	s_waitcnt lgkmcnt(0)
	v_cmp_lt_i16_sdwa s4, sext(v13), sext(v12) src0_sel:BYTE_0 src1_sel:BYTE_0
	v_cndmask_b32_e64 v17, v16, v15, s2
	v_cndmask_b32_e64 v16, v14, v18, s2
                                        ; implicit-def: $vgpr14
	v_cmp_ge_i32_e32 vcc_lo, v17, v4
	v_cmp_lt_i32_e64 s3, v16, v7
	s_or_b32 s4, vcc_lo, s4
	s_and_b32 s3, s3, s4
	s_xor_b32 s4, s3, -1
	s_and_saveexec_b32 s5, s4
	s_xor_b32 s4, exec_lo, s5
; %bb.113:
	v_add_nc_u32_e32 v14, v0, v17
	ds_read_u8 v14, v14 offset:1
; %bb.114:
	s_or_saveexec_b32 s4, s4
	v_mov_b32_e32 v15, v13
	s_xor_b32 exec_lo, exec_lo, s4
	s_cbranch_execz .LBB80_116
; %bb.115:
	s_waitcnt lgkmcnt(0)
	v_add_nc_u32_e32 v14, v0, v16
	ds_read_u8 v15, v14 offset:1
	v_mov_b32_e32 v14, v12
.LBB80_116:
	s_or_b32 exec_lo, exec_lo, s4
	v_add_nc_u32_e32 v18, 1, v17
	v_add_nc_u32_e32 v20, 1, v16
	s_waitcnt lgkmcnt(0)
	v_cmp_lt_i16_sdwa s5, sext(v15), sext(v14) src0_sel:BYTE_0 src1_sel:BYTE_0
	v_cndmask_b32_e64 v19, v18, v17, s3
	v_cndmask_b32_e64 v18, v16, v20, s3
                                        ; implicit-def: $vgpr16
	v_cmp_ge_i32_e32 vcc_lo, v19, v4
	v_cmp_lt_i32_e64 s4, v18, v7
	s_or_b32 s5, vcc_lo, s5
	s_and_b32 s4, s4, s5
	s_xor_b32 s5, s4, -1
	s_and_saveexec_b32 s6, s5
	s_xor_b32 s5, exec_lo, s6
; %bb.117:
	v_add_nc_u32_e32 v16, v0, v19
	ds_read_u8 v16, v16 offset:1
; %bb.118:
	s_or_saveexec_b32 s5, s5
	v_mov_b32_e32 v17, v15
	s_xor_b32 exec_lo, exec_lo, s5
	s_cbranch_execz .LBB80_120
; %bb.119:
	s_waitcnt lgkmcnt(0)
	v_add_nc_u32_e32 v16, v0, v18
	ds_read_u8 v17, v16 offset:1
	v_mov_b32_e32 v16, v14
.LBB80_120:
	s_or_b32 exec_lo, exec_lo, s5
	v_add_nc_u32_e32 v20, 1, v19
	v_add_nc_u32_e32 v22, 1, v18
	s_waitcnt lgkmcnt(0)
	v_cmp_lt_i16_sdwa s6, sext(v17), sext(v16) src0_sel:BYTE_0 src1_sel:BYTE_0
	v_cndmask_b32_e64 v21, v20, v19, s4
	v_cndmask_b32_e64 v20, v18, v22, s4
                                        ; implicit-def: $vgpr18
	v_cmp_ge_i32_e32 vcc_lo, v21, v4
	v_cmp_lt_i32_e64 s5, v20, v7
	s_or_b32 s6, vcc_lo, s6
	s_and_b32 vcc_lo, s5, s6
	s_xor_b32 s5, vcc_lo, -1
	s_and_saveexec_b32 s6, s5
	s_xor_b32 s5, exec_lo, s6
; %bb.121:
	v_add_nc_u32_e32 v18, v0, v21
	ds_read_u8 v18, v18 offset:1
; %bb.122:
	s_or_saveexec_b32 s5, s5
	v_mov_b32_e32 v19, v17
	s_xor_b32 exec_lo, exec_lo, s5
	s_cbranch_execz .LBB80_124
; %bb.123:
	s_waitcnt lgkmcnt(0)
	v_add_nc_u32_e32 v18, v0, v20
	ds_read_u8 v19, v18 offset:1
	v_mov_b32_e32 v18, v16
.LBB80_124:
	s_or_b32 exec_lo, exec_lo, s5
	v_add_nc_u32_e32 v22, 1, v21
	v_add_nc_u32_e32 v23, 1, v20
	s_waitcnt lgkmcnt(0)
	v_cmp_lt_i16_sdwa s8, sext(v19), sext(v18) src0_sel:BYTE_0 src1_sel:BYTE_0
	v_cndmask_b32_e32 v22, v22, v21, vcc_lo
	v_cndmask_b32_e32 v21, v20, v23, vcc_lo
                                        ; implicit-def: $vgpr20
	v_cmp_ge_i32_e64 s5, v22, v4
	v_cmp_lt_i32_e64 s6, v21, v7
	s_or_b32 s5, s5, s8
	s_and_b32 s5, s6, s5
	s_xor_b32 s6, s5, -1
	s_and_saveexec_b32 s8, s6
	s_xor_b32 s6, exec_lo, s8
; %bb.125:
	v_add_nc_u32_e32 v20, v0, v22
	ds_read_u8 v20, v20 offset:1
; %bb.126:
	s_or_saveexec_b32 s6, s6
	v_mov_b32_e32 v23, v19
	s_xor_b32 exec_lo, exec_lo, s6
	s_cbranch_execz .LBB80_128
; %bb.127:
	s_waitcnt lgkmcnt(0)
	v_add_nc_u32_e32 v20, v0, v21
	ds_read_u8 v23, v20 offset:1
	v_mov_b32_e32 v20, v18
.LBB80_128:
	s_or_b32 exec_lo, exec_lo, s6
	v_add_nc_u32_e32 v24, 1, v22
	v_add_nc_u32_e32 v25, 1, v21
	v_cndmask_b32_e64 v18, v18, v19, s5
	v_cndmask_b32_e64 v14, v14, v15, s4
	;; [unrolled: 1-line block ×5, first 2 shown]
	s_waitcnt lgkmcnt(0)
	v_cmp_lt_i16_sdwa s5, sext(v23), sext(v20) src0_sel:BYTE_0 src1_sel:BYTE_0
	v_cndmask_b32_sdwa v6, v16, v17, vcc_lo dst_sel:BYTE_1 dst_unused:UNUSED_PAD src0_sel:DWORD src1_sel:DWORD
	v_cmp_ge_i32_e64 s4, v22, v4
	v_cndmask_b32_e64 v4, v10, v11, s2
	v_cmp_lt_i32_e64 s2, v19, v7
	v_cndmask_b32_e64 v7, v8, v9, s1
	v_or_b32_sdwa v10, v14, v6 dst_sel:DWORD dst_unused:UNUSED_PAD src0_sel:BYTE_0 src1_sel:DWORD
	s_or_b32 s0, s4, s5
	v_subrev_nc_u32_e64 v6, 0x80, v2 clamp
	s_and_b32 vcc_lo, s2, s0
	v_lshlrev_b16 v7, 8, v7
	v_cndmask_b32_e32 v8, v20, v23, vcc_lo
	s_mov_b32 vcc_lo, s3
	s_mov_b32 s0, exec_lo
	v_cndmask_b32_sdwa v9, v12, v13, vcc_lo dst_sel:BYTE_1 dst_unused:UNUSED_PAD src0_sel:DWORD src1_sel:DWORD
	v_or_b32_sdwa v5, v5, v7 dst_sel:DWORD dst_unused:UNUSED_PAD src0_sel:BYTE_0 src1_sel:DWORD
	v_lshlrev_b16 v8, 8, v8
	; wave barrier
	v_or_b32_sdwa v9, v4, v9 dst_sel:WORD_1 dst_unused:UNUSED_PAD src0_sel:BYTE_0 src1_sel:DWORD
	v_min_u32_e32 v4, 0x80, v2
	v_or_b32_sdwa v8, v18, v8 dst_sel:WORD_1 dst_unused:UNUSED_PAD src0_sel:BYTE_0 src1_sel:DWORD
	v_or_b32_sdwa v7, v5, v9 dst_sel:DWORD dst_unused:UNUSED_PAD src0_sel:WORD_0 src1_sel:DWORD
	v_or_b32_sdwa v8, v10, v8 dst_sel:DWORD dst_unused:UNUSED_PAD src0_sel:WORD_0 src1_sel:DWORD
	ds_write_b64 v3, v[7:8]
	; wave barrier
	v_cmpx_lt_u32_e64 v6, v4
	s_cbranch_execz .LBB80_132
; %bb.129:
	s_mov_b32 s1, 0
	.p2align	6
.LBB80_130:                             ; =>This Inner Loop Header: Depth=1
	v_sub_nc_u32_e32 v5, v4, v6
	v_lshrrev_b32_e32 v5, 1, v5
	v_add_nc_u32_e32 v5, v5, v6
	v_add_nc_u32_e32 v7, v0, v5
	v_xad_u32 v8, v5, -1, v3
	v_add_nc_u32_e32 v9, 1, v5
	ds_read_i8 v7, v7
	ds_read_i8 v8, v8 offset:128
	s_waitcnt lgkmcnt(0)
	v_cmp_lt_i16_e32 vcc_lo, v8, v7
	v_cndmask_b32_e32 v4, v4, v5, vcc_lo
	v_cndmask_b32_e32 v6, v9, v6, vcc_lo
	v_cmp_ge_i32_e32 vcc_lo, v6, v4
	s_or_b32 s1, vcc_lo, s1
	s_andn2_b32 exec_lo, exec_lo, s1
	s_cbranch_execnz .LBB80_130
; %bb.131:
	s_or_b32 exec_lo, exec_lo, s1
.LBB80_132:
	s_or_b32 exec_lo, exec_lo, s0
	v_sub_nc_u32_e32 v4, v2, v6
	v_add_nc_u32_e32 v5, v0, v6
	v_cmp_lt_i32_e32 vcc_lo, 0x7f, v6
	v_add_nc_u32_e32 v8, v0, v4
	v_add_nc_u32_e32 v7, 0x80, v4
                                        ; implicit-def: $vgpr4
	ds_read_u8 v2, v5
	ds_read_u8 v3, v8 offset:128
	v_cmp_gt_i32_e64 s1, 0x100, v7
	s_waitcnt lgkmcnt(1)
	v_bfe_i32 v2, v2, 0, 8
	s_waitcnt lgkmcnt(0)
	v_bfe_i32 v3, v3, 0, 8
	v_cmp_lt_i16_e64 s0, v3, v2
	s_or_b32 s0, vcc_lo, s0
	s_and_b32 s0, s1, s0
	s_xor_b32 s1, s0, -1
	s_and_saveexec_b32 s2, s1
	s_xor_b32 s1, exec_lo, s2
; %bb.133:
	ds_read_u8 v4, v5 offset:1
                                        ; implicit-def: $vgpr8
; %bb.134:
	s_or_saveexec_b32 s1, s1
	v_mov_b32_e32 v5, v3
	s_xor_b32 exec_lo, exec_lo, s1
	s_cbranch_execz .LBB80_136
; %bb.135:
	ds_read_u8 v5, v8 offset:129
	s_waitcnt lgkmcnt(1)
	v_mov_b32_e32 v4, v2
.LBB80_136:
	s_or_b32 exec_lo, exec_lo, s1
	v_add_nc_u32_e32 v8, 1, v6
	v_add_nc_u32_e32 v10, 1, v7
	s_waitcnt lgkmcnt(0)
	v_cmp_lt_i16_sdwa s2, sext(v5), sext(v4) src0_sel:BYTE_0 src1_sel:BYTE_0
	v_cndmask_b32_e64 v9, v8, v6, s0
	v_cndmask_b32_e64 v8, v7, v10, s0
                                        ; implicit-def: $vgpr6
	v_cmp_lt_i32_e32 vcc_lo, 0x7f, v9
	v_cmp_gt_i32_e64 s1, 0x100, v8
	s_or_b32 s2, vcc_lo, s2
	s_and_b32 s1, s1, s2
	s_xor_b32 s2, s1, -1
	s_and_saveexec_b32 s3, s2
	s_xor_b32 s2, exec_lo, s3
; %bb.137:
	v_add_nc_u32_e32 v6, v0, v9
	ds_read_u8 v6, v6 offset:1
; %bb.138:
	s_or_saveexec_b32 s2, s2
	v_mov_b32_e32 v7, v5
	s_xor_b32 exec_lo, exec_lo, s2
	s_cbranch_execz .LBB80_140
; %bb.139:
	s_waitcnt lgkmcnt(0)
	v_add_nc_u32_e32 v6, v0, v8
	ds_read_u8 v7, v6 offset:1
	v_mov_b32_e32 v6, v4
.LBB80_140:
	s_or_b32 exec_lo, exec_lo, s2
	v_add_nc_u32_e32 v10, 1, v9
	v_add_nc_u32_e32 v12, 1, v8
	s_waitcnt lgkmcnt(0)
	v_cmp_lt_i16_sdwa s3, sext(v7), sext(v6) src0_sel:BYTE_0 src1_sel:BYTE_0
	v_cndmask_b32_e64 v11, v10, v9, s1
	v_cndmask_b32_e64 v10, v8, v12, s1
                                        ; implicit-def: $vgpr8
	v_cmp_lt_i32_e32 vcc_lo, 0x7f, v11
	v_cmp_gt_i32_e64 s2, 0x100, v10
	s_or_b32 s3, vcc_lo, s3
	s_and_b32 s2, s2, s3
	s_xor_b32 s3, s2, -1
	s_and_saveexec_b32 s4, s3
	s_xor_b32 s3, exec_lo, s4
; %bb.141:
	v_add_nc_u32_e32 v8, v0, v11
	ds_read_u8 v8, v8 offset:1
; %bb.142:
	s_or_saveexec_b32 s3, s3
	v_mov_b32_e32 v9, v7
	s_xor_b32 exec_lo, exec_lo, s3
	s_cbranch_execz .LBB80_144
; %bb.143:
	s_waitcnt lgkmcnt(0)
	v_add_nc_u32_e32 v8, v0, v10
	ds_read_u8 v9, v8 offset:1
	v_mov_b32_e32 v8, v6
.LBB80_144:
	s_or_b32 exec_lo, exec_lo, s3
	v_add_nc_u32_e32 v12, 1, v11
	v_add_nc_u32_e32 v14, 1, v10
	s_waitcnt lgkmcnt(0)
	v_cmp_lt_i16_sdwa s4, sext(v9), sext(v8) src0_sel:BYTE_0 src1_sel:BYTE_0
	v_cndmask_b32_e64 v13, v12, v11, s2
	v_cndmask_b32_e64 v12, v10, v14, s2
                                        ; implicit-def: $vgpr10
	v_cmp_lt_i32_e32 vcc_lo, 0x7f, v13
	v_cmp_gt_i32_e64 s3, 0x100, v12
	s_or_b32 s4, vcc_lo, s4
	s_and_b32 s3, s3, s4
	s_xor_b32 s4, s3, -1
	s_and_saveexec_b32 s5, s4
	s_xor_b32 s4, exec_lo, s5
; %bb.145:
	v_add_nc_u32_e32 v10, v0, v13
	ds_read_u8 v10, v10 offset:1
; %bb.146:
	s_or_saveexec_b32 s4, s4
	v_mov_b32_e32 v11, v9
	s_xor_b32 exec_lo, exec_lo, s4
	s_cbranch_execz .LBB80_148
; %bb.147:
	s_waitcnt lgkmcnt(0)
	v_add_nc_u32_e32 v10, v0, v12
	ds_read_u8 v11, v10 offset:1
	v_mov_b32_e32 v10, v8
.LBB80_148:
	s_or_b32 exec_lo, exec_lo, s4
	v_add_nc_u32_e32 v14, 1, v13
	v_add_nc_u32_e32 v16, 1, v12
	s_waitcnt lgkmcnt(0)
	v_cmp_lt_i16_sdwa s5, sext(v11), sext(v10) src0_sel:BYTE_0 src1_sel:BYTE_0
	v_cndmask_b32_e64 v15, v14, v13, s3
	v_cndmask_b32_e64 v14, v12, v16, s3
                                        ; implicit-def: $vgpr12
	v_cmp_lt_i32_e32 vcc_lo, 0x7f, v15
	v_cmp_gt_i32_e64 s4, 0x100, v14
	s_or_b32 s5, vcc_lo, s5
	s_and_b32 s4, s4, s5
	s_xor_b32 s5, s4, -1
	s_and_saveexec_b32 s6, s5
	s_xor_b32 s5, exec_lo, s6
; %bb.149:
	v_add_nc_u32_e32 v12, v0, v15
	ds_read_u8 v12, v12 offset:1
; %bb.150:
	s_or_saveexec_b32 s5, s5
	v_mov_b32_e32 v13, v11
	s_xor_b32 exec_lo, exec_lo, s5
	s_cbranch_execz .LBB80_152
; %bb.151:
	s_waitcnt lgkmcnt(0)
	v_add_nc_u32_e32 v12, v0, v14
	ds_read_u8 v13, v12 offset:1
	v_mov_b32_e32 v12, v10
.LBB80_152:
	s_or_b32 exec_lo, exec_lo, s5
	v_add_nc_u32_e32 v16, 1, v15
	v_add_nc_u32_e32 v18, 1, v14
	s_waitcnt lgkmcnt(0)
	v_cmp_lt_i16_sdwa s6, sext(v13), sext(v12) src0_sel:BYTE_0 src1_sel:BYTE_0
	v_cndmask_b32_e64 v17, v16, v15, s4
	v_cndmask_b32_e64 v16, v14, v18, s4
                                        ; implicit-def: $vgpr15
	v_cmp_lt_i32_e32 vcc_lo, 0x7f, v17
	v_cmp_gt_i32_e64 s5, 0x100, v16
	s_or_b32 s6, vcc_lo, s6
	s_and_b32 vcc_lo, s5, s6
	s_xor_b32 s5, vcc_lo, -1
	s_and_saveexec_b32 s6, s5
	s_xor_b32 s5, exec_lo, s6
; %bb.153:
	v_add_nc_u32_e32 v14, v0, v17
	ds_read_u8 v15, v14 offset:1
; %bb.154:
	s_or_saveexec_b32 s5, s5
	v_mov_b32_e32 v14, v13
	s_xor_b32 exec_lo, exec_lo, s5
	s_cbranch_execz .LBB80_156
; %bb.155:
	v_add_nc_u32_e32 v14, v0, v16
	s_waitcnt lgkmcnt(0)
	v_mov_b32_e32 v15, v12
	ds_read_u8 v14, v14 offset:1
.LBB80_156:
	s_or_b32 exec_lo, exec_lo, s5
	v_add_nc_u32_e32 v18, 1, v17
	v_add_nc_u32_e32 v19, 1, v16
	s_waitcnt lgkmcnt(0)
	v_cmp_ge_i16_sdwa s8, sext(v14), sext(v15) src0_sel:BYTE_0 src1_sel:BYTE_0
	v_cndmask_b32_e32 v20, v18, v17, vcc_lo
	v_cndmask_b32_e32 v16, v16, v19, vcc_lo
                                        ; implicit-def: $vgpr18
                                        ; implicit-def: $vgpr19
	v_cmp_gt_i32_e64 s5, 0x80, v20
	v_cmp_lt_i32_e64 s6, 0xff, v16
	s_and_b32 s5, s5, s8
	s_or_b32 s5, s6, s5
	s_and_saveexec_b32 s6, s5
	s_xor_b32 s5, exec_lo, s6
; %bb.157:
	v_add_nc_u32_e32 v0, v0, v20
	v_add_nc_u32_e32 v19, 1, v20
                                        ; implicit-def: $vgpr20
	ds_read_u8 v18, v0 offset:1
                                        ; implicit-def: $vgpr0
; %bb.158:
	s_or_saveexec_b32 s5, s5
	v_mov_b32_e32 v17, v15
	s_xor_b32 exec_lo, exec_lo, s5
	s_cbranch_execz .LBB80_160
; %bb.159:
	v_add_nc_u32_e32 v0, v0, v16
	v_add_nc_u32_e32 v16, 1, v16
	v_mov_b32_e32 v17, v14
	v_mov_b32_e32 v19, v20
	s_waitcnt lgkmcnt(0)
	v_mov_b32_e32 v18, v15
	ds_read_u8 v0, v0 offset:1
	s_waitcnt lgkmcnt(0)
	v_mov_b32_e32 v14, v0
.LBB80_160:
	s_or_b32 exec_lo, exec_lo, s5
	v_cmp_lt_i32_e64 s5, 0x7f, v19
	s_waitcnt lgkmcnt(0)
	v_cmp_lt_i16_sdwa s6, sext(v14), sext(v18) src0_sel:BYTE_0 src1_sel:BYTE_0
	v_cndmask_b32_e64 v10, v10, v11, s4
	v_cmp_gt_i32_e64 s4, 0x100, v16
	v_cndmask_b32_sdwa v0, v12, v13, vcc_lo dst_sel:BYTE_1 dst_unused:UNUSED_PAD src0_sel:DWORD src1_sel:DWORD
	s_mov_b32 vcc_lo, s3
	s_or_b32 s5, s5, s6
	v_cndmask_b32_sdwa v8, v8, v9, vcc_lo dst_sel:BYTE_1 dst_unused:UNUSED_PAD src0_sel:DWORD src1_sel:DWORD
	s_and_b32 vcc_lo, s4, s5
	v_cndmask_b32_e64 v2, v2, v3, s0
	v_cndmask_b32_e32 v9, v18, v14, vcc_lo
	s_mov_b32 vcc_lo, s1
	v_cndmask_b32_e64 v3, v6, v7, s2
	v_cndmask_b32_sdwa v4, v4, v5, vcc_lo dst_sel:BYTE_1 dst_unused:UNUSED_PAD src0_sel:DWORD src1_sel:DWORD
	s_add_u32 s0, s10, s7
	v_lshlrev_b16 v5, 8, v9
	s_addc_u32 s1, s11, 0
	v_or_b32_sdwa v3, v3, v8 dst_sel:WORD_1 dst_unused:UNUSED_PAD src0_sel:BYTE_0 src1_sel:DWORD
	v_or_b32_sdwa v2, v2, v4 dst_sel:DWORD dst_unused:UNUSED_PAD src0_sel:BYTE_0 src1_sel:DWORD
	v_or_b32_sdwa v4, v10, v0 dst_sel:DWORD dst_unused:UNUSED_PAD src0_sel:BYTE_0 src1_sel:DWORD
	v_or_b32_sdwa v5, v17, v5 dst_sel:WORD_1 dst_unused:UNUSED_PAD src0_sel:BYTE_0 src1_sel:DWORD
	v_add_co_u32 v0, s0, s0, v1
	v_add_co_ci_u32_e64 v1, null, s1, 0, s0
	v_or_b32_sdwa v2, v2, v3 dst_sel:DWORD dst_unused:UNUSED_PAD src0_sel:WORD_0 src1_sel:DWORD
	v_or_b32_sdwa v3, v4, v5 dst_sel:DWORD dst_unused:UNUSED_PAD src0_sel:WORD_0 src1_sel:DWORD
	global_store_dwordx2 v[0:1], v[2:3], off
	s_endpgm
	.section	.rodata,"a",@progbits
	.p2align	6, 0x0
	.amdhsa_kernel _Z9sort_keysILj256ELj32ELj8EaN10test_utils4lessEEvPKT2_PS2_T3_
		.amdhsa_group_segment_fixed_size 2056
		.amdhsa_private_segment_fixed_size 0
		.amdhsa_kernarg_size 20
		.amdhsa_user_sgpr_count 6
		.amdhsa_user_sgpr_private_segment_buffer 1
		.amdhsa_user_sgpr_dispatch_ptr 0
		.amdhsa_user_sgpr_queue_ptr 0
		.amdhsa_user_sgpr_kernarg_segment_ptr 1
		.amdhsa_user_sgpr_dispatch_id 0
		.amdhsa_user_sgpr_flat_scratch_init 0
		.amdhsa_user_sgpr_private_segment_size 0
		.amdhsa_wavefront_size32 1
		.amdhsa_uses_dynamic_stack 0
		.amdhsa_system_sgpr_private_segment_wavefront_offset 0
		.amdhsa_system_sgpr_workgroup_id_x 1
		.amdhsa_system_sgpr_workgroup_id_y 0
		.amdhsa_system_sgpr_workgroup_id_z 0
		.amdhsa_system_sgpr_workgroup_info 0
		.amdhsa_system_vgpr_workitem_id 0
		.amdhsa_next_free_vgpr 26
		.amdhsa_next_free_sgpr 12
		.amdhsa_reserve_vcc 1
		.amdhsa_reserve_flat_scratch 0
		.amdhsa_float_round_mode_32 0
		.amdhsa_float_round_mode_16_64 0
		.amdhsa_float_denorm_mode_32 3
		.amdhsa_float_denorm_mode_16_64 3
		.amdhsa_dx10_clamp 1
		.amdhsa_ieee_mode 1
		.amdhsa_fp16_overflow 0
		.amdhsa_workgroup_processor_mode 1
		.amdhsa_memory_ordered 1
		.amdhsa_forward_progress 1
		.amdhsa_shared_vgpr_count 0
		.amdhsa_exception_fp_ieee_invalid_op 0
		.amdhsa_exception_fp_denorm_src 0
		.amdhsa_exception_fp_ieee_div_zero 0
		.amdhsa_exception_fp_ieee_overflow 0
		.amdhsa_exception_fp_ieee_underflow 0
		.amdhsa_exception_fp_ieee_inexact 0
		.amdhsa_exception_int_div_zero 0
	.end_amdhsa_kernel
	.section	.text._Z9sort_keysILj256ELj32ELj8EaN10test_utils4lessEEvPKT2_PS2_T3_,"axG",@progbits,_Z9sort_keysILj256ELj32ELj8EaN10test_utils4lessEEvPKT2_PS2_T3_,comdat
.Lfunc_end80:
	.size	_Z9sort_keysILj256ELj32ELj8EaN10test_utils4lessEEvPKT2_PS2_T3_, .Lfunc_end80-_Z9sort_keysILj256ELj32ELj8EaN10test_utils4lessEEvPKT2_PS2_T3_
                                        ; -- End function
	.set _Z9sort_keysILj256ELj32ELj8EaN10test_utils4lessEEvPKT2_PS2_T3_.num_vgpr, 26
	.set _Z9sort_keysILj256ELj32ELj8EaN10test_utils4lessEEvPKT2_PS2_T3_.num_agpr, 0
	.set _Z9sort_keysILj256ELj32ELj8EaN10test_utils4lessEEvPKT2_PS2_T3_.numbered_sgpr, 12
	.set _Z9sort_keysILj256ELj32ELj8EaN10test_utils4lessEEvPKT2_PS2_T3_.num_named_barrier, 0
	.set _Z9sort_keysILj256ELj32ELj8EaN10test_utils4lessEEvPKT2_PS2_T3_.private_seg_size, 0
	.set _Z9sort_keysILj256ELj32ELj8EaN10test_utils4lessEEvPKT2_PS2_T3_.uses_vcc, 1
	.set _Z9sort_keysILj256ELj32ELj8EaN10test_utils4lessEEvPKT2_PS2_T3_.uses_flat_scratch, 0
	.set _Z9sort_keysILj256ELj32ELj8EaN10test_utils4lessEEvPKT2_PS2_T3_.has_dyn_sized_stack, 0
	.set _Z9sort_keysILj256ELj32ELj8EaN10test_utils4lessEEvPKT2_PS2_T3_.has_recursion, 0
	.set _Z9sort_keysILj256ELj32ELj8EaN10test_utils4lessEEvPKT2_PS2_T3_.has_indirect_call, 0
	.section	.AMDGPU.csdata,"",@progbits
; Kernel info:
; codeLenInByte = 8000
; TotalNumSgprs: 14
; NumVgprs: 26
; ScratchSize: 0
; MemoryBound: 0
; FloatMode: 240
; IeeeMode: 1
; LDSByteSize: 2056 bytes/workgroup (compile time only)
; SGPRBlocks: 0
; VGPRBlocks: 3
; NumSGPRsForWavesPerEU: 14
; NumVGPRsForWavesPerEU: 26
; Occupancy: 16
; WaveLimiterHint : 0
; COMPUTE_PGM_RSRC2:SCRATCH_EN: 0
; COMPUTE_PGM_RSRC2:USER_SGPR: 6
; COMPUTE_PGM_RSRC2:TRAP_HANDLER: 0
; COMPUTE_PGM_RSRC2:TGID_X_EN: 1
; COMPUTE_PGM_RSRC2:TGID_Y_EN: 0
; COMPUTE_PGM_RSRC2:TGID_Z_EN: 0
; COMPUTE_PGM_RSRC2:TIDIG_COMP_CNT: 0
	.section	.text._Z10sort_pairsILj256ELj32ELj8EaN10test_utils4lessEEvPKT2_PS2_T3_,"axG",@progbits,_Z10sort_pairsILj256ELj32ELj8EaN10test_utils4lessEEvPKT2_PS2_T3_,comdat
	.protected	_Z10sort_pairsILj256ELj32ELj8EaN10test_utils4lessEEvPKT2_PS2_T3_ ; -- Begin function _Z10sort_pairsILj256ELj32ELj8EaN10test_utils4lessEEvPKT2_PS2_T3_
	.globl	_Z10sort_pairsILj256ELj32ELj8EaN10test_utils4lessEEvPKT2_PS2_T3_
	.p2align	8
	.type	_Z10sort_pairsILj256ELj32ELj8EaN10test_utils4lessEEvPKT2_PS2_T3_,@function
_Z10sort_pairsILj256ELj32ELj8EaN10test_utils4lessEEvPKT2_PS2_T3_: ; @_Z10sort_pairsILj256ELj32ELj8EaN10test_utils4lessEEvPKT2_PS2_T3_
; %bb.0:
	s_load_dwordx4 s[36:39], s[4:5], 0x0
	s_lshl_b32 s40, s6, 11
	v_lshlrev_b32_e32 v3, 3, v0
	v_lshrrev_b32_e32 v0, 5, v0
	s_mov_b32 s28, 0
	s_mov_b32 s29, exec_lo
	s_waitcnt lgkmcnt(0)
	s_add_u32 s0, s36, s40
	s_addc_u32 s1, s37, 0
	global_load_dwordx2 v[1:2], v3, s[0:1]
	; wave barrier
	s_waitcnt vmcnt(0)
	v_lshrrev_b32_e32 v9, 8, v1
	v_lshrrev_b32_e32 v7, 16, v1
	;; [unrolled: 1-line block ×3, first 2 shown]
	v_perm_b32 v12, v2, v2, 0x7060405
	v_lshlrev_b16 v4, 8, v9
	v_perm_b32 v5, 0, v7, 0xc0c0001
	v_lshlrev_b16 v8, 8, v10
	v_or_b32_sdwa v6, v1, v4 dst_sel:DWORD dst_unused:UNUSED_PAD src0_sel:BYTE_0 src1_sel:DWORD
	v_perm_b32 v4, 0, v1, 0xc0c0001
	v_lshlrev_b32_e32 v11, 16, v5
	v_lshrrev_b32_e32 v5, 8, v2
	v_or_b32_sdwa v8, v7, v8 dst_sel:DWORD dst_unused:UNUSED_PAD src0_sel:BYTE_0 src1_sel:DWORD
	v_cmp_lt_i16_sdwa s0, sext(v9), sext(v6) src0_sel:BYTE_0 src1_sel:BYTE_0
	v_cmp_lt_i16_sdwa s1, sext(v5), sext(v2) src0_sel:BYTE_0 src1_sel:BYTE_0
	v_cmp_lt_i16_sdwa s2, sext(v10), sext(v8) src0_sel:BYTE_0 src1_sel:BYTE_0
	v_cndmask_b32_e64 v4, v1, v4, s0
	v_cndmask_b32_e64 v7, v2, v12, s1
	v_bfi_b32 v1, 0xffff, v4, v1
	v_and_or_b32 v4, 0xffff, v4, v11
	v_mov_b32_e32 v11, 0xff
	v_lshrrev_b32_e32 v12, 16, v7
	v_perm_b32 v13, v7, v7, 0x6070504
	v_cndmask_b32_e64 v1, v1, v4, s2
	v_lshrrev_b32_e32 v4, 24, v7
	v_lshrrev_b32_e32 v14, 16, v1
	v_lshrrev_b32_e32 v15, 8, v1
	v_perm_b32 v16, v1, v1, 0x7050604
	v_cmp_lt_i16_sdwa s5, sext(v4), sext(v12) src0_sel:BYTE_0 src1_sel:BYTE_0
	v_cmp_lt_i16_sdwa s7, sext(v14), sext(v15) src0_sel:BYTE_0 src1_sel:BYTE_0
	v_cndmask_b32_e64 v4, v7, v13, s5
	v_cndmask_b32_e64 v1, v1, v16, s7
	v_lshlrev_b16 v7, 8, v4
	v_and_b32_sdwa v12, v1, v11 dst_sel:DWORD dst_unused:UNUSED_PAD src0_sel:WORD_1 src1_sel:DWORD
	v_or_b32_sdwa v7, v12, v7 dst_sel:WORD_1 dst_unused:UNUSED_PAD src0_sel:DWORD src1_sel:DWORD
	v_lshrrev_b32_e32 v12, 24, v1
	v_and_or_b32 v7, 0xffff, v1, v7
	v_cmp_lt_i16_sdwa s3, sext(v4), sext(v12) src0_sel:BYTE_0 src1_sel:BYTE_0
	v_cndmask_b32_e64 v7, v1, v7, s3
	v_perm_b32 v1, v1, v4, 0x3020107
	v_perm_b32 v12, 0, v7, 0xc0c0001
	v_lshrrev_b32_e32 v13, 8, v7
	v_cndmask_b32_e64 v1, v4, v1, s3
	v_and_or_b32 v12, 0xffff0000, v7, v12
	v_cmp_lt_i16_sdwa s8, sext(v13), sext(v7) src0_sel:BYTE_0 src1_sel:BYTE_0
	v_lshrrev_b32_e32 v13, 8, v1
	v_perm_b32 v14, v1, v1, 0x7050604
	v_cndmask_b32_e64 v4, v7, v12, s8
	v_lshrrev_b32_e32 v7, 16, v1
	v_lshrrev_b32_e32 v12, 16, v4
	v_cmp_lt_i16_sdwa s9, sext(v7), sext(v13) src0_sel:BYTE_0 src1_sel:BYTE_0
	v_perm_b32 v15, 0, v12, 0xc0c0001
	v_cndmask_b32_e64 v1, v1, v14, s9
	v_lshlrev_b32_e32 v7, 16, v15
	v_lshrrev_b32_e32 v13, 8, v1
	v_lshrrev_b32_e32 v15, 24, v4
	v_perm_b32 v14, v1, v1, 0x7060405
	v_and_or_b32 v7, 0xffff, v4, v7
	v_cmp_lt_i16_sdwa s11, sext(v13), sext(v1) src0_sel:BYTE_0 src1_sel:BYTE_0
	v_cmp_lt_i16_sdwa s12, sext(v15), sext(v12) src0_sel:BYTE_0 src1_sel:BYTE_0
	v_cndmask_b32_e64 v1, v1, v14, s11
	v_cndmask_b32_e64 v4, v4, v7, s12
	v_lshrrev_b32_e32 v7, 24, v1
	v_lshrrev_b32_e32 v12, 16, v1
	v_lshrrev_b32_e32 v14, 16, v4
	v_lshrrev_b32_e32 v15, 8, v4
	v_perm_b32 v13, v1, v1, 0x6070504
	v_perm_b32 v16, v4, v4, 0x7050604
	v_cmp_lt_i16_sdwa s14, sext(v7), sext(v12) src0_sel:BYTE_0 src1_sel:BYTE_0
	v_cmp_lt_i16_sdwa s15, sext(v14), sext(v15) src0_sel:BYTE_0 src1_sel:BYTE_0
	v_cndmask_b32_e64 v1, v1, v13, s14
	v_cndmask_b32_e64 v4, v4, v16, s15
	v_lshlrev_b16 v7, 8, v1
	v_and_b32_sdwa v12, v4, v11 dst_sel:DWORD dst_unused:UNUSED_PAD src0_sel:WORD_1 src1_sel:DWORD
	v_or_b32_sdwa v7, v12, v7 dst_sel:WORD_1 dst_unused:UNUSED_PAD src0_sel:DWORD src1_sel:DWORD
	v_lshrrev_b32_e32 v12, 24, v4
	v_and_or_b32 v7, 0xffff, v4, v7
	v_cmp_lt_i16_sdwa s13, sext(v1), sext(v12) src0_sel:BYTE_0 src1_sel:BYTE_0
	v_cndmask_b32_e64 v7, v4, v7, s13
	v_perm_b32 v4, v4, v1, 0x3020107
	v_perm_b32 v12, 0, v7, 0xc0c0001
	v_lshrrev_b32_e32 v13, 8, v7
	v_cndmask_b32_e64 v1, v1, v4, s13
	v_and_or_b32 v12, 0xffff0000, v7, v12
	v_cmp_lt_i16_sdwa s17, sext(v13), sext(v7) src0_sel:BYTE_0 src1_sel:BYTE_0
	v_lshrrev_b32_e32 v13, 8, v1
	v_perm_b32 v14, v1, v1, 0x7050604
	v_cndmask_b32_e64 v4, v7, v12, s17
	v_lshrrev_b32_e32 v7, 16, v1
	v_lshrrev_b32_e32 v12, 16, v4
	v_cmp_lt_i16_sdwa s19, sext(v7), sext(v13) src0_sel:BYTE_0 src1_sel:BYTE_0
	v_perm_b32 v15, 0, v12, 0xc0c0001
	v_cndmask_b32_e64 v1, v1, v14, s19
	v_lshlrev_b32_e32 v7, 16, v15
	v_lshrrev_b32_e32 v13, 8, v1
	v_lshrrev_b32_e32 v15, 24, v4
	v_perm_b32 v14, v1, v1, 0x7060405
	v_and_or_b32 v7, 0xffff, v4, v7
	v_cmp_lt_i16_sdwa s21, sext(v13), sext(v1) src0_sel:BYTE_0 src1_sel:BYTE_0
	v_cmp_lt_i16_sdwa s23, sext(v15), sext(v12) src0_sel:BYTE_0 src1_sel:BYTE_0
	v_cndmask_b32_e64 v1, v1, v14, s21
	v_cndmask_b32_e64 v4, v4, v7, s23
	v_lshrrev_b32_e32 v7, 24, v1
	v_lshrrev_b32_e32 v12, 16, v1
	v_lshrrev_b32_e32 v14, 16, v4
	v_lshrrev_b32_e32 v15, 8, v4
	v_perm_b32 v13, v1, v1, 0x6070504
	;; [unrolled: 40-line block ×3, first 2 shown]
	v_perm_b32 v13, v1, v1, 0x6070504
	v_cmp_lt_i16_sdwa s6, sext(v14), sext(v15) src0_sel:BYTE_0 src1_sel:BYTE_0
	v_cmp_lt_i16_sdwa s4, sext(v7), sext(v12) src0_sel:BYTE_0 src1_sel:BYTE_0
	v_cndmask_b32_e64 v12, v4, v16, s6
	v_mbcnt_lo_u32_b32 v4, -1, 0
	v_cndmask_b32_e64 v1, v1, v13, s4
	v_lshrrev_b32_e32 v14, 24, v12
	v_and_b32_sdwa v13, v12, v11 dst_sel:DWORD dst_unused:UNUSED_PAD src0_sel:WORD_1 src1_sel:DWORD
	v_lshlrev_b16 v7, 8, v1
	v_lshlrev_b32_e32 v4, 3, v4
	v_perm_b32 v15, v12, v1, 0x3020107
	v_cmp_lt_i16_sdwa s10, sext(v1), sext(v14) src0_sel:BYTE_0 src1_sel:BYTE_0
	v_mov_b32_e32 v14, 0
	v_or_b32_sdwa v7, v13, v7 dst_sel:WORD_1 dst_unused:UNUSED_PAD src0_sel:DWORD src1_sel:DWORD
	v_and_b32_e32 v13, 0xf0, v4
	v_cndmask_b32_e64 v18, v1, v15, s10
	v_mov_b32_e32 v15, 0
	v_and_or_b32 v16, 0xffff, v12, v7
	v_or_b32_e32 v7, 8, v13
	v_mad_u32_u24 v1, 0x101, v0, v4
	v_lshrrev_b32_e32 v19, 16, v18
	v_lshrrev_b32_e32 v20, 8, v18
	v_cndmask_b32_e64 v17, v12, v16, s10
	v_and_b32_e32 v12, 8, v4
	v_sub_nc_u32_e32 v16, v7, v13
	v_perm_b32 v21, v18, v18, 0x7050604
	v_cmp_lt_i16_sdwa s16, sext(v19), sext(v20) src0_sel:BYTE_0 src1_sel:BYTE_0
	v_mul_u32_u24_e32 v0, 0x101, v0
	v_min_i32_e32 v16, v12, v16
	v_cndmask_b32_e64 v18, v18, v21, s16
	ds_write_b64 v1, v[17:18]
	; wave barrier
	v_cmpx_lt_i32_e32 0, v16
	s_cbranch_execz .LBB81_4
; %bb.1:
	v_add_nc_u32_e32 v15, v0, v13
	v_add_nc_u32_e32 v17, v15, v12
	.p2align	6
.LBB81_2:                               ; =>This Inner Loop Header: Depth=1
	v_sub_nc_u32_e32 v18, v16, v14
	v_lshrrev_b32_e32 v18, 1, v18
	v_add_nc_u32_e32 v18, v18, v14
	v_add_nc_u32_e32 v19, v15, v18
	v_xad_u32 v20, v18, -1, v17
	v_add_nc_u32_e32 v21, 1, v18
	ds_read_i8 v19, v19
	ds_read_i8 v20, v20 offset:8
	s_waitcnt lgkmcnt(0)
	v_cmp_lt_i16_e32 vcc_lo, v20, v19
	v_cndmask_b32_e32 v16, v16, v18, vcc_lo
	v_cndmask_b32_e32 v14, v21, v14, vcc_lo
	v_cmp_ge_i32_e32 vcc_lo, v14, v16
	s_or_b32 s28, vcc_lo, s28
	s_andn2_b32 exec_lo, exec_lo, s28
	s_cbranch_execnz .LBB81_2
; %bb.3:
	s_or_b32 exec_lo, exec_lo, s28
	v_mov_b32_e32 v15, v14
.LBB81_4:
	s_or_b32 exec_lo, exec_lo, s29
	v_and_b32_e32 v28, 0xff, v9
	v_add_nc_u32_e32 v9, v13, v12
	v_and_b32_sdwa v25, v10, v11 dst_sel:BYTE_1 dst_unused:UNUSED_PAD src0_sel:DWORD src1_sel:DWORD
	v_add_nc_u32_e32 v10, v15, v13
	v_mov_b32_e32 v14, 24
	v_add_nc_u32_e32 v18, v7, v12
	v_sub_nc_u32_e32 v9, v9, v15
	v_cmp_lt_i32_e32 vcc_lo, 7, v15
	v_add_nc_u32_e32 v17, v0, v10
	v_lshrrev_b32_sdwa v22, v14, v2 dst_sel:BYTE_1 dst_unused:UNUSED_PAD src0_sel:DWORD src1_sel:DWORD
	v_lshrrev_b32_e32 v26, 16, v2
	v_add_nc_u32_e32 v16, v0, v9
	ds_read_u8 v9, v17
	ds_read_u8 v14, v16 offset:8
	s_waitcnt lgkmcnt(1)
	v_bfe_i32 v11, v9, 0, 8
	s_waitcnt lgkmcnt(0)
	v_bfe_i32 v12, v14, 0, 8
	v_add_nc_u32_e32 v9, 16, v13
	v_sub_nc_u32_e32 v13, v18, v15
                                        ; implicit-def: $vgpr14
	v_cmp_lt_i16_e64 s28, v12, v11
	v_cmp_gt_i32_e64 s29, v9, v13
	s_or_b32 s28, vcc_lo, s28
	s_and_b32 s28, s29, s28
	s_xor_b32 s29, s28, -1
	s_and_saveexec_b32 s30, s29
	s_xor_b32 s29, exec_lo, s30
; %bb.5:
	ds_read_u8 v14, v17 offset:1
                                        ; implicit-def: $vgpr16
; %bb.6:
	s_or_saveexec_b32 s29, s29
	v_mov_b32_e32 v15, v12
	s_xor_b32 exec_lo, exec_lo, s29
	s_cbranch_execz .LBB81_8
; %bb.7:
	ds_read_u8 v15, v16 offset:9
	s_waitcnt lgkmcnt(1)
	v_mov_b32_e32 v14, v11
.LBB81_8:
	s_or_b32 exec_lo, exec_lo, s29
	v_add_nc_u32_e32 v16, 1, v10
	v_add_nc_u32_e32 v17, 1, v13
	s_waitcnt lgkmcnt(0)
	v_cmp_lt_i16_sdwa s30, sext(v15), sext(v14) src0_sel:BYTE_0 src1_sel:BYTE_0
                                        ; implicit-def: $vgpr18
	v_cndmask_b32_e64 v16, v16, v10, s28
	v_cndmask_b32_e64 v17, v13, v17, s28
	v_cmp_ge_i32_e32 vcc_lo, v16, v7
	v_cmp_lt_i32_e64 s29, v17, v9
	s_or_b32 s30, vcc_lo, s30
	s_and_b32 s29, s29, s30
	s_xor_b32 s30, s29, -1
	s_and_saveexec_b32 s31, s30
	s_xor_b32 s30, exec_lo, s31
; %bb.9:
	v_add_nc_u32_e32 v18, v0, v16
	ds_read_u8 v18, v18 offset:1
; %bb.10:
	s_or_saveexec_b32 s30, s30
	v_mov_b32_e32 v19, v15
	s_xor_b32 exec_lo, exec_lo, s30
	s_cbranch_execz .LBB81_12
; %bb.11:
	s_waitcnt lgkmcnt(0)
	v_add_nc_u32_e32 v18, v0, v17
	ds_read_u8 v19, v18 offset:1
	v_mov_b32_e32 v18, v14
.LBB81_12:
	s_or_b32 exec_lo, exec_lo, s30
	v_add_nc_u32_e32 v20, 1, v16
	v_add_nc_u32_e32 v21, 1, v17
	s_waitcnt lgkmcnt(0)
	v_cmp_lt_i16_sdwa s31, sext(v19), sext(v18) src0_sel:BYTE_0 src1_sel:BYTE_0
                                        ; implicit-def: $vgpr23
	v_cndmask_b32_e64 v20, v20, v16, s29
	v_cndmask_b32_e64 v21, v17, v21, s29
	v_cmp_ge_i32_e32 vcc_lo, v20, v7
	v_cmp_lt_i32_e64 s30, v21, v9
	s_or_b32 s31, vcc_lo, s31
	s_and_b32 s30, s30, s31
	s_xor_b32 s31, s30, -1
	s_and_saveexec_b32 s33, s31
	s_xor_b32 s31, exec_lo, s33
; %bb.13:
	v_add_nc_u32_e32 v23, v0, v20
	ds_read_u8 v23, v23 offset:1
; %bb.14:
	s_or_saveexec_b32 s31, s31
	v_mov_b32_e32 v27, v19
	s_xor_b32 exec_lo, exec_lo, s31
	s_cbranch_execz .LBB81_16
; %bb.15:
	s_waitcnt lgkmcnt(0)
	v_add_nc_u32_e32 v23, v0, v21
	ds_read_u8 v27, v23 offset:1
	v_mov_b32_e32 v23, v18
.LBB81_16:
	s_or_b32 exec_lo, exec_lo, s31
	v_add_nc_u32_e32 v24, 1, v20
	v_add_nc_u32_e32 v29, 1, v21
	s_waitcnt lgkmcnt(0)
	v_cmp_lt_i16_sdwa s33, sext(v27), sext(v23) src0_sel:BYTE_0 src1_sel:BYTE_0
                                        ; implicit-def: $vgpr32
	v_cndmask_b32_e64 v30, v24, v20, s30
	v_cndmask_b32_e64 v31, v21, v29, s30
	v_cmp_ge_i32_e32 vcc_lo, v30, v7
	v_cmp_lt_i32_e64 s31, v31, v9
	s_or_b32 s33, vcc_lo, s33
	s_and_b32 s31, s31, s33
	s_xor_b32 s33, s31, -1
	s_and_saveexec_b32 s34, s33
	s_xor_b32 s33, exec_lo, s34
; %bb.17:
	v_add_nc_u32_e32 v24, v0, v30
	ds_read_u8 v32, v24 offset:1
; %bb.18:
	s_or_saveexec_b32 s33, s33
	v_mov_b32_e32 v33, v27
	s_xor_b32 exec_lo, exec_lo, s33
	s_cbranch_execz .LBB81_20
; %bb.19:
	v_add_nc_u32_e32 v24, v0, v31
	s_waitcnt lgkmcnt(0)
	v_mov_b32_e32 v32, v23
	ds_read_u8 v33, v24 offset:1
.LBB81_20:
	s_or_b32 exec_lo, exec_lo, s33
	v_add_nc_u32_e32 v24, 1, v30
	v_add_nc_u32_e32 v29, 1, v31
	s_waitcnt lgkmcnt(0)
	v_cmp_lt_i16_sdwa s34, sext(v33), sext(v32) src0_sel:BYTE_0 src1_sel:BYTE_0
	v_cndmask_b32_e64 v37, v24, v30, s31
	v_cndmask_b32_e64 v38, v31, v29, s31
                                        ; implicit-def: $vgpr24
	v_cmp_ge_i32_e32 vcc_lo, v37, v7
	v_cmp_lt_i32_e64 s33, v38, v9
	s_or_b32 s34, vcc_lo, s34
	s_and_b32 s34, s33, s34
	s_xor_b32 s33, s34, -1
	s_and_saveexec_b32 s35, s33
	s_xor_b32 s33, exec_lo, s35
; %bb.21:
	v_add_nc_u32_e32 v24, v0, v37
	ds_read_u8 v24, v24 offset:1
; %bb.22:
	s_or_saveexec_b32 s33, s33
	v_mov_b32_e32 v29, v33
	s_xor_b32 exec_lo, exec_lo, s33
	s_cbranch_execz .LBB81_24
; %bb.23:
	s_waitcnt lgkmcnt(0)
	v_add_nc_u32_e32 v24, v0, v38
	ds_read_u8 v29, v24 offset:1
	v_mov_b32_e32 v24, v32
.LBB81_24:
	s_or_b32 exec_lo, exec_lo, s33
	v_add_nc_u32_e32 v34, 1, v37
	v_add_nc_u32_e32 v35, 1, v38
	s_waitcnt lgkmcnt(0)
	v_cmp_lt_i16_sdwa s35, sext(v29), sext(v24) src0_sel:BYTE_0 src1_sel:BYTE_0
                                        ; implicit-def: $vgpr42
	v_cndmask_b32_e64 v40, v34, v37, s34
	v_cndmask_b32_e64 v41, v38, v35, s34
	v_cmp_ge_i32_e32 vcc_lo, v40, v7
	v_cmp_lt_i32_e64 s33, v41, v9
	s_or_b32 s35, vcc_lo, s35
	s_and_b32 vcc_lo, s33, s35
	s_xor_b32 s33, vcc_lo, -1
	s_and_saveexec_b32 s35, s33
	s_xor_b32 s33, exec_lo, s35
; %bb.25:
	v_add_nc_u32_e32 v34, v0, v40
	ds_read_u8 v42, v34 offset:1
; %bb.26:
	s_or_saveexec_b32 s33, s33
	v_mov_b32_e32 v43, v29
	s_xor_b32 exec_lo, exec_lo, s33
	s_cbranch_execz .LBB81_28
; %bb.27:
	v_add_nc_u32_e32 v34, v0, v41
	s_waitcnt lgkmcnt(0)
	v_mov_b32_e32 v42, v24
	ds_read_u8 v43, v34 offset:1
.LBB81_28:
	s_or_b32 exec_lo, exec_lo, s33
	v_add_nc_u32_e32 v34, 1, v40
	v_add_nc_u32_e32 v36, 1, v41
	s_waitcnt lgkmcnt(0)
	v_cmp_lt_i16_sdwa s36, sext(v43), sext(v42) src0_sel:BYTE_0 src1_sel:BYTE_0
	v_cndmask_b32_e32 v35, v34, v40, vcc_lo
	v_cndmask_b32_e32 v36, v41, v36, vcc_lo
                                        ; implicit-def: $vgpr34
	v_cmp_ge_i32_e64 s33, v35, v7
	v_cmp_lt_i32_e64 s35, v36, v9
	s_or_b32 s33, s33, s36
	s_and_b32 s33, s35, s33
	s_xor_b32 s35, s33, -1
	s_and_saveexec_b32 s36, s35
	s_xor_b32 s35, exec_lo, s36
; %bb.29:
	v_add_nc_u32_e32 v34, v0, v35
	ds_read_u8 v34, v34 offset:1
; %bb.30:
	s_or_saveexec_b32 s35, s35
	v_mov_b32_e32 v39, v43
	s_xor_b32 exec_lo, exec_lo, s35
	s_cbranch_execz .LBB81_32
; %bb.31:
	s_waitcnt lgkmcnt(0)
	v_add_nc_u32_e32 v34, v0, v36
	ds_read_u8 v39, v34 offset:1
	v_mov_b32_e32 v34, v42
.LBB81_32:
	s_or_b32 exec_lo, exec_lo, s35
	v_add_nc_u16 v8, v8, 1
	v_add_nc_u16 v28, v28, 1
	;; [unrolled: 1-line block ×5, first 2 shown]
	v_or_b32_sdwa v8, v25, v8 dst_sel:DWORD dst_unused:UNUSED_PAD src0_sel:DWORD src1_sel:BYTE_0
	v_lshlrev_b16 v25, 8, v28
	v_lshlrev_b16 v44, 8, v6
	;; [unrolled: 1-line block ×3, first 2 shown]
	v_or_b32_sdwa v22, v22, v26 dst_sel:DWORD dst_unused:UNUSED_PAD src0_sel:DWORD src1_sel:BYTE_0
	v_add_nc_u16 v8, 0x100, v8
	v_or_b32_sdwa v6, v6, v25 dst_sel:DWORD dst_unused:UNUSED_PAD src0_sel:BYTE_0 src1_sel:DWORD
	v_or_b32_sdwa v25, v28, v44 dst_sel:DWORD dst_unused:UNUSED_PAD src0_sel:BYTE_0 src1_sel:DWORD
	v_or_b32_sdwa v2, v5, v2 dst_sel:DWORD dst_unused:UNUSED_PAD src0_sel:DWORD src1_sel:BYTE_0
	v_add_nc_u16 v5, 0x100, v22
	v_cndmask_b32_e64 v32, v32, v33, s34
	v_and_b32_e32 v6, 0xffff, v6
	v_and_b32_e32 v22, 0xffff, v25
	v_lshlrev_b32_e32 v25, 16, v8
	v_add_nc_u16 v2, 0x100, v2
	v_lshlrev_b32_e32 v5, 16, v5
	v_perm_b32 v8, 0, v8, 0xc0c0001
	v_cndmask_b32_e64 v6, v6, v22, s0
	v_mov_b32_e32 v22, 0xff
	v_cndmask_b32_e64 v33, v37, v38, s34
	v_or_b32_sdwa v2, v2, v5 dst_sel:DWORD dst_unused:UNUSED_PAD src0_sel:WORD_0 src1_sel:DWORD
	v_lshlrev_b32_e32 v5, 16, v8
	v_or_b32_e32 v6, v6, v25
	v_cndmask_b32_e64 v15, v14, v15, s29
	v_cndmask_b32_e64 v16, v16, v17, s29
	v_perm_b32 v8, v2, v2, 0x7060405
	v_cndmask_b32_e64 v17, v11, v12, s28
	v_and_or_b32 v5, 0xffff, v6, v5
	v_cndmask_b32_e64 v18, v18, v19, s30
	v_cndmask_b32_e64 v19, v20, v21, s30
	;; [unrolled: 1-line block ×3, first 2 shown]
	v_add_nc_u32_e32 v26, 1, v35
	v_cndmask_b32_e64 v5, v6, v5, s2
	v_cndmask_b32_e32 v40, v40, v41, vcc_lo
	v_cndmask_b32_e64 v10, v10, v13, s28
	v_perm_b32 v6, v2, v2, 0x6070504
	v_cndmask_b32_e64 v12, v26, v35, s33
	v_perm_b32 v8, v5, v5, 0x7050604
	s_waitcnt lgkmcnt(0)
	v_cmp_lt_i16_sdwa s1, sext(v39), sext(v34) src0_sel:BYTE_0 src1_sel:BYTE_0
	v_cndmask_b32_sdwa v13, v24, v29, vcc_lo dst_sel:BYTE_1 dst_unused:UNUSED_PAD src0_sel:DWORD src1_sel:DWORD
	v_cndmask_b32_e64 v2, v2, v6, s5
	v_cmp_ge_i32_e32 vcc_lo, v12, v7
	v_cndmask_b32_e64 v5, v5, v8, s7
	v_cndmask_b32_e64 v23, v23, v27, s31
	v_cndmask_b32_e64 v27, v30, v31, s31
	v_lshlrev_b16 v6, 8, v2
	s_or_b32 s1, vcc_lo, s1
	v_and_b32_sdwa v8, v5, v22 dst_sel:DWORD dst_unused:UNUSED_PAD src0_sel:WORD_1 src1_sel:DWORD
	v_cndmask_b32_e64 v28, v35, v36, s33
	v_add_nc_u32_e32 v10, v0, v10
	v_add_nc_u32_e32 v21, v0, v27
	v_or_b32_sdwa v6, v8, v6 dst_sel:WORD_1 dst_unused:UNUSED_PAD src0_sel:DWORD src1_sel:DWORD
	; wave barrier
	v_lshlrev_b16 v15, 8, v15
	v_cndmask_b32_e64 v25, v42, v43, s33
	v_and_or_b32 v6, 0xffff, v5, v6
	v_cndmask_b32_e64 v6, v5, v6, s3
	v_perm_b32 v5, v5, v2, 0x3020107
	v_perm_b32 v8, 0, v6, 0xc0c0001
	v_cndmask_b32_e64 v2, v2, v5, s3
	v_and_or_b32 v8, 0xffff0000, v6, v8
	v_cndmask_b32_e64 v6, v6, v8, s8
	v_perm_b32 v8, v2, v2, 0x7050604
	v_lshrrev_b32_e32 v5, 16, v6
	v_cndmask_b32_e64 v2, v2, v8, s9
	v_perm_b32 v5, 0, v5, 0xc0c0001
	v_perm_b32 v8, v2, v2, 0x7060405
	v_lshlrev_b32_e32 v5, 16, v5
	v_cndmask_b32_e64 v2, v2, v8, s11
	v_and_or_b32 v5, 0xffff, v6, v5
	v_cndmask_b32_e64 v5, v6, v5, s12
	v_perm_b32 v6, v2, v2, 0x6070504
	v_perm_b32 v8, v5, v5, 0x7050604
	v_cndmask_b32_e64 v2, v2, v6, s14
	v_cndmask_b32_e64 v5, v5, v8, s15
	v_lshlrev_b16 v6, 8, v2
	v_and_b32_sdwa v8, v5, v22 dst_sel:DWORD dst_unused:UNUSED_PAD src0_sel:WORD_1 src1_sel:DWORD
	v_or_b32_sdwa v6, v8, v6 dst_sel:WORD_1 dst_unused:UNUSED_PAD src0_sel:DWORD src1_sel:DWORD
	v_and_or_b32 v6, 0xffff, v5, v6
	v_cndmask_b32_e64 v6, v5, v6, s13
	v_perm_b32 v5, v5, v2, 0x3020107
	v_perm_b32 v8, 0, v6, 0xc0c0001
	v_cndmask_b32_e64 v2, v2, v5, s13
	v_and_or_b32 v8, 0xffff0000, v6, v8
	v_cndmask_b32_e64 v6, v6, v8, s17
	v_perm_b32 v8, v2, v2, 0x7050604
	v_lshrrev_b32_e32 v5, 16, v6
	v_cndmask_b32_e64 v2, v2, v8, s19
	v_perm_b32 v5, 0, v5, 0xc0c0001
	v_perm_b32 v8, v2, v2, 0x7060405
	v_lshlrev_b32_e32 v5, 16, v5
	v_cndmask_b32_e64 v2, v2, v8, s21
	v_and_or_b32 v5, 0xffff, v6, v5
	v_cndmask_b32_e64 v5, v6, v5, s23
	v_perm_b32 v6, v2, v2, 0x6070504
	v_perm_b32 v8, v5, v5, 0x7050604
	v_cndmask_b32_e64 v2, v2, v6, s24
	v_cndmask_b32_e64 v5, v5, v8, s25
	v_lshlrev_b16 v6, 8, v2
	v_and_b32_sdwa v8, v5, v22 dst_sel:DWORD dst_unused:UNUSED_PAD src0_sel:WORD_1 src1_sel:DWORD
	v_or_b32_sdwa v6, v8, v6 dst_sel:WORD_1 dst_unused:UNUSED_PAD src0_sel:DWORD src1_sel:DWORD
	v_and_or_b32 v6, 0xffff, v5, v6
	v_cndmask_b32_e64 v6, v5, v6, s22
	v_perm_b32 v5, v5, v2, 0x3020107
	v_perm_b32 v8, 0, v6, 0xc0c0001
	v_cndmask_b32_e64 v2, v2, v5, s22
	v_and_or_b32 v8, 0xffff0000, v6, v8
	v_perm_b32 v37, v2, v2, 0x7050604
	v_cndmask_b32_e64 v6, v6, v8, s27
	v_cndmask_b32_e64 v2, v2, v37, s26
	v_add_nc_u32_e32 v8, 1, v36
	v_lshrrev_b32_e32 v5, 16, v6
	v_perm_b32 v14, v2, v2, 0x7060405
	v_cndmask_b32_e64 v8, v36, v8, s33
	v_perm_b32 v5, 0, v5, 0xc0c0001
	v_cndmask_b32_e64 v2, v2, v14, s18
	v_cmp_lt_i32_e64 s0, v8, v9
	v_add_nc_u32_e32 v9, v0, v40
	v_and_b32_e32 v14, 0xe0, v4
	v_lshlrev_b32_e32 v5, 16, v5
	s_and_b32 vcc_lo, s0, s1
	s_mov_b32 s0, exec_lo
	v_cndmask_b32_e32 v8, v12, v8, vcc_lo
	v_and_or_b32 v5, 0xffff, v6, v5
	v_add_nc_u32_e32 v12, v0, v28
	v_cndmask_b32_e64 v5, v6, v5, s20
	v_perm_b32 v6, v2, v2, 0x6070504
	v_perm_b32 v11, v5, v5, 0x7050604
	v_cndmask_b32_e64 v2, v2, v6, s4
	v_cndmask_b32_e64 v5, v5, v11, s6
	v_add_nc_u32_e32 v11, v0, v16
	v_add_nc_u32_e32 v16, v0, v19
	v_lshlrev_b16 v6, 8, v2
	v_and_b32_sdwa v19, v5, v22 dst_sel:DWORD dst_unused:UNUSED_PAD src0_sel:WORD_1 src1_sel:DWORD
	v_perm_b32 v20, v5, v2, 0x3020107
	v_add_nc_u32_e32 v22, v0, v33
	v_or_b32_sdwa v6, v19, v6 dst_sel:WORD_1 dst_unused:UNUSED_PAD src0_sel:DWORD src1_sel:DWORD
	v_cndmask_b32_e64 v2, v2, v20, s10
	v_lshlrev_b16 v20, 8, v23
	v_add_nc_u32_e32 v23, v0, v8
	v_cndmask_b32_e32 v19, v34, v39, vcc_lo
	v_and_or_b32 v6, 0xffff, v5, v6
	v_perm_b32 v7, v2, v2, 0x7050604
	v_cndmask_b32_e64 v5, v5, v6, s10
	v_cndmask_b32_e64 v6, v2, v7, s16
	ds_write_b64 v1, v[5:6]
	; wave barrier
	ds_read_u8 v2, v10
	ds_read_u8 v5, v11
	;; [unrolled: 1-line block ×8, first 2 shown]
	v_or_b32_e32 v12, 16, v14
	v_or_b32_sdwa v16, v17, v15 dst_sel:DWORD dst_unused:UNUSED_PAD src0_sel:BYTE_0 src1_sel:DWORD
	v_lshlrev_b16 v17, 8, v19
	v_or_b32_sdwa v19, v18, v20 dst_sel:WORD_1 dst_unused:UNUSED_PAD src0_sel:BYTE_0 src1_sel:DWORD
	v_and_b32_e32 v15, 24, v4
	v_sub_nc_u32_e32 v20, v12, v14
	v_or_b32_sdwa v21, v32, v13 dst_sel:DWORD dst_unused:UNUSED_PAD src0_sel:BYTE_0 src1_sel:DWORD
	v_or_b32_sdwa v17, v25, v17 dst_sel:WORD_1 dst_unused:UNUSED_PAD src0_sel:BYTE_0 src1_sel:DWORD
	v_or_b32_sdwa v16, v16, v19 dst_sel:DWORD dst_unused:UNUSED_PAD src0_sel:WORD_0 src1_sel:DWORD
	v_sub_nc_u32_e64 v18, v15, 16 clamp
	v_min_i32_e32 v13, v15, v20
	v_or_b32_sdwa v17, v21, v17 dst_sel:DWORD dst_unused:UNUSED_PAD src0_sel:WORD_0 src1_sel:DWORD
	; wave barrier
	ds_write_b64 v1, v[16:17]
	; wave barrier
	v_cmpx_lt_i32_e64 v18, v13
	s_cbranch_execz .LBB81_36
; %bb.33:
	v_add_nc_u32_e32 v16, v0, v14
	s_mov_b32 s1, 0
	v_add_nc_u32_e32 v17, v16, v15
	.p2align	6
.LBB81_34:                              ; =>This Inner Loop Header: Depth=1
	v_sub_nc_u32_e32 v19, v13, v18
	v_lshrrev_b32_e32 v19, 1, v19
	v_add_nc_u32_e32 v19, v19, v18
	v_add_nc_u32_e32 v20, v16, v19
	v_xad_u32 v21, v19, -1, v17
	v_add_nc_u32_e32 v22, 1, v19
	ds_read_i8 v20, v20
	ds_read_i8 v21, v21 offset:16
	s_waitcnt lgkmcnt(0)
	v_cmp_lt_i16_e32 vcc_lo, v21, v20
	v_cndmask_b32_e32 v13, v13, v19, vcc_lo
	v_cndmask_b32_e32 v18, v22, v18, vcc_lo
	v_cmp_ge_i32_e32 vcc_lo, v18, v13
	s_or_b32 s1, vcc_lo, s1
	s_andn2_b32 exec_lo, exec_lo, s1
	s_cbranch_execnz .LBB81_34
; %bb.35:
	s_or_b32 exec_lo, exec_lo, s1
.LBB81_36:
	s_or_b32 exec_lo, exec_lo, s0
	v_add_nc_u32_e32 v16, v14, v15
	v_add_nc_u32_e32 v13, v18, v14
	;; [unrolled: 1-line block ×4, first 2 shown]
	v_cmp_lt_i32_e32 vcc_lo, 15, v18
	v_sub_nc_u32_e32 v16, v16, v18
	v_add_nc_u32_e32 v19, v0, v13
	v_sub_nc_u32_e32 v15, v15, v18
                                        ; implicit-def: $vgpr18
	v_add_nc_u32_e32 v20, v0, v16
	ds_read_u8 v16, v19
	ds_read_u8 v17, v20 offset:16
	v_cmp_gt_i32_e64 s1, v14, v15
	s_waitcnt lgkmcnt(1)
	v_bfe_i32 v16, v16, 0, 8
	s_waitcnt lgkmcnt(0)
	v_bfe_i32 v17, v17, 0, 8
	v_cmp_lt_i16_e64 s0, v17, v16
	s_or_b32 s0, vcc_lo, s0
	s_and_b32 s0, s1, s0
	s_xor_b32 s1, s0, -1
	s_and_saveexec_b32 s2, s1
	s_xor_b32 s1, exec_lo, s2
; %bb.37:
	ds_read_u8 v18, v19 offset:1
                                        ; implicit-def: $vgpr20
; %bb.38:
	s_or_saveexec_b32 s1, s1
	v_mov_b32_e32 v19, v17
	s_xor_b32 exec_lo, exec_lo, s1
	s_cbranch_execz .LBB81_40
; %bb.39:
	ds_read_u8 v19, v20 offset:17
	s_waitcnt lgkmcnt(1)
	v_mov_b32_e32 v18, v16
.LBB81_40:
	s_or_b32 exec_lo, exec_lo, s1
	v_add_nc_u32_e32 v20, 1, v13
	v_add_nc_u32_e32 v21, 1, v15
	s_waitcnt lgkmcnt(0)
	v_cmp_lt_i16_sdwa s2, sext(v19), sext(v18) src0_sel:BYTE_0 src1_sel:BYTE_0
                                        ; implicit-def: $vgpr22
	v_cndmask_b32_e64 v20, v20, v13, s0
	v_cndmask_b32_e64 v21, v15, v21, s0
	v_cmp_ge_i32_e32 vcc_lo, v20, v12
	v_cmp_lt_i32_e64 s1, v21, v14
	s_or_b32 s2, vcc_lo, s2
	s_and_b32 s1, s1, s2
	s_xor_b32 s2, s1, -1
	s_and_saveexec_b32 s3, s2
	s_xor_b32 s2, exec_lo, s3
; %bb.41:
	v_add_nc_u32_e32 v22, v0, v20
	ds_read_u8 v22, v22 offset:1
; %bb.42:
	s_or_saveexec_b32 s2, s2
	v_mov_b32_e32 v23, v19
	s_xor_b32 exec_lo, exec_lo, s2
	s_cbranch_execz .LBB81_44
; %bb.43:
	s_waitcnt lgkmcnt(0)
	v_add_nc_u32_e32 v22, v0, v21
	ds_read_u8 v23, v22 offset:1
	v_mov_b32_e32 v22, v18
.LBB81_44:
	s_or_b32 exec_lo, exec_lo, s2
	v_add_nc_u32_e32 v24, 1, v20
	v_add_nc_u32_e32 v25, 1, v21
	s_waitcnt lgkmcnt(0)
	v_cmp_lt_i16_sdwa s3, sext(v23), sext(v22) src0_sel:BYTE_0 src1_sel:BYTE_0
                                        ; implicit-def: $vgpr26
	v_cndmask_b32_e64 v24, v24, v20, s1
	v_cndmask_b32_e64 v25, v21, v25, s1
	v_cmp_ge_i32_e32 vcc_lo, v24, v12
	v_cmp_lt_i32_e64 s2, v25, v14
	s_or_b32 s3, vcc_lo, s3
	s_and_b32 s2, s2, s3
	s_xor_b32 s3, s2, -1
	s_and_saveexec_b32 s4, s3
	s_xor_b32 s3, exec_lo, s4
; %bb.45:
	v_add_nc_u32_e32 v26, v0, v24
	ds_read_u8 v26, v26 offset:1
; %bb.46:
	s_or_saveexec_b32 s3, s3
	v_mov_b32_e32 v27, v23
	s_xor_b32 exec_lo, exec_lo, s3
	s_cbranch_execz .LBB81_48
; %bb.47:
	s_waitcnt lgkmcnt(0)
	v_add_nc_u32_e32 v26, v0, v25
	ds_read_u8 v27, v26 offset:1
	v_mov_b32_e32 v26, v22
.LBB81_48:
	s_or_b32 exec_lo, exec_lo, s3
	v_add_nc_u32_e32 v28, 1, v24
	v_add_nc_u32_e32 v29, 1, v25
	s_waitcnt lgkmcnt(0)
	v_cmp_lt_i16_sdwa s4, sext(v27), sext(v26) src0_sel:BYTE_0 src1_sel:BYTE_0
                                        ; implicit-def: $vgpr30
	v_cndmask_b32_e64 v28, v28, v24, s2
	v_cndmask_b32_e64 v29, v25, v29, s2
	v_cmp_ge_i32_e32 vcc_lo, v28, v12
	v_cmp_lt_i32_e64 s3, v29, v14
	s_or_b32 s4, vcc_lo, s4
	s_and_b32 s3, s3, s4
	s_xor_b32 s4, s3, -1
	s_and_saveexec_b32 s5, s4
	s_xor_b32 s4, exec_lo, s5
; %bb.49:
	v_add_nc_u32_e32 v30, v0, v28
	ds_read_u8 v30, v30 offset:1
; %bb.50:
	s_or_saveexec_b32 s4, s4
	v_mov_b32_e32 v31, v27
	s_xor_b32 exec_lo, exec_lo, s4
	s_cbranch_execz .LBB81_52
; %bb.51:
	s_waitcnt lgkmcnt(0)
	v_add_nc_u32_e32 v30, v0, v29
	ds_read_u8 v31, v30 offset:1
	v_mov_b32_e32 v30, v26
.LBB81_52:
	s_or_b32 exec_lo, exec_lo, s4
	v_add_nc_u32_e32 v32, 1, v28
	v_add_nc_u32_e32 v33, 1, v29
	s_waitcnt lgkmcnt(0)
	v_cmp_lt_i16_sdwa s5, sext(v31), sext(v30) src0_sel:BYTE_0 src1_sel:BYTE_0
                                        ; implicit-def: $vgpr34
	v_cndmask_b32_e64 v32, v32, v28, s3
	v_cndmask_b32_e64 v33, v29, v33, s3
	v_cmp_ge_i32_e32 vcc_lo, v32, v12
	v_cmp_lt_i32_e64 s4, v33, v14
	s_or_b32 s5, vcc_lo, s5
	s_and_b32 s4, s4, s5
	s_xor_b32 s5, s4, -1
	s_and_saveexec_b32 s6, s5
	s_xor_b32 s5, exec_lo, s6
; %bb.53:
	v_add_nc_u32_e32 v34, v0, v32
	ds_read_u8 v34, v34 offset:1
; %bb.54:
	s_or_saveexec_b32 s5, s5
	v_mov_b32_e32 v35, v31
	s_xor_b32 exec_lo, exec_lo, s5
	s_cbranch_execz .LBB81_56
; %bb.55:
	s_waitcnt lgkmcnt(0)
	v_add_nc_u32_e32 v34, v0, v33
	ds_read_u8 v35, v34 offset:1
	v_mov_b32_e32 v34, v30
.LBB81_56:
	s_or_b32 exec_lo, exec_lo, s5
	v_add_nc_u32_e32 v36, 1, v32
	v_add_nc_u32_e32 v37, 1, v33
	s_waitcnt lgkmcnt(0)
	v_cmp_lt_i16_sdwa s6, sext(v35), sext(v34) src0_sel:BYTE_0 src1_sel:BYTE_0
                                        ; implicit-def: $vgpr38
	v_cndmask_b32_e64 v36, v36, v32, s4
	v_cndmask_b32_e64 v37, v33, v37, s4
	v_cmp_ge_i32_e32 vcc_lo, v36, v12
	v_cmp_lt_i32_e64 s5, v37, v14
	s_or_b32 s6, vcc_lo, s6
	s_and_b32 vcc_lo, s5, s6
	s_xor_b32 s5, vcc_lo, -1
	s_and_saveexec_b32 s6, s5
	s_xor_b32 s5, exec_lo, s6
; %bb.57:
	v_add_nc_u32_e32 v38, v0, v36
	ds_read_u8 v38, v38 offset:1
; %bb.58:
	s_or_saveexec_b32 s5, s5
	v_mov_b32_e32 v40, v35
	s_xor_b32 exec_lo, exec_lo, s5
	s_cbranch_execz .LBB81_60
; %bb.59:
	s_waitcnt lgkmcnt(0)
	v_add_nc_u32_e32 v38, v0, v37
	ds_read_u8 v40, v38 offset:1
	v_mov_b32_e32 v38, v34
.LBB81_60:
	s_or_b32 exec_lo, exec_lo, s5
	v_add_nc_u32_e32 v39, 1, v36
	v_add_nc_u32_e32 v41, 1, v37
	s_waitcnt lgkmcnt(0)
	v_cmp_lt_i16_sdwa s7, sext(v40), sext(v38) src0_sel:BYTE_0 src1_sel:BYTE_0
	v_cndmask_b32_e32 v42, v39, v36, vcc_lo
	v_cndmask_b32_e32 v43, v37, v41, vcc_lo
                                        ; implicit-def: $vgpr39
	v_cmp_ge_i32_e64 s5, v42, v12
	v_cmp_lt_i32_e64 s6, v43, v14
	s_or_b32 s5, s5, s7
	s_and_b32 s5, s6, s5
	s_xor_b32 s6, s5, -1
	s_and_saveexec_b32 s7, s6
	s_xor_b32 s6, exec_lo, s7
; %bb.61:
	v_add_nc_u32_e32 v39, v0, v42
	ds_read_u8 v39, v39 offset:1
; %bb.62:
	s_or_saveexec_b32 s6, s6
	v_mov_b32_e32 v41, v40
	s_xor_b32 exec_lo, exec_lo, s6
	s_cbranch_execz .LBB81_64
; %bb.63:
	s_waitcnt lgkmcnt(0)
	v_add_nc_u32_e32 v39, v0, v43
	ds_read_u8 v41, v39 offset:1
	v_mov_b32_e32 v39, v38
.LBB81_64:
	s_or_b32 exec_lo, exec_lo, s6
	v_add_nc_u32_e32 v44, 1, v43
	v_add_nc_u32_e32 v45, 1, v42
	v_cndmask_b32_e64 v38, v38, v40, s5
	v_perm_b32 v8, v8, v9, 0xc0c0004
	v_perm_b32 v9, v10, v11, 0xc0c0004
	v_cndmask_b32_e64 v40, v43, v44, s5
	v_cndmask_b32_e64 v44, v45, v42, s5
	v_perm_b32 v2, v2, v5, 0xc0c0004
	v_perm_b32 v5, v6, v7, 0xc0c0004
	v_cndmask_b32_sdwa v34, v34, v35, vcc_lo dst_sel:BYTE_1 dst_unused:UNUSED_PAD src0_sel:DWORD src1_sel:DWORD
	v_cndmask_b32_e32 v35, v36, v37, vcc_lo
	v_cndmask_b32_e64 v22, v22, v23, s2
	v_cndmask_b32_e64 v23, v24, v25, s2
	v_cmp_ge_i32_e32 vcc_lo, v44, v12
	s_waitcnt lgkmcnt(0)
	v_cmp_lt_i16_sdwa s2, sext(v41), sext(v39) src0_sel:BYTE_0 src1_sel:BYTE_0
	v_cndmask_b32_e64 v18, v18, v19, s1
	v_cndmask_b32_e64 v19, v20, v21, s1
	v_cmp_lt_i32_e64 s1, v40, v14
	v_cndmask_b32_e64 v7, v13, v15, s0
	v_lshl_or_b32 v6, v9, 16, v8
	v_lshl_or_b32 v5, v5, 16, v2
	v_cndmask_b32_e64 v16, v16, v17, s0
	s_or_b32 s0, vcc_lo, s2
	v_cndmask_b32_e64 v26, v26, v27, s3
	v_cndmask_b32_e64 v27, v28, v29, s3
	s_and_b32 vcc_lo, s1, s0
	v_cndmask_b32_e64 v42, v42, v43, s5
	v_cndmask_b32_e64 v30, v30, v31, s4
	v_cndmask_b32_e64 v31, v32, v33, s4
	v_cndmask_b32_e32 v2, v44, v40, vcc_lo
	; wave barrier
	ds_write_b64 v1, v[5:6]
	v_add_nc_u32_e32 v5, v0, v7
	v_add_nc_u32_e32 v6, v0, v19
	v_add_nc_u32_e32 v7, v0, v23
	v_add_nc_u32_e32 v8, v0, v27
	v_add_nc_u32_e32 v9, v0, v31
	v_add_nc_u32_e32 v10, v0, v35
	v_add_nc_u32_e32 v11, v0, v42
	; wave barrier
	v_add_nc_u32_e32 v12, v0, v2
	ds_read_u8 v2, v5
	ds_read_u8 v5, v6
	;; [unrolled: 1-line block ×8, first 2 shown]
	v_cndmask_b32_e32 v13, v39, v41, vcc_lo
	v_and_b32_e32 v14, 0xc0, v4
	v_lshlrev_b16 v15, 8, v18
	v_lshlrev_b16 v17, 8, v26
	v_or_b32_sdwa v20, v30, v34 dst_sel:DWORD dst_unused:UNUSED_PAD src0_sel:BYTE_0 src1_sel:DWORD
	v_lshlrev_b16 v13, 8, v13
	v_or_b32_e32 v12, 32, v14
	v_or_b32_sdwa v16, v16, v15 dst_sel:DWORD dst_unused:UNUSED_PAD src0_sel:BYTE_0 src1_sel:DWORD
	v_or_b32_sdwa v17, v22, v17 dst_sel:WORD_1 dst_unused:UNUSED_PAD src0_sel:BYTE_0 src1_sel:DWORD
	v_and_b32_e32 v15, 56, v4
	v_or_b32_sdwa v21, v38, v13 dst_sel:WORD_1 dst_unused:UNUSED_PAD src0_sel:BYTE_0 src1_sel:DWORD
	v_sub_nc_u32_e32 v19, v12, v14
	s_mov_b32 s0, exec_lo
	v_or_b32_sdwa v16, v16, v17 dst_sel:DWORD dst_unused:UNUSED_PAD src0_sel:WORD_0 src1_sel:DWORD
	v_sub_nc_u32_e64 v18, v15, 32 clamp
	v_or_b32_sdwa v17, v20, v21 dst_sel:DWORD dst_unused:UNUSED_PAD src0_sel:WORD_0 src1_sel:DWORD
	v_min_i32_e32 v13, v15, v19
	; wave barrier
	ds_write_b64 v1, v[16:17]
	; wave barrier
	v_cmpx_lt_i32_e64 v18, v13
	s_cbranch_execz .LBB81_68
; %bb.65:
	v_add_nc_u32_e32 v16, v0, v14
	s_mov_b32 s1, 0
	v_add_nc_u32_e32 v17, v16, v15
	.p2align	6
.LBB81_66:                              ; =>This Inner Loop Header: Depth=1
	v_sub_nc_u32_e32 v19, v13, v18
	v_lshrrev_b32_e32 v19, 1, v19
	v_add_nc_u32_e32 v19, v19, v18
	v_add_nc_u32_e32 v20, v16, v19
	v_xad_u32 v21, v19, -1, v17
	v_add_nc_u32_e32 v22, 1, v19
	ds_read_i8 v20, v20
	ds_read_i8 v21, v21 offset:32
	s_waitcnt lgkmcnt(0)
	v_cmp_lt_i16_e32 vcc_lo, v21, v20
	v_cndmask_b32_e32 v13, v13, v19, vcc_lo
	v_cndmask_b32_e32 v18, v22, v18, vcc_lo
	v_cmp_ge_i32_e32 vcc_lo, v18, v13
	s_or_b32 s1, vcc_lo, s1
	s_andn2_b32 exec_lo, exec_lo, s1
	s_cbranch_execnz .LBB81_66
; %bb.67:
	s_or_b32 exec_lo, exec_lo, s1
.LBB81_68:
	s_or_b32 exec_lo, exec_lo, s0
	v_add_nc_u32_e32 v16, v14, v15
	v_add_nc_u32_e32 v13, v18, v14
	;; [unrolled: 1-line block ×4, first 2 shown]
	v_cmp_lt_i32_e32 vcc_lo, 31, v18
	v_sub_nc_u32_e32 v16, v16, v18
	v_add_nc_u32_e32 v19, v0, v13
	v_sub_nc_u32_e32 v15, v15, v18
                                        ; implicit-def: $vgpr18
	v_add_nc_u32_e32 v20, v0, v16
	ds_read_u8 v16, v19
	ds_read_u8 v17, v20 offset:32
	v_cmp_gt_i32_e64 s1, v14, v15
	s_waitcnt lgkmcnt(1)
	v_bfe_i32 v16, v16, 0, 8
	s_waitcnt lgkmcnt(0)
	v_bfe_i32 v17, v17, 0, 8
	v_cmp_lt_i16_e64 s0, v17, v16
	s_or_b32 s0, vcc_lo, s0
	s_and_b32 s0, s1, s0
	s_xor_b32 s1, s0, -1
	s_and_saveexec_b32 s2, s1
	s_xor_b32 s1, exec_lo, s2
; %bb.69:
	ds_read_u8 v18, v19 offset:1
                                        ; implicit-def: $vgpr20
; %bb.70:
	s_or_saveexec_b32 s1, s1
	v_mov_b32_e32 v19, v17
	s_xor_b32 exec_lo, exec_lo, s1
	s_cbranch_execz .LBB81_72
; %bb.71:
	ds_read_u8 v19, v20 offset:33
	s_waitcnt lgkmcnt(1)
	v_mov_b32_e32 v18, v16
.LBB81_72:
	s_or_b32 exec_lo, exec_lo, s1
	v_add_nc_u32_e32 v20, 1, v13
	v_add_nc_u32_e32 v21, 1, v15
	s_waitcnt lgkmcnt(0)
	v_cmp_lt_i16_sdwa s2, sext(v19), sext(v18) src0_sel:BYTE_0 src1_sel:BYTE_0
                                        ; implicit-def: $vgpr22
	v_cndmask_b32_e64 v20, v20, v13, s0
	v_cndmask_b32_e64 v21, v15, v21, s0
	v_cmp_ge_i32_e32 vcc_lo, v20, v12
	v_cmp_lt_i32_e64 s1, v21, v14
	s_or_b32 s2, vcc_lo, s2
	s_and_b32 s1, s1, s2
	s_xor_b32 s2, s1, -1
	s_and_saveexec_b32 s3, s2
	s_xor_b32 s2, exec_lo, s3
; %bb.73:
	v_add_nc_u32_e32 v22, v0, v20
	ds_read_u8 v22, v22 offset:1
; %bb.74:
	s_or_saveexec_b32 s2, s2
	v_mov_b32_e32 v23, v19
	s_xor_b32 exec_lo, exec_lo, s2
	s_cbranch_execz .LBB81_76
; %bb.75:
	s_waitcnt lgkmcnt(0)
	v_add_nc_u32_e32 v22, v0, v21
	ds_read_u8 v23, v22 offset:1
	v_mov_b32_e32 v22, v18
.LBB81_76:
	s_or_b32 exec_lo, exec_lo, s2
	v_add_nc_u32_e32 v24, 1, v20
	v_add_nc_u32_e32 v25, 1, v21
	s_waitcnt lgkmcnt(0)
	v_cmp_lt_i16_sdwa s3, sext(v23), sext(v22) src0_sel:BYTE_0 src1_sel:BYTE_0
                                        ; implicit-def: $vgpr26
	v_cndmask_b32_e64 v24, v24, v20, s1
	v_cndmask_b32_e64 v25, v21, v25, s1
	v_cmp_ge_i32_e32 vcc_lo, v24, v12
	v_cmp_lt_i32_e64 s2, v25, v14
	s_or_b32 s3, vcc_lo, s3
	s_and_b32 s2, s2, s3
	s_xor_b32 s3, s2, -1
	s_and_saveexec_b32 s4, s3
	s_xor_b32 s3, exec_lo, s4
; %bb.77:
	v_add_nc_u32_e32 v26, v0, v24
	ds_read_u8 v26, v26 offset:1
; %bb.78:
	s_or_saveexec_b32 s3, s3
	v_mov_b32_e32 v27, v23
	s_xor_b32 exec_lo, exec_lo, s3
	s_cbranch_execz .LBB81_80
; %bb.79:
	s_waitcnt lgkmcnt(0)
	v_add_nc_u32_e32 v26, v0, v25
	ds_read_u8 v27, v26 offset:1
	v_mov_b32_e32 v26, v22
.LBB81_80:
	s_or_b32 exec_lo, exec_lo, s3
	v_add_nc_u32_e32 v28, 1, v24
	v_add_nc_u32_e32 v29, 1, v25
	s_waitcnt lgkmcnt(0)
	v_cmp_lt_i16_sdwa s4, sext(v27), sext(v26) src0_sel:BYTE_0 src1_sel:BYTE_0
                                        ; implicit-def: $vgpr30
	v_cndmask_b32_e64 v28, v28, v24, s2
	v_cndmask_b32_e64 v29, v25, v29, s2
	v_cmp_ge_i32_e32 vcc_lo, v28, v12
	v_cmp_lt_i32_e64 s3, v29, v14
	s_or_b32 s4, vcc_lo, s4
	s_and_b32 s3, s3, s4
	s_xor_b32 s4, s3, -1
	s_and_saveexec_b32 s5, s4
	s_xor_b32 s4, exec_lo, s5
; %bb.81:
	v_add_nc_u32_e32 v30, v0, v28
	ds_read_u8 v30, v30 offset:1
; %bb.82:
	s_or_saveexec_b32 s4, s4
	v_mov_b32_e32 v31, v27
	s_xor_b32 exec_lo, exec_lo, s4
	s_cbranch_execz .LBB81_84
; %bb.83:
	s_waitcnt lgkmcnt(0)
	v_add_nc_u32_e32 v30, v0, v29
	ds_read_u8 v31, v30 offset:1
	v_mov_b32_e32 v30, v26
.LBB81_84:
	s_or_b32 exec_lo, exec_lo, s4
	v_add_nc_u32_e32 v32, 1, v28
	v_add_nc_u32_e32 v33, 1, v29
	s_waitcnt lgkmcnt(0)
	v_cmp_lt_i16_sdwa s5, sext(v31), sext(v30) src0_sel:BYTE_0 src1_sel:BYTE_0
                                        ; implicit-def: $vgpr34
	v_cndmask_b32_e64 v32, v32, v28, s3
	v_cndmask_b32_e64 v33, v29, v33, s3
	v_cmp_ge_i32_e32 vcc_lo, v32, v12
	v_cmp_lt_i32_e64 s4, v33, v14
	s_or_b32 s5, vcc_lo, s5
	s_and_b32 s4, s4, s5
	s_xor_b32 s5, s4, -1
	s_and_saveexec_b32 s6, s5
	s_xor_b32 s5, exec_lo, s6
; %bb.85:
	v_add_nc_u32_e32 v34, v0, v32
	ds_read_u8 v34, v34 offset:1
; %bb.86:
	s_or_saveexec_b32 s5, s5
	v_mov_b32_e32 v35, v31
	s_xor_b32 exec_lo, exec_lo, s5
	s_cbranch_execz .LBB81_88
; %bb.87:
	s_waitcnt lgkmcnt(0)
	v_add_nc_u32_e32 v34, v0, v33
	ds_read_u8 v35, v34 offset:1
	v_mov_b32_e32 v34, v30
.LBB81_88:
	s_or_b32 exec_lo, exec_lo, s5
	v_add_nc_u32_e32 v36, 1, v32
	v_add_nc_u32_e32 v37, 1, v33
	s_waitcnt lgkmcnt(0)
	v_cmp_lt_i16_sdwa s6, sext(v35), sext(v34) src0_sel:BYTE_0 src1_sel:BYTE_0
                                        ; implicit-def: $vgpr38
	v_cndmask_b32_e64 v36, v36, v32, s4
	v_cndmask_b32_e64 v37, v33, v37, s4
	v_cmp_ge_i32_e32 vcc_lo, v36, v12
	v_cmp_lt_i32_e64 s5, v37, v14
	s_or_b32 s6, vcc_lo, s6
	s_and_b32 vcc_lo, s5, s6
	s_xor_b32 s5, vcc_lo, -1
	s_and_saveexec_b32 s6, s5
	s_xor_b32 s5, exec_lo, s6
; %bb.89:
	v_add_nc_u32_e32 v38, v0, v36
	ds_read_u8 v38, v38 offset:1
; %bb.90:
	s_or_saveexec_b32 s5, s5
	v_mov_b32_e32 v40, v35
	s_xor_b32 exec_lo, exec_lo, s5
	s_cbranch_execz .LBB81_92
; %bb.91:
	s_waitcnt lgkmcnt(0)
	v_add_nc_u32_e32 v38, v0, v37
	ds_read_u8 v40, v38 offset:1
	v_mov_b32_e32 v38, v34
.LBB81_92:
	s_or_b32 exec_lo, exec_lo, s5
	v_add_nc_u32_e32 v39, 1, v36
	v_add_nc_u32_e32 v41, 1, v37
	s_waitcnt lgkmcnt(0)
	v_cmp_lt_i16_sdwa s7, sext(v40), sext(v38) src0_sel:BYTE_0 src1_sel:BYTE_0
	v_cndmask_b32_e32 v42, v39, v36, vcc_lo
	v_cndmask_b32_e32 v43, v37, v41, vcc_lo
                                        ; implicit-def: $vgpr39
	v_cmp_ge_i32_e64 s5, v42, v12
	v_cmp_lt_i32_e64 s6, v43, v14
	s_or_b32 s5, s5, s7
	s_and_b32 s5, s6, s5
	s_xor_b32 s6, s5, -1
	s_and_saveexec_b32 s7, s6
	s_xor_b32 s6, exec_lo, s7
; %bb.93:
	v_add_nc_u32_e32 v39, v0, v42
	ds_read_u8 v39, v39 offset:1
; %bb.94:
	s_or_saveexec_b32 s6, s6
	v_mov_b32_e32 v41, v40
	s_xor_b32 exec_lo, exec_lo, s6
	s_cbranch_execz .LBB81_96
; %bb.95:
	s_waitcnt lgkmcnt(0)
	v_add_nc_u32_e32 v39, v0, v43
	ds_read_u8 v41, v39 offset:1
	v_mov_b32_e32 v39, v38
.LBB81_96:
	s_or_b32 exec_lo, exec_lo, s6
	v_add_nc_u32_e32 v44, 1, v43
	v_add_nc_u32_e32 v45, 1, v42
	v_cndmask_b32_e64 v38, v38, v40, s5
	v_perm_b32 v8, v8, v9, 0xc0c0004
	v_perm_b32 v9, v10, v11, 0xc0c0004
	v_cndmask_b32_e64 v40, v43, v44, s5
	v_cndmask_b32_e64 v44, v45, v42, s5
	v_perm_b32 v2, v2, v5, 0xc0c0004
	v_perm_b32 v5, v6, v7, 0xc0c0004
	v_cndmask_b32_sdwa v34, v34, v35, vcc_lo dst_sel:BYTE_1 dst_unused:UNUSED_PAD src0_sel:DWORD src1_sel:DWORD
	v_cndmask_b32_e32 v35, v36, v37, vcc_lo
	v_cndmask_b32_e64 v22, v22, v23, s2
	v_cndmask_b32_e64 v23, v24, v25, s2
	v_cmp_ge_i32_e32 vcc_lo, v44, v12
	s_waitcnt lgkmcnt(0)
	v_cmp_lt_i16_sdwa s2, sext(v41), sext(v39) src0_sel:BYTE_0 src1_sel:BYTE_0
	v_cndmask_b32_e64 v18, v18, v19, s1
	v_cndmask_b32_e64 v19, v20, v21, s1
	v_cmp_lt_i32_e64 s1, v40, v14
	v_cndmask_b32_e64 v7, v13, v15, s0
	v_lshl_or_b32 v6, v9, 16, v8
	v_lshl_or_b32 v5, v5, 16, v2
	v_cndmask_b32_e64 v16, v16, v17, s0
	s_or_b32 s0, vcc_lo, s2
	v_cndmask_b32_e64 v26, v26, v27, s3
	v_cndmask_b32_e64 v27, v28, v29, s3
	s_and_b32 vcc_lo, s1, s0
	v_cndmask_b32_e64 v42, v42, v43, s5
	v_cndmask_b32_e64 v30, v30, v31, s4
	;; [unrolled: 1-line block ×3, first 2 shown]
	v_cndmask_b32_e32 v2, v44, v40, vcc_lo
	; wave barrier
	ds_write_b64 v1, v[5:6]
	v_add_nc_u32_e32 v5, v0, v7
	v_add_nc_u32_e32 v6, v0, v19
	;; [unrolled: 1-line block ×7, first 2 shown]
	; wave barrier
	v_add_nc_u32_e32 v12, v0, v2
	ds_read_u8 v2, v5
	ds_read_u8 v5, v6
	;; [unrolled: 1-line block ×8, first 2 shown]
	v_cndmask_b32_e32 v14, v39, v41, vcc_lo
	v_and_b32_e32 v13, 0x80, v4
	v_lshlrev_b16 v15, 8, v18
	v_lshlrev_b16 v17, 8, v26
	v_or_b32_sdwa v20, v30, v34 dst_sel:DWORD dst_unused:UNUSED_PAD src0_sel:BYTE_0 src1_sel:DWORD
	v_lshlrev_b16 v14, 8, v14
	v_or_b32_e32 v12, 64, v13
	v_or_b32_sdwa v16, v16, v15 dst_sel:DWORD dst_unused:UNUSED_PAD src0_sel:BYTE_0 src1_sel:DWORD
	v_or_b32_sdwa v17, v22, v17 dst_sel:WORD_1 dst_unused:UNUSED_PAD src0_sel:BYTE_0 src1_sel:DWORD
	v_and_b32_e32 v15, 0x78, v4
	v_or_b32_sdwa v21, v38, v14 dst_sel:WORD_1 dst_unused:UNUSED_PAD src0_sel:BYTE_0 src1_sel:DWORD
	v_sub_nc_u32_e32 v19, v12, v13
	s_mov_b32 s0, exec_lo
	v_or_b32_sdwa v16, v16, v17 dst_sel:DWORD dst_unused:UNUSED_PAD src0_sel:WORD_0 src1_sel:DWORD
	v_sub_nc_u32_e64 v18, v15, 64 clamp
	v_or_b32_sdwa v17, v20, v21 dst_sel:DWORD dst_unused:UNUSED_PAD src0_sel:WORD_0 src1_sel:DWORD
	v_min_i32_e32 v14, v15, v19
	; wave barrier
	ds_write_b64 v1, v[16:17]
	; wave barrier
	v_cmpx_lt_i32_e64 v18, v14
	s_cbranch_execz .LBB81_100
; %bb.97:
	v_add_nc_u32_e32 v16, v0, v13
	s_mov_b32 s1, 0
	v_add_nc_u32_e32 v17, v16, v15
	.p2align	6
.LBB81_98:                              ; =>This Inner Loop Header: Depth=1
	v_sub_nc_u32_e32 v19, v14, v18
	v_lshrrev_b32_e32 v19, 1, v19
	v_add_nc_u32_e32 v19, v19, v18
	v_add_nc_u32_e32 v20, v16, v19
	v_xad_u32 v21, v19, -1, v17
	v_add_nc_u32_e32 v22, 1, v19
	ds_read_i8 v20, v20
	ds_read_i8 v21, v21 offset:64
	s_waitcnt lgkmcnt(0)
	v_cmp_lt_i16_e32 vcc_lo, v21, v20
	v_cndmask_b32_e32 v14, v14, v19, vcc_lo
	v_cndmask_b32_e32 v18, v22, v18, vcc_lo
	v_cmp_ge_i32_e32 vcc_lo, v18, v14
	s_or_b32 s1, vcc_lo, s1
	s_andn2_b32 exec_lo, exec_lo, s1
	s_cbranch_execnz .LBB81_98
; %bb.99:
	s_or_b32 exec_lo, exec_lo, s1
.LBB81_100:
	s_or_b32 exec_lo, exec_lo, s0
	v_add_nc_u32_e32 v16, v13, v15
	v_add_nc_u32_e32 v14, v18, v13
	;; [unrolled: 1-line block ×4, first 2 shown]
	v_cmp_lt_i32_e32 vcc_lo, 63, v18
	v_sub_nc_u32_e32 v16, v16, v18
	v_add_nc_u32_e32 v19, v0, v14
	v_add_nc_u32_e32 v20, v0, v16
	ds_read_u8 v16, v19
	ds_read_u8 v17, v20 offset:64
	s_waitcnt lgkmcnt(1)
	v_bfe_i32 v15, v16, 0, 8
	s_waitcnt lgkmcnt(0)
	v_bfe_i32 v16, v17, 0, 8
	v_sub_nc_u32_e32 v17, v21, v18
                                        ; implicit-def: $vgpr18
	v_cmp_lt_i16_e64 s0, v16, v15
	v_cmp_gt_i32_e64 s1, v13, v17
	s_or_b32 s0, vcc_lo, s0
	s_and_b32 s0, s1, s0
	s_xor_b32 s1, s0, -1
	s_and_saveexec_b32 s2, s1
	s_xor_b32 s1, exec_lo, s2
; %bb.101:
	ds_read_u8 v18, v19 offset:1
                                        ; implicit-def: $vgpr20
; %bb.102:
	s_or_saveexec_b32 s1, s1
	v_mov_b32_e32 v19, v16
	s_xor_b32 exec_lo, exec_lo, s1
	s_cbranch_execz .LBB81_104
; %bb.103:
	ds_read_u8 v19, v20 offset:65
	s_waitcnt lgkmcnt(1)
	v_mov_b32_e32 v18, v15
.LBB81_104:
	s_or_b32 exec_lo, exec_lo, s1
	v_add_nc_u32_e32 v20, 1, v14
	v_add_nc_u32_e32 v21, 1, v17
	s_waitcnt lgkmcnt(0)
	v_cmp_lt_i16_sdwa s2, sext(v19), sext(v18) src0_sel:BYTE_0 src1_sel:BYTE_0
                                        ; implicit-def: $vgpr22
	v_cndmask_b32_e64 v20, v20, v14, s0
	v_cndmask_b32_e64 v21, v17, v21, s0
	v_cmp_ge_i32_e32 vcc_lo, v20, v12
	v_cmp_lt_i32_e64 s1, v21, v13
	s_or_b32 s2, vcc_lo, s2
	s_and_b32 s1, s1, s2
	s_xor_b32 s2, s1, -1
	s_and_saveexec_b32 s3, s2
	s_xor_b32 s2, exec_lo, s3
; %bb.105:
	v_add_nc_u32_e32 v22, v0, v20
	ds_read_u8 v22, v22 offset:1
; %bb.106:
	s_or_saveexec_b32 s2, s2
	v_mov_b32_e32 v23, v19
	s_xor_b32 exec_lo, exec_lo, s2
	s_cbranch_execz .LBB81_108
; %bb.107:
	s_waitcnt lgkmcnt(0)
	v_add_nc_u32_e32 v22, v0, v21
	ds_read_u8 v23, v22 offset:1
	v_mov_b32_e32 v22, v18
.LBB81_108:
	s_or_b32 exec_lo, exec_lo, s2
	v_add_nc_u32_e32 v24, 1, v20
	v_add_nc_u32_e32 v26, 1, v21
	s_waitcnt lgkmcnt(0)
	v_cmp_lt_i16_sdwa s3, sext(v23), sext(v22) src0_sel:BYTE_0 src1_sel:BYTE_0
                                        ; implicit-def: $vgpr28
	v_cndmask_b32_e64 v25, v24, v20, s1
	v_cndmask_b32_e64 v26, v21, v26, s1
	v_cmp_ge_i32_e32 vcc_lo, v25, v12
	v_cmp_lt_i32_e64 s2, v26, v13
	s_or_b32 s3, vcc_lo, s3
	s_and_b32 s2, s2, s3
	s_xor_b32 s3, s2, -1
	s_and_saveexec_b32 s4, s3
	s_xor_b32 s3, exec_lo, s4
; %bb.109:
	v_add_nc_u32_e32 v24, v0, v25
	ds_read_u8 v28, v24 offset:1
; %bb.110:
	s_or_saveexec_b32 s3, s3
	v_mov_b32_e32 v29, v23
	s_xor_b32 exec_lo, exec_lo, s3
	s_cbranch_execz .LBB81_112
; %bb.111:
	v_add_nc_u32_e32 v24, v0, v26
	s_waitcnt lgkmcnt(0)
	v_mov_b32_e32 v28, v22
	ds_read_u8 v29, v24 offset:1
.LBB81_112:
	s_or_b32 exec_lo, exec_lo, s3
	v_add_nc_u32_e32 v24, 1, v25
	v_add_nc_u32_e32 v27, 1, v26
	s_waitcnt lgkmcnt(0)
	v_cmp_lt_i16_sdwa s4, sext(v29), sext(v28) src0_sel:BYTE_0 src1_sel:BYTE_0
	v_cndmask_b32_e64 v30, v24, v25, s2
	v_cndmask_b32_e64 v31, v26, v27, s2
                                        ; implicit-def: $vgpr24
	v_cmp_ge_i32_e32 vcc_lo, v30, v12
	v_cmp_lt_i32_e64 s3, v31, v13
	s_or_b32 s4, vcc_lo, s4
	s_and_b32 s4, s3, s4
	s_xor_b32 s3, s4, -1
	s_and_saveexec_b32 s5, s3
	s_xor_b32 s3, exec_lo, s5
; %bb.113:
	v_add_nc_u32_e32 v24, v0, v30
	ds_read_u8 v24, v24 offset:1
; %bb.114:
	s_or_saveexec_b32 s3, s3
	v_mov_b32_e32 v27, v29
	s_xor_b32 exec_lo, exec_lo, s3
	s_cbranch_execz .LBB81_116
; %bb.115:
	s_waitcnt lgkmcnt(0)
	v_add_nc_u32_e32 v24, v0, v31
	ds_read_u8 v27, v24 offset:1
	v_mov_b32_e32 v24, v28
.LBB81_116:
	s_or_b32 exec_lo, exec_lo, s3
	v_add_nc_u32_e32 v32, 1, v30
	v_add_nc_u32_e32 v33, 1, v31
	s_waitcnt lgkmcnt(0)
	v_cmp_lt_i16_sdwa s5, sext(v27), sext(v24) src0_sel:BYTE_0 src1_sel:BYTE_0
                                        ; implicit-def: $vgpr34
	v_cndmask_b32_e64 v32, v32, v30, s4
	v_cndmask_b32_e64 v33, v31, v33, s4
	v_cmp_ge_i32_e32 vcc_lo, v32, v12
	v_cmp_lt_i32_e64 s3, v33, v13
	s_or_b32 s5, vcc_lo, s5
	s_and_b32 s3, s3, s5
	s_xor_b32 s5, s3, -1
	s_and_saveexec_b32 s6, s5
	s_xor_b32 s5, exec_lo, s6
; %bb.117:
	v_add_nc_u32_e32 v34, v0, v32
	ds_read_u8 v34, v34 offset:1
; %bb.118:
	s_or_saveexec_b32 s5, s5
	v_mov_b32_e32 v35, v27
	s_xor_b32 exec_lo, exec_lo, s5
	s_cbranch_execz .LBB81_120
; %bb.119:
	s_waitcnt lgkmcnt(0)
	v_add_nc_u32_e32 v34, v0, v33
	ds_read_u8 v35, v34 offset:1
	v_mov_b32_e32 v34, v24
.LBB81_120:
	s_or_b32 exec_lo, exec_lo, s5
	v_add_nc_u32_e32 v36, 1, v32
	v_add_nc_u32_e32 v37, 1, v33
	s_waitcnt lgkmcnt(0)
	v_cmp_lt_i16_sdwa s6, sext(v35), sext(v34) src0_sel:BYTE_0 src1_sel:BYTE_0
                                        ; implicit-def: $vgpr38
	v_cndmask_b32_e64 v36, v36, v32, s3
	v_cndmask_b32_e64 v37, v33, v37, s3
	v_cmp_ge_i32_e32 vcc_lo, v36, v12
	v_cmp_lt_i32_e64 s5, v37, v13
	s_or_b32 s6, vcc_lo, s6
	s_and_b32 vcc_lo, s5, s6
	s_xor_b32 s5, vcc_lo, -1
	s_and_saveexec_b32 s6, s5
	s_xor_b32 s5, exec_lo, s6
; %bb.121:
	v_add_nc_u32_e32 v38, v0, v36
	ds_read_u8 v38, v38 offset:1
; %bb.122:
	s_or_saveexec_b32 s5, s5
	v_mov_b32_e32 v40, v35
	s_xor_b32 exec_lo, exec_lo, s5
	s_cbranch_execz .LBB81_124
; %bb.123:
	s_waitcnt lgkmcnt(0)
	v_add_nc_u32_e32 v38, v0, v37
	ds_read_u8 v40, v38 offset:1
	v_mov_b32_e32 v38, v34
.LBB81_124:
	s_or_b32 exec_lo, exec_lo, s5
	v_add_nc_u32_e32 v39, 1, v36
	v_add_nc_u32_e32 v41, 1, v37
	s_waitcnt lgkmcnt(0)
	v_cmp_lt_i16_sdwa s7, sext(v40), sext(v38) src0_sel:BYTE_0 src1_sel:BYTE_0
	v_cndmask_b32_e32 v42, v39, v36, vcc_lo
	v_cndmask_b32_e32 v43, v37, v41, vcc_lo
                                        ; implicit-def: $vgpr39
	v_cmp_ge_i32_e64 s5, v42, v12
	v_cmp_lt_i32_e64 s6, v43, v13
	s_or_b32 s5, s5, s7
	s_and_b32 s5, s6, s5
	s_xor_b32 s6, s5, -1
	s_and_saveexec_b32 s7, s6
	s_xor_b32 s6, exec_lo, s7
; %bb.125:
	v_add_nc_u32_e32 v39, v0, v42
	ds_read_u8 v39, v39 offset:1
; %bb.126:
	s_or_saveexec_b32 s6, s6
	v_mov_b32_e32 v41, v40
	s_xor_b32 exec_lo, exec_lo, s6
	s_cbranch_execz .LBB81_128
; %bb.127:
	s_waitcnt lgkmcnt(0)
	v_add_nc_u32_e32 v39, v0, v43
	ds_read_u8 v41, v39 offset:1
	v_mov_b32_e32 v39, v38
.LBB81_128:
	s_or_b32 exec_lo, exec_lo, s6
	v_add_nc_u32_e32 v44, 1, v43
	v_add_nc_u32_e32 v45, 1, v42
	v_cndmask_b32_e64 v38, v38, v40, s5
	v_perm_b32 v8, v8, v9, 0xc0c0004
	v_perm_b32 v9, v10, v11, 0xc0c0004
	v_cndmask_b32_e64 v40, v43, v44, s5
	v_cndmask_b32_e64 v44, v45, v42, s5
	v_perm_b32 v2, v2, v5, 0xc0c0004
	v_perm_b32 v5, v6, v7, 0xc0c0004
	v_cndmask_b32_sdwa v34, v34, v35, vcc_lo dst_sel:BYTE_1 dst_unused:UNUSED_PAD src0_sel:DWORD src1_sel:DWORD
	v_cndmask_b32_e32 v35, v36, v37, vcc_lo
	v_cndmask_b32_e64 v18, v18, v19, s1
	v_cndmask_b32_e64 v19, v20, v21, s1
	v_cmp_ge_i32_e32 vcc_lo, v44, v12
	s_waitcnt lgkmcnt(0)
	v_cmp_lt_i16_sdwa s1, sext(v41), sext(v39) src0_sel:BYTE_0 src1_sel:BYTE_0
	v_cndmask_b32_e64 v15, v15, v16, s0
	v_cndmask_b32_e64 v14, v14, v17, s0
	v_cmp_lt_i32_e64 s0, v40, v13
	v_add_nc_u32_e32 v16, v0, v4
	v_lshl_or_b32 v6, v9, 16, v8
	v_lshl_or_b32 v5, v5, 16, v2
	s_or_b32 s1, vcc_lo, s1
	v_cndmask_b32_e64 v22, v22, v23, s2
	v_cndmask_b32_e64 v23, v25, v26, s2
	;; [unrolled: 1-line block ×4, first 2 shown]
	s_and_b32 vcc_lo, s0, s1
	v_cndmask_b32_e64 v42, v42, v43, s5
	v_cndmask_b32_e64 v32, v32, v33, s3
	v_cndmask_b32_e32 v2, v44, v40, vcc_lo
	; wave barrier
	ds_write_b64 v16, v[5:6]
	v_add_nc_u32_e32 v5, v0, v14
	v_add_nc_u32_e32 v6, v0, v19
	;; [unrolled: 1-line block ×7, first 2 shown]
	; wave barrier
	v_add_nc_u32_e32 v13, v0, v2
	ds_read_u8 v2, v5
	ds_read_u8 v5, v6
	;; [unrolled: 1-line block ×8, first 2 shown]
	v_cndmask_b32_e32 v12, v39, v41, vcc_lo
	v_lshlrev_b16 v13, 8, v18
	v_lshlrev_b16 v14, 8, v28
	v_cndmask_b32_e64 v17, v24, v27, s3
	s_mov_b32 s0, exec_lo
	v_lshlrev_b16 v12, 8, v12
	v_or_b32_sdwa v15, v15, v13 dst_sel:DWORD dst_unused:UNUSED_PAD src0_sel:BYTE_0 src1_sel:DWORD
	v_or_b32_sdwa v14, v22, v14 dst_sel:WORD_1 dst_unused:UNUSED_PAD src0_sel:BYTE_0 src1_sel:DWORD
	v_or_b32_sdwa v17, v17, v34 dst_sel:DWORD dst_unused:UNUSED_PAD src0_sel:BYTE_0 src1_sel:DWORD
	v_min_u32_e32 v13, 0x80, v4
	v_or_b32_sdwa v18, v38, v12 dst_sel:WORD_1 dst_unused:UNUSED_PAD src0_sel:BYTE_0 src1_sel:DWORD
	v_subrev_nc_u32_e64 v12, 0x80, v4 clamp
	v_or_b32_sdwa v14, v15, v14 dst_sel:DWORD dst_unused:UNUSED_PAD src0_sel:WORD_0 src1_sel:DWORD
	; wave barrier
	v_or_b32_sdwa v15, v17, v18 dst_sel:DWORD dst_unused:UNUSED_PAD src0_sel:WORD_0 src1_sel:DWORD
	ds_write_b64 v16, v[14:15]
	; wave barrier
	v_cmpx_lt_u32_e64 v12, v13
	s_cbranch_execz .LBB81_132
; %bb.129:
	s_mov_b32 s1, 0
	.p2align	6
.LBB81_130:                             ; =>This Inner Loop Header: Depth=1
	v_sub_nc_u32_e32 v14, v13, v12
	v_lshrrev_b32_e32 v14, 1, v14
	v_add_nc_u32_e32 v14, v14, v12
	v_add_nc_u32_e32 v15, v0, v14
	v_xad_u32 v16, v14, -1, v1
	v_add_nc_u32_e32 v17, 1, v14
	ds_read_i8 v15, v15
	ds_read_i8 v16, v16 offset:128
	s_waitcnt lgkmcnt(0)
	v_cmp_lt_i16_e32 vcc_lo, v16, v15
	v_cndmask_b32_e32 v13, v13, v14, vcc_lo
	v_cndmask_b32_e32 v12, v17, v12, vcc_lo
	v_cmp_ge_i32_e32 vcc_lo, v12, v13
	s_or_b32 s1, vcc_lo, s1
	s_andn2_b32 exec_lo, exec_lo, s1
	s_cbranch_execnz .LBB81_130
; %bb.131:
	s_or_b32 exec_lo, exec_lo, s1
.LBB81_132:
	s_or_b32 exec_lo, exec_lo, s0
	v_sub_nc_u32_e32 v14, v4, v12
	v_add_nc_u32_e32 v15, v0, v12
	v_cmp_lt_i32_e32 vcc_lo, 0x7f, v12
	v_add_nc_u32_e32 v17, v0, v14
	v_add_nc_u32_e32 v16, 0x80, v14
                                        ; implicit-def: $vgpr14
	ds_read_u8 v4, v15
	ds_read_u8 v13, v17 offset:128
	v_cmp_gt_i32_e64 s1, 0x100, v16
	s_waitcnt lgkmcnt(1)
	v_bfe_i32 v4, v4, 0, 8
	s_waitcnt lgkmcnt(0)
	v_bfe_i32 v13, v13, 0, 8
	v_cmp_lt_i16_e64 s0, v13, v4
	s_or_b32 s0, vcc_lo, s0
	s_and_b32 vcc_lo, s1, s0
	s_xor_b32 s0, vcc_lo, -1
	s_and_saveexec_b32 s1, s0
	s_xor_b32 s0, exec_lo, s1
; %bb.133:
	ds_read_u8 v14, v15 offset:1
                                        ; implicit-def: $vgpr17
; %bb.134:
	s_or_saveexec_b32 s0, s0
	v_mov_b32_e32 v15, v13
	s_xor_b32 exec_lo, exec_lo, s0
	s_cbranch_execz .LBB81_136
; %bb.135:
	ds_read_u8 v15, v17 offset:129
	s_waitcnt lgkmcnt(1)
	v_mov_b32_e32 v14, v4
.LBB81_136:
	s_or_b32 exec_lo, exec_lo, s0
	v_add_nc_u32_e32 v17, 1, v12
	v_add_nc_u32_e32 v18, 1, v16
	s_waitcnt lgkmcnt(0)
	v_cmp_lt_i16_sdwa s2, sext(v15), sext(v14) src0_sel:BYTE_0 src1_sel:BYTE_0
	v_cndmask_b32_e32 v20, v17, v12, vcc_lo
	v_cndmask_b32_e32 v21, v16, v18, vcc_lo
                                        ; implicit-def: $vgpr17
	v_cmp_lt_i32_e64 s0, 0x7f, v20
	v_cmp_gt_i32_e64 s1, 0x100, v21
	s_or_b32 s0, s0, s2
	s_and_b32 s0, s1, s0
	s_xor_b32 s1, s0, -1
	s_and_saveexec_b32 s2, s1
	s_xor_b32 s1, exec_lo, s2
; %bb.137:
	v_add_nc_u32_e32 v17, v0, v20
	ds_read_u8 v17, v17 offset:1
; %bb.138:
	s_or_saveexec_b32 s1, s1
	v_mov_b32_e32 v18, v15
	s_xor_b32 exec_lo, exec_lo, s1
	s_cbranch_execz .LBB81_140
; %bb.139:
	s_waitcnt lgkmcnt(0)
	v_add_nc_u32_e32 v17, v0, v21
	ds_read_u8 v18, v17 offset:1
	v_mov_b32_e32 v17, v14
.LBB81_140:
	s_or_b32 exec_lo, exec_lo, s1
	v_add_nc_u32_e32 v19, 1, v20
	v_add_nc_u32_e32 v22, 1, v21
	s_waitcnt lgkmcnt(0)
	v_cmp_lt_i16_sdwa s3, sext(v18), sext(v17) src0_sel:BYTE_0 src1_sel:BYTE_0
	v_cndmask_b32_e64 v24, v19, v20, s0
	v_cndmask_b32_e64 v25, v21, v22, s0
                                        ; implicit-def: $vgpr19
	v_cmp_lt_i32_e64 s1, 0x7f, v24
	v_cmp_gt_i32_e64 s2, 0x100, v25
	s_or_b32 s1, s1, s3
	s_and_b32 s1, s2, s1
	s_xor_b32 s2, s1, -1
	s_and_saveexec_b32 s3, s2
	s_xor_b32 s2, exec_lo, s3
; %bb.141:
	v_add_nc_u32_e32 v19, v0, v24
	ds_read_u8 v19, v19 offset:1
; %bb.142:
	s_or_saveexec_b32 s2, s2
	v_mov_b32_e32 v22, v18
	s_xor_b32 exec_lo, exec_lo, s2
	s_cbranch_execz .LBB81_144
; %bb.143:
	s_waitcnt lgkmcnt(0)
	v_add_nc_u32_e32 v19, v0, v25
	ds_read_u8 v22, v19 offset:1
	v_mov_b32_e32 v19, v17
.LBB81_144:
	s_or_b32 exec_lo, exec_lo, s2
	v_add_nc_u32_e32 v23, 1, v24
	v_add_nc_u32_e32 v26, 1, v25
	s_waitcnt lgkmcnt(0)
	v_cmp_lt_i16_sdwa s4, sext(v22), sext(v19) src0_sel:BYTE_0 src1_sel:BYTE_0
	v_cndmask_b32_e64 v28, v23, v24, s1
	v_cndmask_b32_e64 v29, v25, v26, s1
                                        ; implicit-def: $vgpr23
	v_cmp_lt_i32_e64 s2, 0x7f, v28
	v_cmp_gt_i32_e64 s3, 0x100, v29
	s_or_b32 s2, s2, s4
	s_and_b32 s2, s3, s2
	s_xor_b32 s3, s2, -1
	s_and_saveexec_b32 s4, s3
	s_xor_b32 s3, exec_lo, s4
; %bb.145:
	v_add_nc_u32_e32 v23, v0, v28
	ds_read_u8 v23, v23 offset:1
; %bb.146:
	s_or_saveexec_b32 s3, s3
	v_mov_b32_e32 v26, v22
	s_xor_b32 exec_lo, exec_lo, s3
	s_cbranch_execz .LBB81_148
; %bb.147:
	s_waitcnt lgkmcnt(0)
	v_add_nc_u32_e32 v23, v0, v29
	ds_read_u8 v26, v23 offset:1
	v_mov_b32_e32 v23, v19
.LBB81_148:
	s_or_b32 exec_lo, exec_lo, s3
	v_add_nc_u32_e32 v27, 1, v28
	v_add_nc_u32_e32 v30, 1, v29
	s_waitcnt lgkmcnt(0)
	v_cmp_lt_i16_sdwa s5, sext(v26), sext(v23) src0_sel:BYTE_0 src1_sel:BYTE_0
	v_cndmask_b32_e64 v31, v27, v28, s2
	v_cndmask_b32_e64 v32, v29, v30, s2
                                        ; implicit-def: $vgpr27
	v_cmp_lt_i32_e64 s3, 0x7f, v31
	v_cmp_gt_i32_e64 s4, 0x100, v32
	s_or_b32 s3, s3, s5
	s_and_b32 s3, s4, s3
	s_xor_b32 s4, s3, -1
	s_and_saveexec_b32 s5, s4
	s_xor_b32 s4, exec_lo, s5
; %bb.149:
	v_add_nc_u32_e32 v27, v0, v31
	ds_read_u8 v27, v27 offset:1
; %bb.150:
	s_or_saveexec_b32 s4, s4
	v_mov_b32_e32 v30, v26
	s_xor_b32 exec_lo, exec_lo, s4
	s_cbranch_execz .LBB81_152
; %bb.151:
	s_waitcnt lgkmcnt(0)
	v_add_nc_u32_e32 v27, v0, v32
	ds_read_u8 v30, v27 offset:1
	v_mov_b32_e32 v27, v23
.LBB81_152:
	s_or_b32 exec_lo, exec_lo, s4
	v_add_nc_u32_e32 v33, 1, v31
	v_add_nc_u32_e32 v34, 1, v32
	s_waitcnt lgkmcnt(0)
	v_cmp_lt_i16_sdwa s6, sext(v30), sext(v27) src0_sel:BYTE_0 src1_sel:BYTE_0
                                        ; implicit-def: $vgpr39
	v_cndmask_b32_e64 v33, v33, v31, s3
	v_cndmask_b32_e64 v34, v32, v34, s3
	v_cmp_lt_i32_e64 s4, 0x7f, v33
	v_cmp_gt_i32_e64 s5, 0x100, v34
	s_or_b32 s4, s4, s6
	s_and_b32 s4, s5, s4
	s_xor_b32 s5, s4, -1
	s_and_saveexec_b32 s6, s5
	s_xor_b32 s5, exec_lo, s6
; %bb.153:
	v_add_nc_u32_e32 v35, v0, v33
	ds_read_u8 v39, v35 offset:1
; %bb.154:
	s_or_saveexec_b32 s5, s5
	v_mov_b32_e32 v36, v30
	s_xor_b32 exec_lo, exec_lo, s5
	s_cbranch_execz .LBB81_156
; %bb.155:
	v_add_nc_u32_e32 v35, v0, v34
	s_waitcnt lgkmcnt(0)
	v_mov_b32_e32 v39, v27
	ds_read_u8 v36, v35 offset:1
.LBB81_156:
	s_or_b32 exec_lo, exec_lo, s5
	v_add_nc_u32_e32 v35, 1, v33
	v_add_nc_u32_e32 v37, 1, v34
	s_waitcnt lgkmcnt(0)
	v_cmp_ge_i16_sdwa s7, sext(v36), sext(v39) src0_sel:BYTE_0 src1_sel:BYTE_0
                                        ; implicit-def: $vgpr41
                                        ; implicit-def: $vgpr40
	v_cndmask_b32_e64 v42, v35, v33, s4
	v_cndmask_b32_e64 v37, v34, v37, s4
	v_cmp_gt_i32_e64 s5, 0x80, v42
	v_cmp_lt_i32_e64 s6, 0xff, v37
	s_and_b32 s5, s5, s7
	s_or_b32 s5, s6, s5
	s_and_saveexec_b32 s6, s5
	s_xor_b32 s5, exec_lo, s6
; %bb.157:
	v_add_nc_u32_e32 v35, v0, v42
	v_add_nc_u32_e32 v40, 1, v42
	ds_read_u8 v41, v35 offset:1
; %bb.158:
	s_or_saveexec_b32 s5, s5
	v_mov_b32_e32 v35, v39
	v_mov_b32_e32 v38, v42
	s_xor_b32 exec_lo, exec_lo, s5
	s_cbranch_execz .LBB81_160
; %bb.159:
	v_add_nc_u32_e32 v35, v0, v37
	s_waitcnt lgkmcnt(0)
	v_add_nc_u32_e32 v41, 1, v37
	v_mov_b32_e32 v38, v37
	v_mov_b32_e32 v40, v42
	ds_read_u8 v43, v35 offset:1
	v_mov_b32_e32 v35, v36
	v_mov_b32_e32 v37, v41
	;; [unrolled: 1-line block ×3, first 2 shown]
	s_waitcnt lgkmcnt(0)
	v_mov_b32_e32 v36, v43
.LBB81_160:
	s_or_b32 exec_lo, exec_lo, s5
	v_cmp_lt_i32_e64 s5, 0x7f, v40
	s_waitcnt lgkmcnt(0)
	v_cmp_lt_i16_sdwa s7, sext(v36), sext(v41) src0_sel:BYTE_0 src1_sel:BYTE_0
	v_perm_b32 v8, v8, v9, 0xc0c0004
	v_perm_b32 v9, v10, v11, 0xc0c0004
	;; [unrolled: 1-line block ×4, first 2 shown]
	v_cmp_gt_i32_e64 s6, 0x100, v37
	v_cndmask_b32_e32 v7, v12, v16, vcc_lo
	s_or_b32 s5, s5, s7
	v_lshl_or_b32 v6, v9, 16, v8
	v_lshl_or_b32 v5, v5, 16, v2
	v_cndmask_b32_e64 v20, v20, v21, s0
	v_cndmask_b32_e64 v24, v24, v25, s1
	s_and_b32 s5, s6, s5
	v_cndmask_b32_e64 v28, v28, v29, s2
	v_cndmask_b32_e64 v33, v33, v34, s4
	;; [unrolled: 1-line block ×4, first 2 shown]
	; wave barrier
	ds_write_b64 v1, v[5:6]
	v_add_nc_u32_e32 v1, v0, v7
	v_add_nc_u32_e32 v5, v0, v20
	;; [unrolled: 1-line block ×8, first 2 shown]
	; wave barrier
	ds_read_u8 v1, v1
	ds_read_u8 v5, v5
	;; [unrolled: 1-line block ×8, first 2 shown]
	v_cndmask_b32_e64 v2, v41, v36, s5
	v_cndmask_b32_e64 v11, v27, v30, s4
	v_cndmask_b32_e32 v4, v4, v13, vcc_lo
	v_cndmask_b32_e64 v12, v14, v15, s0
	v_cndmask_b32_e64 v13, v17, v18, s1
	;; [unrolled: 1-line block ×4, first 2 shown]
	s_add_u32 s0, s38, s40
	s_addc_u32 s1, s39, 0
	s_waitcnt lgkmcnt(7)
	v_add_nc_u16 v1, v1, v4
	s_waitcnt lgkmcnt(6)
	v_add_nc_u16 v4, v5, v12
	;; [unrolled: 2-line block ×8, first 2 shown]
	v_lshlrev_b16 v2, 8, v4
	v_lshlrev_b16 v4, 8, v6
	;; [unrolled: 1-line block ×4, first 2 shown]
	v_or_b32_sdwa v2, v1, v2 dst_sel:DWORD dst_unused:UNUSED_PAD src0_sel:BYTE_0 src1_sel:DWORD
	v_or_b32_sdwa v4, v5, v4 dst_sel:WORD_1 dst_unused:UNUSED_PAD src0_sel:BYTE_0 src1_sel:DWORD
	v_or_b32_sdwa v5, v7, v6 dst_sel:DWORD dst_unused:UNUSED_PAD src0_sel:BYTE_0 src1_sel:DWORD
	v_or_b32_sdwa v6, v9, v0 dst_sel:WORD_1 dst_unused:UNUSED_PAD src0_sel:BYTE_0 src1_sel:DWORD
	v_add_co_u32 v0, s0, s0, v3
	v_add_co_ci_u32_e64 v1, null, s1, 0, s0
	v_or_b32_sdwa v2, v2, v4 dst_sel:DWORD dst_unused:UNUSED_PAD src0_sel:WORD_0 src1_sel:DWORD
	v_or_b32_sdwa v3, v5, v6 dst_sel:DWORD dst_unused:UNUSED_PAD src0_sel:WORD_0 src1_sel:DWORD
	global_store_dwordx2 v[0:1], v[2:3], off
	s_endpgm
	.section	.rodata,"a",@progbits
	.p2align	6, 0x0
	.amdhsa_kernel _Z10sort_pairsILj256ELj32ELj8EaN10test_utils4lessEEvPKT2_PS2_T3_
		.amdhsa_group_segment_fixed_size 2056
		.amdhsa_private_segment_fixed_size 0
		.amdhsa_kernarg_size 20
		.amdhsa_user_sgpr_count 6
		.amdhsa_user_sgpr_private_segment_buffer 1
		.amdhsa_user_sgpr_dispatch_ptr 0
		.amdhsa_user_sgpr_queue_ptr 0
		.amdhsa_user_sgpr_kernarg_segment_ptr 1
		.amdhsa_user_sgpr_dispatch_id 0
		.amdhsa_user_sgpr_flat_scratch_init 0
		.amdhsa_user_sgpr_private_segment_size 0
		.amdhsa_wavefront_size32 1
		.amdhsa_uses_dynamic_stack 0
		.amdhsa_system_sgpr_private_segment_wavefront_offset 0
		.amdhsa_system_sgpr_workgroup_id_x 1
		.amdhsa_system_sgpr_workgroup_id_y 0
		.amdhsa_system_sgpr_workgroup_id_z 0
		.amdhsa_system_sgpr_workgroup_info 0
		.amdhsa_system_vgpr_workitem_id 0
		.amdhsa_next_free_vgpr 46
		.amdhsa_next_free_sgpr 41
		.amdhsa_reserve_vcc 1
		.amdhsa_reserve_flat_scratch 0
		.amdhsa_float_round_mode_32 0
		.amdhsa_float_round_mode_16_64 0
		.amdhsa_float_denorm_mode_32 3
		.amdhsa_float_denorm_mode_16_64 3
		.amdhsa_dx10_clamp 1
		.amdhsa_ieee_mode 1
		.amdhsa_fp16_overflow 0
		.amdhsa_workgroup_processor_mode 1
		.amdhsa_memory_ordered 1
		.amdhsa_forward_progress 1
		.amdhsa_shared_vgpr_count 0
		.amdhsa_exception_fp_ieee_invalid_op 0
		.amdhsa_exception_fp_denorm_src 0
		.amdhsa_exception_fp_ieee_div_zero 0
		.amdhsa_exception_fp_ieee_overflow 0
		.amdhsa_exception_fp_ieee_underflow 0
		.amdhsa_exception_fp_ieee_inexact 0
		.amdhsa_exception_int_div_zero 0
	.end_amdhsa_kernel
	.section	.text._Z10sort_pairsILj256ELj32ELj8EaN10test_utils4lessEEvPKT2_PS2_T3_,"axG",@progbits,_Z10sort_pairsILj256ELj32ELj8EaN10test_utils4lessEEvPKT2_PS2_T3_,comdat
.Lfunc_end81:
	.size	_Z10sort_pairsILj256ELj32ELj8EaN10test_utils4lessEEvPKT2_PS2_T3_, .Lfunc_end81-_Z10sort_pairsILj256ELj32ELj8EaN10test_utils4lessEEvPKT2_PS2_T3_
                                        ; -- End function
	.set _Z10sort_pairsILj256ELj32ELj8EaN10test_utils4lessEEvPKT2_PS2_T3_.num_vgpr, 46
	.set _Z10sort_pairsILj256ELj32ELj8EaN10test_utils4lessEEvPKT2_PS2_T3_.num_agpr, 0
	.set _Z10sort_pairsILj256ELj32ELj8EaN10test_utils4lessEEvPKT2_PS2_T3_.numbered_sgpr, 41
	.set _Z10sort_pairsILj256ELj32ELj8EaN10test_utils4lessEEvPKT2_PS2_T3_.num_named_barrier, 0
	.set _Z10sort_pairsILj256ELj32ELj8EaN10test_utils4lessEEvPKT2_PS2_T3_.private_seg_size, 0
	.set _Z10sort_pairsILj256ELj32ELj8EaN10test_utils4lessEEvPKT2_PS2_T3_.uses_vcc, 1
	.set _Z10sort_pairsILj256ELj32ELj8EaN10test_utils4lessEEvPKT2_PS2_T3_.uses_flat_scratch, 0
	.set _Z10sort_pairsILj256ELj32ELj8EaN10test_utils4lessEEvPKT2_PS2_T3_.has_dyn_sized_stack, 0
	.set _Z10sort_pairsILj256ELj32ELj8EaN10test_utils4lessEEvPKT2_PS2_T3_.has_recursion, 0
	.set _Z10sort_pairsILj256ELj32ELj8EaN10test_utils4lessEEvPKT2_PS2_T3_.has_indirect_call, 0
	.section	.AMDGPU.csdata,"",@progbits
; Kernel info:
; codeLenInByte = 9900
; TotalNumSgprs: 43
; NumVgprs: 46
; ScratchSize: 0
; MemoryBound: 0
; FloatMode: 240
; IeeeMode: 1
; LDSByteSize: 2056 bytes/workgroup (compile time only)
; SGPRBlocks: 0
; VGPRBlocks: 5
; NumSGPRsForWavesPerEU: 43
; NumVGPRsForWavesPerEU: 46
; Occupancy: 16
; WaveLimiterHint : 0
; COMPUTE_PGM_RSRC2:SCRATCH_EN: 0
; COMPUTE_PGM_RSRC2:USER_SGPR: 6
; COMPUTE_PGM_RSRC2:TRAP_HANDLER: 0
; COMPUTE_PGM_RSRC2:TGID_X_EN: 1
; COMPUTE_PGM_RSRC2:TGID_Y_EN: 0
; COMPUTE_PGM_RSRC2:TGID_Z_EN: 0
; COMPUTE_PGM_RSRC2:TIDIG_COMP_CNT: 0
	.section	.text._Z19sort_keys_segmentedILj256ELj32ELj8EaN10test_utils4lessEEvPKT2_PS2_PKjT3_,"axG",@progbits,_Z19sort_keys_segmentedILj256ELj32ELj8EaN10test_utils4lessEEvPKT2_PS2_PKjT3_,comdat
	.protected	_Z19sort_keys_segmentedILj256ELj32ELj8EaN10test_utils4lessEEvPKT2_PS2_PKjT3_ ; -- Begin function _Z19sort_keys_segmentedILj256ELj32ELj8EaN10test_utils4lessEEvPKT2_PS2_PKjT3_
	.globl	_Z19sort_keys_segmentedILj256ELj32ELj8EaN10test_utils4lessEEvPKT2_PS2_PKjT3_
	.p2align	8
	.type	_Z19sort_keys_segmentedILj256ELj32ELj8EaN10test_utils4lessEEvPKT2_PS2_PKjT3_,@function
_Z19sort_keys_segmentedILj256ELj32ELj8EaN10test_utils4lessEEvPKT2_PS2_PKjT3_: ; @_Z19sort_keys_segmentedILj256ELj32ELj8EaN10test_utils4lessEEvPKT2_PS2_PKjT3_
; %bb.0:
	s_clause 0x1
	s_load_dwordx2 s[0:1], s[4:5], 0x10
	s_load_dwordx4 s[16:19], s[4:5], 0x0
	v_lshrrev_b32_e32 v7, 5, v0
	v_mov_b32_e32 v1, 0
	v_mov_b32_e32 v8, 0
	;; [unrolled: 1-line block ×4, first 2 shown]
	v_lshl_or_b32 v0, s6, 3, v7
	v_mov_b32_e32 v11, 0
	v_mov_b32_e32 v9, 0
	v_lshlrev_b64 v[2:3], 2, v[0:1]
	v_lshlrev_b32_e32 v4, 8, v0
	v_mov_b32_e32 v0, 0
	s_waitcnt lgkmcnt(0)
	v_add_co_u32 v2, vcc_lo, s0, v2
	v_add_co_ci_u32_e64 v3, null, s1, v3, vcc_lo
	global_load_dword v6, v[2:3], off
	v_mbcnt_lo_u32_b32 v2, -1, 0
	v_lshlrev_b32_e32 v5, 3, v2
	v_add_co_u32 v2, s0, s16, v4
	v_add_co_ci_u32_e64 v3, null, s17, 0, s0
	v_add_co_u32 v2, vcc_lo, v2, v5
	v_add_co_ci_u32_e64 v3, null, 0, v3, vcc_lo
	s_waitcnt vmcnt(0)
	v_cmp_lt_u32_e64 s0, v5, v6
	s_and_saveexec_b32 s1, s0
	s_cbranch_execz .LBB82_2
; %bb.1:
	global_load_ubyte v8, v[2:3], off
	v_mov_b32_e32 v12, 0
	v_mov_b32_e32 v10, 0
	;; [unrolled: 1-line block ×5, first 2 shown]
.LBB82_2:
	s_or_b32 exec_lo, exec_lo, s1
	v_or_b32_e32 v13, 1, v5
	v_mov_b32_e32 v14, v1
	v_cmp_lt_u32_e64 s1, v13, v6
	s_and_saveexec_b32 s2, s1
	s_cbranch_execz .LBB82_4
; %bb.3:
	global_load_ubyte v14, v[2:3], off offset:1
.LBB82_4:
	s_or_b32 exec_lo, exec_lo, s2
	v_or_b32_e32 v15, 2, v5
	v_cmp_lt_u32_e64 s2, v15, v6
	s_and_saveexec_b32 s3, s2
	s_cbranch_execz .LBB82_6
; %bb.5:
	global_load_ubyte v1, v[2:3], off offset:2
.LBB82_6:
	s_or_b32 exec_lo, exec_lo, s3
	v_or_b32_e32 v16, 3, v5
	;; [unrolled: 8-line block ×6, first 2 shown]
	v_cmp_lt_u32_e64 s7, v20, v6
	s_and_saveexec_b32 s8, s7
	s_cbranch_execz .LBB82_16
; %bb.15:
	global_load_ubyte v9, v[2:3], off offset:7
.LBB82_16:
	s_or_b32 exec_lo, exec_lo, s8
	s_waitcnt vmcnt(0)
	v_perm_b32 v1, v1, v12, 0xc0c0004
	v_mov_b32_e32 v2, 0x7f00
	v_perm_b32 v3, v8, v14, 0xc0c0004
	v_cmp_lt_i32_e32 vcc_lo, v13, v6
	v_perm_b32 v10, v10, v11, 0xc0c0004
	v_lshlrev_b32_e32 v1, 16, v1
	v_or_b32_sdwa v8, v8, v2 dst_sel:DWORD dst_unused:UNUSED_PAD src0_sel:BYTE_0 src1_sel:DWORD
	v_mov_b32_e32 v11, 0x7f
	v_perm_b32 v0, v0, v9, 0xc0c0004
	v_and_b32_e32 v13, 0xffffff00, v10
	v_or_b32_e32 v12, v3, v1
	v_or_b32_sdwa v1, v8, v1 dst_sel:DWORD dst_unused:UNUSED_PAD src0_sel:WORD_0 src1_sel:DWORD
	v_mov_b32_e32 v8, 0xffffff00
	v_lshl_or_b32 v0, v0, 16, v10
	v_or_b32_e32 v9, 0x7f, v13
	v_cmp_lt_i32_e64 s8, v16, v6
	v_cndmask_b32_e32 v1, v1, v12, vcc_lo
	v_cmp_lt_i32_e32 vcc_lo, v15, v6
	s_mov_b32 s9, exec_lo
	v_and_b32_e32 v9, 0xffff, v9
	v_and_b32_sdwa v3, v1, v8 dst_sel:DWORD dst_unused:UNUSED_PAD src0_sel:WORD_1 src1_sel:DWORD
	v_and_or_b32 v9, 0xffff0000, v0, v9
	v_or_b32_sdwa v3, v3, v11 dst_sel:WORD_1 dst_unused:UNUSED_PAD src0_sel:DWORD src1_sel:DWORD
	v_and_or_b32 v1, 0xffff, v1, v3
	v_mov_b32_e32 v3, 0xff
	v_cndmask_b32_e32 v1, v1, v12, vcc_lo
	v_cmp_lt_i32_e32 vcc_lo, v17, v6
	v_and_b32_sdwa v10, v1, v3 dst_sel:DWORD dst_unused:UNUSED_PAD src0_sel:WORD_1 src1_sel:DWORD
	v_cndmask_b32_e32 v9, v9, v0, vcc_lo
	v_or_b32_sdwa v10, v10, v2 dst_sel:WORD_1 dst_unused:UNUSED_PAD src0_sel:DWORD src1_sel:DWORD
	v_or_b32_sdwa v13, v9, v2 dst_sel:DWORD dst_unused:UNUSED_PAD src0_sel:BYTE_0 src1_sel:DWORD
	v_and_or_b32 v1, 0xffff, v1, v10
	v_and_b32_e32 v10, 0xffff, v13
	v_cndmask_b32_e64 v1, v1, v12, s8
	v_and_or_b32 v9, 0xffff0000, v9, v10
	v_cmp_lt_i32_e64 s8, v20, v6
	v_cndmask_b32_e32 v1, v1, v12, vcc_lo
	v_cmp_lt_i32_e32 vcc_lo, v18, v6
	v_cndmask_b32_e32 v10, v1, v12, vcc_lo
	v_cndmask_b32_e32 v1, v9, v0, vcc_lo
	v_cmp_lt_i32_e32 vcc_lo, v19, v6
	v_and_b32_sdwa v8, v1, v8 dst_sel:DWORD dst_unused:UNUSED_PAD src0_sel:WORD_1 src1_sel:DWORD
	v_or_b32_sdwa v8, v8, v11 dst_sel:WORD_1 dst_unused:UNUSED_PAD src0_sel:DWORD src1_sel:DWORD
	v_and_or_b32 v1, 0xffff, v1, v8
	v_cndmask_b32_e32 v1, v1, v0, vcc_lo
	v_cndmask_b32_e32 v0, v10, v12, vcc_lo
	v_cmpx_ge_i32_e64 v20, v6
; %bb.17:
	v_and_b32_sdwa v3, v1, v3 dst_sel:DWORD dst_unused:UNUSED_PAD src0_sel:WORD_1 src1_sel:DWORD
	v_cmp_lt_i32_e32 vcc_lo, v5, v6
	s_andn2_b32 s8, s8, exec_lo
	v_or_b32_sdwa v2, v3, v2 dst_sel:WORD_1 dst_unused:UNUSED_PAD src0_sel:DWORD src1_sel:DWORD
	s_and_b32 s10, vcc_lo, exec_lo
	s_or_b32 s8, s8, s10
	v_and_or_b32 v1, 0xffff, v1, v2
; %bb.18:
	s_or_b32 exec_lo, exec_lo, s9
	s_and_saveexec_b32 s10, s8
	s_cbranch_execz .LBB82_22
; %bb.19:
	v_lshrrev_b32_e32 v2, 8, v0
	v_perm_b32 v3, 0, v0, 0xc0c0001
	v_bfe_i32 v8, v0, 0, 8
	v_bfe_i32 v15, v1, 0, 8
	v_perm_b32 v16, v1, v1, 0x7060405
	v_bfe_i32 v9, v2, 0, 8
	v_and_or_b32 v2, 0xffff0000, v0, v3
	v_mov_b32_e32 v17, 0xff
	v_cmp_lt_i16_e32 vcc_lo, v9, v8
	v_max_i16 v13, v9, v8
	v_min_i16 v8, v9, v8
	v_cndmask_b32_e32 v0, v0, v2, vcc_lo
	v_lshrrev_b32_e32 v2, 16, v0
	v_lshrrev_b32_e32 v3, 24, v0
	v_perm_b32 v10, 0, v2, 0xc0c0001
	v_bfe_i32 v3, v3, 0, 8
	v_bfe_i32 v11, v2, 0, 8
	v_lshlrev_b32_e32 v2, 16, v10
	v_min_i16 v10, v3, v11
	v_cmp_lt_i16_e32 vcc_lo, v3, v11
	v_max_i16 v3, v3, v11
	v_and_or_b32 v2, 0xffff, v0, v2
	v_lshlrev_b16 v12, 8, v10
	v_min_i16 v19, v10, v13
	v_cndmask_b32_e32 v0, v0, v2, vcc_lo
	v_cmp_lt_i16_e32 vcc_lo, v10, v13
	v_or_b32_sdwa v2, v0, v12 dst_sel:DWORD dst_unused:UNUSED_PAD src0_sel:BYTE_0 src1_sel:DWORD
	v_lshrrev_b32_e32 v12, 8, v1
	v_perm_b32 v14, v13, v0, 0xc0c0304
	v_max_i16 v13, v10, v13
	v_and_b32_e32 v2, 0xffff, v2
	v_bfe_i32 v12, v12, 0, 8
	v_lshl_or_b32 v14, v14, 16, v2
	v_min_i16 v18, v12, v15
	v_max_i16 v9, v12, v15
	v_mov_b32_e32 v2, 0xffffff00
	v_cndmask_b32_e32 v0, v0, v14, vcc_lo
	v_cmp_lt_i16_e32 vcc_lo, v12, v15
	v_lshlrev_b16 v12, 8, v18
	v_and_b32_sdwa v14, v0, v17 dst_sel:DWORD dst_unused:UNUSED_PAD src0_sel:WORD_1 src1_sel:DWORD
	v_cndmask_b32_e32 v1, v1, v16, vcc_lo
	v_lshlrev_b16 v16, 8, v8
	v_cmp_lt_i16_e32 vcc_lo, v18, v3
	v_or_b32_sdwa v12, v14, v12 dst_sel:WORD_1 dst_unused:UNUSED_PAD src0_sel:DWORD src1_sel:DWORD
	v_lshrrev_b32_e32 v15, 24, v1
	v_lshrrev_b32_e32 v20, 16, v1
	v_or_b32_sdwa v16, v19, v16 dst_sel:DWORD dst_unused:UNUSED_PAD src0_sel:BYTE_0 src1_sel:DWORD
	v_perm_b32 v14, v1, v1, 0x6070504
	v_and_or_b32 v11, 0xffff, v0, v12
	v_bfe_i32 v15, v15, 0, 8
	v_bfe_i32 v12, v20, 0, 8
	v_and_b32_e32 v16, 0xffff, v16
	v_lshlrev_b16 v20, 8, v13
	v_cndmask_b32_e32 v0, v0, v11, vcc_lo
	v_min_i16 v11, v18, v3
	v_cmp_lt_i16_e64 s8, v15, v12
	v_cmp_lt_i16_e64 s9, v11, v13
	v_cndmask_b32_e64 v1, v1, v14, s8
	v_and_or_b32 v14, 0xffff0000, v0, v16
	v_cmp_lt_i16_e64 s8, v10, v8
	v_max_i16 v16, v15, v12
	v_min_i16 v12, v15, v12
	v_or_b32_sdwa v15, v11, v20 dst_sel:WORD_1 dst_unused:UNUSED_PAD src0_sel:BYTE_0 src1_sel:DWORD
	v_perm_b32 v10, v3, v1, 0x3020104
	v_cndmask_b32_e64 v0, v0, v14, s8
	v_min_i16 v14, v11, v13
	v_max_i16 v3, v18, v3
	v_cndmask_b32_e64 v23, v19, v8, s8
	v_cndmask_b32_e32 v1, v1, v10, vcc_lo
	v_and_or_b32 v15, 0xffff, v0, v15
	v_lshlrev_b16 v22, 8, v14
	v_lshlrev_b16 v18, 8, v12
	v_min_i16 v21, v12, v9
	v_and_b32_sdwa v26, v1, v2 dst_sel:DWORD dst_unused:UNUSED_PAD src0_sel:WORD_1 src1_sel:DWORD
	v_cndmask_b32_e64 v0, v0, v15, s9
	v_lshlrev_b16 v15, 8, v3
	v_or_b32_sdwa v18, v1, v18 dst_sel:DWORD dst_unused:UNUSED_PAD src0_sel:BYTE_0 src1_sel:DWORD
	v_cmp_lt_i16_e32 vcc_lo, v14, v23
	v_or_b32_sdwa v26, v9, v26 dst_sel:WORD_1 dst_unused:UNUSED_PAD src0_sel:BYTE_0 src1_sel:DWORD
	v_or_b32_sdwa v22, v0, v22 dst_sel:DWORD dst_unused:UNUSED_PAD src0_sel:BYTE_0 src1_sel:DWORD
	v_perm_b32 v10, v23, v0, 0xc0c0304
	v_or_b32_sdwa v15, v21, v15 dst_sel:DWORD dst_unused:UNUSED_PAD src0_sel:BYTE_0 src1_sel:DWORD
	v_min_i16 v24, v21, v3
	v_max_i16 v20, v12, v9
	v_and_b32_e32 v22, 0xffff, v22
	v_cndmask_b32_e64 v8, v8, v19, s8
	v_max_i16 v11, v11, v13
	v_lshlrev_b16 v27, 8, v24
	v_lshlrev_b16 v25, 8, v20
	v_lshl_or_b32 v10, v10, 16, v22
	v_cmp_gt_i16_e64 s8, v9, v16
	v_max_i16 v13, v21, v3
	v_max_i16 v22, v24, v11
	v_or_b32_sdwa v25, v16, v25 dst_sel:WORD_1 dst_unused:UNUSED_PAD src0_sel:BYTE_0 src1_sel:DWORD
	v_cndmask_b32_e32 v0, v0, v10, vcc_lo
	v_and_b32_e32 v10, 0xffff, v15
	v_or_b32_sdwa v15, v18, v26 dst_sel:DWORD dst_unused:UNUSED_PAD src0_sel:WORD_0 src1_sel:DWORD
	v_cmp_lt_i16_e32 vcc_lo, v12, v9
	v_min_i16 v18, v14, v23
	v_and_b32_sdwa v19, v0, v17 dst_sel:DWORD dst_unused:UNUSED_PAD src0_sel:WORD_1 src1_sel:DWORD
	v_lshlrev_b16 v26, 8, v8
	v_max_i16 v14, v14, v23
	v_cndmask_b32_e32 v1, v1, v15, vcc_lo
	v_cmp_lt_i16_e32 vcc_lo, v21, v3
	v_or_b32_sdwa v15, v19, v27 dst_sel:WORD_1 dst_unused:UNUSED_PAD src0_sel:DWORD src1_sel:DWORD
	v_or_b32_sdwa v19, v18, v26 dst_sel:DWORD dst_unused:UNUSED_PAD src0_sel:BYTE_0 src1_sel:DWORD
	v_min_i16 v12, v24, v11
	v_and_or_b32 v10, 0xffff0000, v1, v10
	v_lshlrev_b16 v3, 8, v14
	v_and_or_b32 v15, 0xffff, v0, v15
	v_and_b32_e32 v19, 0xffff, v19
	v_cmp_lt_i16_e64 s9, v18, v8
	v_cndmask_b32_e32 v1, v1, v10, vcc_lo
	v_cmp_lt_i16_e32 vcc_lo, v24, v11
	v_or_b32_sdwa v3, v12, v3 dst_sel:WORD_1 dst_unused:UNUSED_PAD src0_sel:BYTE_0 src1_sel:DWORD
	v_min_i16 v21, v12, v14
	v_lshlrev_b16 v26, 8, v22
	v_max_i16 v10, v18, v8
	v_cndmask_b32_e32 v0, v0, v15, vcc_lo
	v_and_or_b32 v15, 0xffff, v1, v25
	v_lshlrev_b16 v9, 8, v21
	v_min_i16 v8, v18, v8
	v_min_i16 v18, v21, v10
	v_and_or_b32 v19, 0xffff0000, v0, v19
	v_cndmask_b32_e64 v1, v1, v15, s8
	v_max_i16 v15, v21, v10
	v_cndmask_b32_e64 v0, v0, v19, s9
	v_perm_b32 v11, v11, v1, 0x3020104
	v_cndmask_b32_e64 v19, v20, v16, s8
	v_cndmask_b32_e64 v16, v16, v20, s8
	v_and_or_b32 v3, 0xffff, v0, v3
	v_cndmask_b32_e32 v1, v1, v11, vcc_lo
	v_cmp_lt_i16_e32 vcc_lo, v12, v14
	v_lshlrev_b16 v11, 8, v19
	v_min_i16 v20, v19, v13
	v_and_b32_sdwa v23, v1, v2 dst_sel:DWORD dst_unused:UNUSED_PAD src0_sel:WORD_1 src1_sel:DWORD
	v_cndmask_b32_e32 v0, v0, v3, vcc_lo
	v_or_b32_sdwa v11, v1, v11 dst_sel:DWORD dst_unused:UNUSED_PAD src0_sel:BYTE_0 src1_sel:DWORD
	v_or_b32_sdwa v25, v20, v26 dst_sel:DWORD dst_unused:UNUSED_PAD src0_sel:BYTE_0 src1_sel:DWORD
	v_cmp_lt_i16_e32 vcc_lo, v19, v13
	v_or_b32_sdwa v23, v13, v23 dst_sel:WORD_1 dst_unused:UNUSED_PAD src0_sel:BYTE_0 src1_sel:DWORD
	v_or_b32_sdwa v9, v0, v9 dst_sel:DWORD dst_unused:UNUSED_PAD src0_sel:BYTE_0 src1_sel:DWORD
	v_perm_b32 v24, v10, v0, 0xc0c0304
	v_max_i16 v26, v19, v13
	v_lshlrev_b16 v3, 8, v8
	v_or_b32_sdwa v11, v11, v23 dst_sel:DWORD dst_unused:UNUSED_PAD src0_sel:WORD_0 src1_sel:DWORD
	v_and_b32_e32 v9, 0xffff, v9
	v_min_i16 v23, v20, v22
	v_or_b32_sdwa v3, v18, v3 dst_sel:DWORD dst_unused:UNUSED_PAD src0_sel:BYTE_0 src1_sel:DWORD
	v_cndmask_b32_e32 v1, v1, v11, vcc_lo
	v_lshl_or_b32 v9, v24, 16, v9
	v_and_b32_e32 v24, 0xffff, v25
	v_cmp_lt_i16_e32 vcc_lo, v21, v10
	v_lshlrev_b16 v11, 8, v23
	v_and_b32_e32 v3, 0xffff, v3
	v_and_or_b32 v10, 0xffff0000, v1, v24
	v_cndmask_b32_e32 v0, v0, v9, vcc_lo
	v_lshlrev_b16 v9, 8, v26
	v_cmp_lt_i16_e32 vcc_lo, v20, v22
	v_and_b32_sdwa v13, v0, v17 dst_sel:DWORD dst_unused:UNUSED_PAD src0_sel:WORD_1 src1_sel:DWORD
	v_or_b32_sdwa v9, v16, v9 dst_sel:WORD_1 dst_unused:UNUSED_PAD src0_sel:BYTE_0 src1_sel:DWORD
	v_cndmask_b32_e32 v1, v1, v10, vcc_lo
	v_max_i16 v10, v12, v14
	v_cmp_lt_i16_e32 vcc_lo, v16, v26
	v_or_b32_sdwa v11, v13, v11 dst_sel:WORD_1 dst_unused:UNUSED_PAD src0_sel:DWORD src1_sel:DWORD
	v_max_i16 v14, v16, v26
	v_and_or_b32 v9, 0xffff, v1, v9
	v_lshlrev_b16 v12, 8, v15
	v_max_i16 v13, v20, v22
	v_and_or_b32 v11, 0xffff, v0, v11
	v_cndmask_b32_e32 v1, v1, v9, vcc_lo
	v_cmp_lt_i16_e32 vcc_lo, v23, v10
	v_min_i16 v9, v16, v26
	v_perm_b32 v16, v10, v1, 0x3020104
	v_cndmask_b32_e32 v0, v0, v11, vcc_lo
	v_min_i16 v11, v23, v10
	v_max_i16 v10, v23, v10
	v_lshlrev_b16 v19, 8, v9
	v_cndmask_b32_e32 v1, v1, v16, vcc_lo
	v_and_or_b32 v3, 0xffff0000, v0, v3
	v_cmp_lt_i16_e32 vcc_lo, v21, v8
	v_or_b32_sdwa v12, v11, v12 dst_sel:WORD_1 dst_unused:UNUSED_PAD src0_sel:BYTE_0 src1_sel:DWORD
	v_min_i16 v16, v9, v13
	v_and_b32_sdwa v20, v1, v2 dst_sel:DWORD dst_unused:UNUSED_PAD src0_sel:WORD_1 src1_sel:DWORD
	v_lshlrev_b16 v21, 8, v10
	v_cndmask_b32_e32 v0, v0, v3, vcc_lo
	v_min_i16 v3, v11, v15
	v_or_b32_sdwa v19, v1, v19 dst_sel:DWORD dst_unused:UNUSED_PAD src0_sel:BYTE_0 src1_sel:DWORD
	v_or_b32_sdwa v20, v13, v20 dst_sel:WORD_1 dst_unused:UNUSED_PAD src0_sel:BYTE_0 src1_sel:DWORD
	v_cmp_lt_i16_e64 s8, v11, v15
	v_and_or_b32 v12, 0xffff, v0, v12
	v_lshlrev_b16 v22, 8, v3
	v_cndmask_b32_e32 v8, v18, v8, vcc_lo
	v_or_b32_sdwa v19, v19, v20 dst_sel:DWORD dst_unused:UNUSED_PAD src0_sel:WORD_0 src1_sel:DWORD
	v_cmp_lt_i16_e32 vcc_lo, v9, v13
	v_cndmask_b32_e64 v0, v0, v12, s8
	v_or_b32_sdwa v12, v16, v21 dst_sel:DWORD dst_unused:UNUSED_PAD src0_sel:BYTE_0 src1_sel:DWORD
	v_max_i16 v21, v9, v13
	v_min_i16 v20, v16, v10
	v_cndmask_b32_e32 v1, v1, v19, vcc_lo
	v_or_b32_sdwa v18, v0, v22 dst_sel:DWORD dst_unused:UNUSED_PAD src0_sel:BYTE_0 src1_sel:DWORD
	v_and_b32_e32 v12, 0xffff, v12
	v_perm_b32 v9, v8, v0, 0xc0c0304
	v_cmp_lt_i16_e32 vcc_lo, v16, v10
	v_lshlrev_b16 v19, 8, v21
	v_and_b32_e32 v18, 0xffff, v18
	v_and_or_b32 v12, 0xffff0000, v1, v12
	v_max_i16 v11, v11, v15
	v_lshl_or_b32 v9, v9, 16, v18
	v_cndmask_b32_e32 v1, v1, v12, vcc_lo
	v_cmp_lt_i16_e32 vcc_lo, v3, v8
	v_or_b32_sdwa v18, v14, v19 dst_sel:WORD_1 dst_unused:UNUSED_PAD src0_sel:BYTE_0 src1_sel:DWORD
	v_lshlrev_b16 v3, 8, v20
	v_cmp_lt_i16_e64 s8, v20, v11
	v_cndmask_b32_e32 v0, v0, v9, vcc_lo
	v_and_or_b32 v8, 0xffff, v1, v18
	v_cmp_gt_i16_e32 vcc_lo, v13, v14
	v_and_b32_sdwa v9, v0, v17 dst_sel:DWORD dst_unused:UNUSED_PAD src0_sel:WORD_1 src1_sel:DWORD
	v_cndmask_b32_e32 v1, v1, v8, vcc_lo
	v_or_b32_sdwa v8, v9, v3 dst_sel:WORD_1 dst_unused:UNUSED_PAD src0_sel:DWORD src1_sel:DWORD
	v_max_i16 v3, v16, v10
	v_perm_b32 v9, v11, v1, 0x3020104
	v_and_or_b32 v10, 0xffff, v0, v8
	v_cndmask_b32_e32 v8, v21, v14, vcc_lo
	v_cndmask_b32_e64 v1, v1, v9, s8
	v_cndmask_b32_e64 v0, v0, v10, s8
	s_mov_b32 s8, exec_lo
	v_cmpx_lt_i16_e64 v8, v3
; %bb.20:
	v_and_b32_sdwa v2, v1, v2 dst_sel:DWORD dst_unused:UNUSED_PAD src0_sel:WORD_1 src1_sel:DWORD
	v_lshlrev_b16 v8, 8, v8
	v_or_b32_sdwa v2, v3, v2 dst_sel:WORD_1 dst_unused:UNUSED_PAD src0_sel:BYTE_0 src1_sel:DWORD
	v_or_b32_sdwa v1, v1, v8 dst_sel:DWORD dst_unused:UNUSED_PAD src0_sel:BYTE_0 src1_sel:DWORD
	v_or_b32_sdwa v1, v1, v2 dst_sel:DWORD dst_unused:UNUSED_PAD src0_sel:WORD_0 src1_sel:DWORD
; %bb.21:
	s_or_b32 exec_lo, exec_lo, s8
.LBB82_22:
	s_or_b32 exec_lo, exec_lo, s10
	v_and_b32_e32 v2, 0xf0, v5
	v_and_b32_e32 v10, 8, v5
	v_mad_u32_u24 v13, 0x101, v7, v5
	s_mov_b32 s9, 0
	s_mov_b32 s8, exec_lo
	v_min_i32_e32 v9, v6, v2
	v_min_i32_e32 v10, v6, v10
	; wave barrier
	ds_write_b64 v13, v[0:1]
	v_add_nc_u32_e32 v2, 8, v9
	; wave barrier
	v_min_i32_e32 v3, v6, v2
	v_add_nc_u32_e32 v2, 8, v3
	v_sub_nc_u32_e32 v12, v3, v9
	v_min_i32_e32 v8, v6, v2
	v_min_i32_e32 v12, v10, v12
	v_sub_nc_u32_e32 v2, v8, v3
	v_sub_nc_u32_e32 v11, v10, v2
	v_cmp_ge_i32_e32 vcc_lo, v10, v2
	v_mul_u32_u24_e32 v2, 0x101, v7
	v_cndmask_b32_e32 v11, 0, v11, vcc_lo
	v_cmpx_lt_i32_e64 v11, v12
	s_cbranch_execz .LBB82_26
; %bb.23:
	v_add_nc_u32_e32 v0, v2, v9
	v_add3_u32 v1, v2, v3, v10
	.p2align	6
.LBB82_24:                              ; =>This Inner Loop Header: Depth=1
	v_sub_nc_u32_e32 v7, v12, v11
	v_lshrrev_b32_e32 v7, 1, v7
	v_add_nc_u32_e32 v7, v7, v11
	v_add_nc_u32_e32 v13, v0, v7
	v_xad_u32 v14, v7, -1, v1
	v_add_nc_u32_e32 v15, 1, v7
	ds_read_i8 v13, v13
	ds_read_i8 v14, v14
	s_waitcnt lgkmcnt(0)
	v_cmp_lt_i16_e32 vcc_lo, v14, v13
	v_cndmask_b32_e32 v12, v12, v7, vcc_lo
	v_cndmask_b32_e32 v11, v15, v11, vcc_lo
	v_cmp_ge_i32_e32 vcc_lo, v11, v12
	s_or_b32 s9, vcc_lo, s9
	s_andn2_b32 exec_lo, exec_lo, s9
	s_cbranch_execnz .LBB82_24
; %bb.25:
	s_or_b32 exec_lo, exec_lo, s9
.LBB82_26:
	s_or_b32 exec_lo, exec_lo, s8
	v_add_nc_u32_e32 v0, v3, v10
	v_add_nc_u32_e32 v10, v11, v9
                                        ; implicit-def: $vgpr7
	v_sub_nc_u32_e32 v11, v0, v11
	v_add_nc_u32_e32 v9, v2, v10
	v_cmp_le_i32_e32 vcc_lo, v3, v10
	v_add_nc_u32_e32 v12, v2, v11
	v_cmp_gt_i32_e64 s9, v8, v11
	ds_read_u8 v0, v9
	ds_read_u8 v1, v12
	s_waitcnt lgkmcnt(1)
	v_bfe_i32 v0, v0, 0, 8
	s_waitcnt lgkmcnt(0)
	v_bfe_i32 v1, v1, 0, 8
	v_cmp_lt_i16_e64 s8, v1, v0
	s_or_b32 s8, vcc_lo, s8
	s_and_b32 s8, s9, s8
	s_xor_b32 s9, s8, -1
	s_and_saveexec_b32 s10, s9
	s_xor_b32 s9, exec_lo, s10
; %bb.27:
	ds_read_u8 v7, v9 offset:1
                                        ; implicit-def: $vgpr12
; %bb.28:
	s_or_saveexec_b32 s9, s9
	v_mov_b32_e32 v9, v1
	s_xor_b32 exec_lo, exec_lo, s9
	s_cbranch_execz .LBB82_30
; %bb.29:
	ds_read_u8 v9, v12 offset:1
	s_waitcnt lgkmcnt(1)
	v_mov_b32_e32 v7, v0
.LBB82_30:
	s_or_b32 exec_lo, exec_lo, s9
	v_add_nc_u32_e32 v12, 1, v10
	v_add_nc_u32_e32 v14, 1, v11
	s_waitcnt lgkmcnt(0)
	v_cmp_lt_i16_sdwa s10, sext(v9), sext(v7) src0_sel:BYTE_0 src1_sel:BYTE_0
	v_cndmask_b32_e64 v13, v12, v10, s8
	v_cndmask_b32_e64 v12, v11, v14, s8
                                        ; implicit-def: $vgpr10
	v_cmp_ge_i32_e32 vcc_lo, v13, v3
	v_cmp_lt_i32_e64 s9, v12, v8
	s_or_b32 s10, vcc_lo, s10
	s_and_b32 s9, s9, s10
	s_xor_b32 s10, s9, -1
	s_and_saveexec_b32 s11, s10
	s_xor_b32 s10, exec_lo, s11
; %bb.31:
	v_add_nc_u32_e32 v10, v2, v13
	ds_read_u8 v10, v10 offset:1
; %bb.32:
	s_or_saveexec_b32 s10, s10
	v_mov_b32_e32 v11, v9
	s_xor_b32 exec_lo, exec_lo, s10
	s_cbranch_execz .LBB82_34
; %bb.33:
	s_waitcnt lgkmcnt(0)
	v_add_nc_u32_e32 v10, v2, v12
	ds_read_u8 v11, v10 offset:1
	v_mov_b32_e32 v10, v7
.LBB82_34:
	s_or_b32 exec_lo, exec_lo, s10
	v_add_nc_u32_e32 v14, 1, v13
	v_add_nc_u32_e32 v16, 1, v12
	s_waitcnt lgkmcnt(0)
	v_cmp_lt_i16_sdwa s11, sext(v11), sext(v10) src0_sel:BYTE_0 src1_sel:BYTE_0
	v_cndmask_b32_e64 v15, v14, v13, s9
	v_cndmask_b32_e64 v14, v12, v16, s9
                                        ; implicit-def: $vgpr12
	v_cmp_ge_i32_e32 vcc_lo, v15, v3
	v_cmp_lt_i32_e64 s10, v14, v8
	s_or_b32 s11, vcc_lo, s11
	s_and_b32 s10, s10, s11
	s_xor_b32 s11, s10, -1
	s_and_saveexec_b32 s12, s11
	s_xor_b32 s11, exec_lo, s12
; %bb.35:
	v_add_nc_u32_e32 v12, v2, v15
	ds_read_u8 v12, v12 offset:1
; %bb.36:
	s_or_saveexec_b32 s11, s11
	v_mov_b32_e32 v13, v11
	s_xor_b32 exec_lo, exec_lo, s11
	s_cbranch_execz .LBB82_38
; %bb.37:
	s_waitcnt lgkmcnt(0)
	v_add_nc_u32_e32 v12, v2, v14
	ds_read_u8 v13, v12 offset:1
	v_mov_b32_e32 v12, v10
.LBB82_38:
	s_or_b32 exec_lo, exec_lo, s11
	v_add_nc_u32_e32 v16, 1, v15
	v_add_nc_u32_e32 v18, 1, v14
	s_waitcnt lgkmcnt(0)
	v_cmp_lt_i16_sdwa s12, sext(v13), sext(v12) src0_sel:BYTE_0 src1_sel:BYTE_0
	v_cndmask_b32_e64 v17, v16, v15, s10
	v_cndmask_b32_e64 v16, v14, v18, s10
                                        ; implicit-def: $vgpr14
	v_cmp_ge_i32_e32 vcc_lo, v17, v3
	v_cmp_lt_i32_e64 s11, v16, v8
	s_or_b32 s12, vcc_lo, s12
	s_and_b32 s11, s11, s12
	s_xor_b32 s12, s11, -1
	s_and_saveexec_b32 s13, s12
	s_xor_b32 s12, exec_lo, s13
; %bb.39:
	v_add_nc_u32_e32 v14, v2, v17
	ds_read_u8 v14, v14 offset:1
; %bb.40:
	s_or_saveexec_b32 s12, s12
	v_mov_b32_e32 v15, v13
	s_xor_b32 exec_lo, exec_lo, s12
	s_cbranch_execz .LBB82_42
; %bb.41:
	s_waitcnt lgkmcnt(0)
	v_add_nc_u32_e32 v14, v2, v16
	ds_read_u8 v15, v14 offset:1
	v_mov_b32_e32 v14, v12
.LBB82_42:
	s_or_b32 exec_lo, exec_lo, s12
	v_add_nc_u32_e32 v18, 1, v17
	v_add_nc_u32_e32 v20, 1, v16
	s_waitcnt lgkmcnt(0)
	v_cmp_lt_i16_sdwa s13, sext(v15), sext(v14) src0_sel:BYTE_0 src1_sel:BYTE_0
	v_cndmask_b32_e64 v19, v18, v17, s11
	v_cndmask_b32_e64 v18, v16, v20, s11
                                        ; implicit-def: $vgpr16
	v_cmp_ge_i32_e32 vcc_lo, v19, v3
	v_cmp_lt_i32_e64 s12, v18, v8
	s_or_b32 s13, vcc_lo, s13
	s_and_b32 s12, s12, s13
	s_xor_b32 s13, s12, -1
	s_and_saveexec_b32 s14, s13
	s_xor_b32 s13, exec_lo, s14
; %bb.43:
	v_add_nc_u32_e32 v16, v2, v19
	ds_read_u8 v16, v16 offset:1
; %bb.44:
	s_or_saveexec_b32 s13, s13
	v_mov_b32_e32 v17, v15
	s_xor_b32 exec_lo, exec_lo, s13
	s_cbranch_execz .LBB82_46
; %bb.45:
	s_waitcnt lgkmcnt(0)
	v_add_nc_u32_e32 v16, v2, v18
	ds_read_u8 v17, v16 offset:1
	v_mov_b32_e32 v16, v14
.LBB82_46:
	s_or_b32 exec_lo, exec_lo, s13
	v_add_nc_u32_e32 v20, 1, v19
	v_add_nc_u32_e32 v21, 1, v18
	s_waitcnt lgkmcnt(0)
	v_cmp_lt_i16_sdwa s14, sext(v17), sext(v16) src0_sel:BYTE_0 src1_sel:BYTE_0
	v_cndmask_b32_e64 v20, v20, v19, s12
	v_cndmask_b32_e64 v21, v18, v21, s12
                                        ; implicit-def: $vgpr18
	v_cmp_ge_i32_e32 vcc_lo, v20, v3
	v_cmp_lt_i32_e64 s13, v21, v8
	s_or_b32 s14, vcc_lo, s14
	s_and_b32 vcc_lo, s13, s14
	s_xor_b32 s13, vcc_lo, -1
	s_and_saveexec_b32 s14, s13
	s_xor_b32 s13, exec_lo, s14
; %bb.47:
	v_add_nc_u32_e32 v18, v2, v20
	ds_read_u8 v18, v18 offset:1
; %bb.48:
	s_or_saveexec_b32 s13, s13
	v_mov_b32_e32 v19, v17
	s_xor_b32 exec_lo, exec_lo, s13
	s_cbranch_execz .LBB82_50
; %bb.49:
	s_waitcnt lgkmcnt(0)
	v_add_nc_u32_e32 v18, v2, v21
	ds_read_u8 v19, v18 offset:1
	v_mov_b32_e32 v18, v16
.LBB82_50:
	s_or_b32 exec_lo, exec_lo, s13
	v_add_nc_u32_e32 v22, 1, v20
	v_add_nc_u32_e32 v23, 1, v21
	s_waitcnt lgkmcnt(0)
	v_cmp_lt_i16_sdwa s15, sext(v19), sext(v18) src0_sel:BYTE_0 src1_sel:BYTE_0
	v_cndmask_b32_e32 v20, v22, v20, vcc_lo
	v_cndmask_b32_e32 v21, v21, v23, vcc_lo
                                        ; implicit-def: $vgpr22
	v_cmp_ge_i32_e64 s13, v20, v3
	v_cmp_lt_i32_e64 s14, v21, v8
	s_or_b32 s13, s13, s15
	s_and_b32 s13, s14, s13
	s_xor_b32 s14, s13, -1
	s_and_saveexec_b32 s15, s14
	s_xor_b32 s14, exec_lo, s15
; %bb.51:
	v_add_nc_u32_e32 v22, v2, v20
	ds_read_u8 v22, v22 offset:1
; %bb.52:
	s_or_saveexec_b32 s14, s14
	v_mov_b32_e32 v23, v19
	s_xor_b32 exec_lo, exec_lo, s14
	s_cbranch_execz .LBB82_54
; %bb.53:
	s_waitcnt lgkmcnt(0)
	v_add_nc_u32_e32 v22, v2, v21
	ds_read_u8 v23, v22 offset:1
	v_mov_b32_e32 v22, v18
.LBB82_54:
	s_or_b32 exec_lo, exec_lo, s14
	v_and_b32_e32 v24, 0xe0, v5
	v_cndmask_b32_e64 v19, v18, v19, s13
	v_add_nc_u32_e32 v26, 1, v20
	v_add_nc_u32_e32 v25, 1, v21
	v_cndmask_b32_e64 v10, v10, v11, s10
	v_min_i32_e32 v18, v6, v24
	v_cndmask_b32_e64 v11, v0, v1, s8
	v_cndmask_b32_e64 v14, v14, v15, s12
	v_cndmask_b32_e64 v15, v26, v20, s13
	v_cndmask_b32_e64 v9, v7, v9, s9
	v_add_nc_u32_e32 v1, 16, v18
	v_cndmask_b32_e64 v7, v21, v25, s13
	s_waitcnt lgkmcnt(0)
	v_cmp_lt_i16_sdwa s10, sext(v23), sext(v22) src0_sel:BYTE_0 src1_sel:BYTE_0
	v_cmp_ge_i32_e64 s9, v15, v3
	v_cndmask_b32_sdwa v16, v16, v17, vcc_lo dst_sel:BYTE_1 dst_unused:UNUSED_PAD src0_sel:DWORD src1_sel:DWORD
	v_min_i32_e32 v1, v6, v1
	v_cmp_lt_i32_e64 s8, v7, v8
	s_mov_b32 vcc_lo, s11
	s_or_b32 s9, s9, s10
	v_cndmask_b32_sdwa v8, v12, v13, vcc_lo dst_sel:BYTE_1 dst_unused:UNUSED_PAD src0_sel:DWORD src1_sel:DWORD
	v_add_nc_u32_e32 v3, 16, v1
	s_and_b32 vcc_lo, s8, s9
	v_and_b32_e32 v20, 24, v5
	v_cndmask_b32_e32 v12, v22, v23, vcc_lo
	v_lshlrev_b16 v9, 8, v9
	v_min_i32_e32 v7, v6, v3
	v_or_b32_sdwa v8, v10, v8 dst_sel:WORD_1 dst_unused:UNUSED_PAD src0_sel:BYTE_0 src1_sel:DWORD
	v_min_i32_e32 v3, v6, v20
	v_lshlrev_b16 v10, 8, v12
	v_or_b32_sdwa v9, v11, v9 dst_sel:DWORD dst_unused:UNUSED_PAD src0_sel:BYTE_0 src1_sel:DWORD
	v_sub_nc_u32_e32 v13, v7, v1
	v_or_b32_sdwa v11, v14, v16 dst_sel:DWORD dst_unused:UNUSED_PAD src0_sel:BYTE_0 src1_sel:DWORD
	v_sub_nc_u32_e32 v14, v1, v18
	v_or_b32_sdwa v15, v19, v10 dst_sel:WORD_1 dst_unused:UNUSED_PAD src0_sel:BYTE_0 src1_sel:DWORD
	v_add_nc_u32_e32 v0, v2, v5
	v_sub_nc_u32_e32 v12, v3, v13
	v_cmp_ge_i32_e32 vcc_lo, v3, v13
	v_or_b32_sdwa v10, v9, v8 dst_sel:DWORD dst_unused:UNUSED_PAD src0_sel:WORD_0 src1_sel:DWORD
	v_min_i32_e32 v9, v3, v14
	v_or_b32_sdwa v11, v11, v15 dst_sel:DWORD dst_unused:UNUSED_PAD src0_sel:WORD_0 src1_sel:DWORD
	s_mov_b32 s9, 0
	v_cndmask_b32_e32 v8, 0, v12, vcc_lo
	s_mov_b32 s8, exec_lo
	; wave barrier
	ds_write_b64 v0, v[10:11]
	; wave barrier
	v_cmpx_lt_i32_e64 v8, v9
	s_cbranch_execz .LBB82_58
; %bb.55:
	v_add_nc_u32_e32 v10, v2, v18
	v_add3_u32 v11, v2, v1, v3
	.p2align	6
.LBB82_56:                              ; =>This Inner Loop Header: Depth=1
	v_sub_nc_u32_e32 v12, v9, v8
	v_lshrrev_b32_e32 v12, 1, v12
	v_add_nc_u32_e32 v12, v12, v8
	v_add_nc_u32_e32 v13, v10, v12
	v_xad_u32 v14, v12, -1, v11
	v_add_nc_u32_e32 v15, 1, v12
	ds_read_i8 v13, v13
	ds_read_i8 v14, v14
	s_waitcnt lgkmcnt(0)
	v_cmp_lt_i16_e32 vcc_lo, v14, v13
	v_cndmask_b32_e32 v9, v9, v12, vcc_lo
	v_cndmask_b32_e32 v8, v15, v8, vcc_lo
	v_cmp_ge_i32_e32 vcc_lo, v8, v9
	s_or_b32 s9, vcc_lo, s9
	s_andn2_b32 exec_lo, exec_lo, s9
	s_cbranch_execnz .LBB82_56
; %bb.57:
	s_or_b32 exec_lo, exec_lo, s9
.LBB82_58:
	s_or_b32 exec_lo, exec_lo, s8
	v_add_nc_u32_e32 v3, v1, v3
	v_add_nc_u32_e32 v11, v8, v18
                                        ; implicit-def: $vgpr9
	v_sub_nc_u32_e32 v12, v3, v8
	v_add_nc_u32_e32 v10, v2, v11
	v_cmp_le_i32_e32 vcc_lo, v1, v11
	v_add_nc_u32_e32 v13, v2, v12
	v_cmp_gt_i32_e64 s9, v7, v12
	ds_read_u8 v3, v10
	ds_read_u8 v8, v13
	s_waitcnt lgkmcnt(1)
	v_bfe_i32 v3, v3, 0, 8
	s_waitcnt lgkmcnt(0)
	v_bfe_i32 v8, v8, 0, 8
	v_cmp_lt_i16_e64 s8, v8, v3
	s_or_b32 s8, vcc_lo, s8
	s_and_b32 s8, s9, s8
	s_xor_b32 s9, s8, -1
	s_and_saveexec_b32 s10, s9
	s_xor_b32 s9, exec_lo, s10
; %bb.59:
	ds_read_u8 v9, v10 offset:1
                                        ; implicit-def: $vgpr13
; %bb.60:
	s_or_saveexec_b32 s9, s9
	v_mov_b32_e32 v10, v8
	s_xor_b32 exec_lo, exec_lo, s9
	s_cbranch_execz .LBB82_62
; %bb.61:
	ds_read_u8 v10, v13 offset:1
	s_waitcnt lgkmcnt(1)
	v_mov_b32_e32 v9, v3
.LBB82_62:
	s_or_b32 exec_lo, exec_lo, s9
	v_add_nc_u32_e32 v13, 1, v11
	v_add_nc_u32_e32 v15, 1, v12
	s_waitcnt lgkmcnt(0)
	v_cmp_lt_i16_sdwa s10, sext(v10), sext(v9) src0_sel:BYTE_0 src1_sel:BYTE_0
	v_cndmask_b32_e64 v14, v13, v11, s8
	v_cndmask_b32_e64 v13, v12, v15, s8
                                        ; implicit-def: $vgpr11
	v_cmp_ge_i32_e32 vcc_lo, v14, v1
	v_cmp_lt_i32_e64 s9, v13, v7
	s_or_b32 s10, vcc_lo, s10
	s_and_b32 s9, s9, s10
	s_xor_b32 s10, s9, -1
	s_and_saveexec_b32 s11, s10
	s_xor_b32 s10, exec_lo, s11
; %bb.63:
	v_add_nc_u32_e32 v11, v2, v14
	ds_read_u8 v11, v11 offset:1
; %bb.64:
	s_or_saveexec_b32 s10, s10
	v_mov_b32_e32 v12, v10
	s_xor_b32 exec_lo, exec_lo, s10
	s_cbranch_execz .LBB82_66
; %bb.65:
	s_waitcnt lgkmcnt(0)
	v_add_nc_u32_e32 v11, v2, v13
	ds_read_u8 v12, v11 offset:1
	v_mov_b32_e32 v11, v9
.LBB82_66:
	s_or_b32 exec_lo, exec_lo, s10
	v_add_nc_u32_e32 v15, 1, v14
	v_add_nc_u32_e32 v17, 1, v13
	s_waitcnt lgkmcnt(0)
	v_cmp_lt_i16_sdwa s11, sext(v12), sext(v11) src0_sel:BYTE_0 src1_sel:BYTE_0
	v_cndmask_b32_e64 v16, v15, v14, s9
	v_cndmask_b32_e64 v15, v13, v17, s9
                                        ; implicit-def: $vgpr13
	v_cmp_ge_i32_e32 vcc_lo, v16, v1
	v_cmp_lt_i32_e64 s10, v15, v7
	s_or_b32 s11, vcc_lo, s11
	s_and_b32 s10, s10, s11
	s_xor_b32 s11, s10, -1
	s_and_saveexec_b32 s12, s11
	s_xor_b32 s11, exec_lo, s12
; %bb.67:
	v_add_nc_u32_e32 v13, v2, v16
	ds_read_u8 v13, v13 offset:1
; %bb.68:
	s_or_saveexec_b32 s11, s11
	v_mov_b32_e32 v14, v12
	s_xor_b32 exec_lo, exec_lo, s11
	s_cbranch_execz .LBB82_70
; %bb.69:
	s_waitcnt lgkmcnt(0)
	v_add_nc_u32_e32 v13, v2, v15
	ds_read_u8 v14, v13 offset:1
	v_mov_b32_e32 v13, v11
.LBB82_70:
	s_or_b32 exec_lo, exec_lo, s11
	v_add_nc_u32_e32 v17, 1, v16
	v_add_nc_u32_e32 v19, 1, v15
	s_waitcnt lgkmcnt(0)
	v_cmp_lt_i16_sdwa s12, sext(v14), sext(v13) src0_sel:BYTE_0 src1_sel:BYTE_0
	v_cndmask_b32_e64 v18, v17, v16, s10
	v_cndmask_b32_e64 v17, v15, v19, s10
                                        ; implicit-def: $vgpr15
	v_cmp_ge_i32_e32 vcc_lo, v18, v1
	v_cmp_lt_i32_e64 s11, v17, v7
	s_or_b32 s12, vcc_lo, s12
	s_and_b32 s11, s11, s12
	s_xor_b32 s12, s11, -1
	s_and_saveexec_b32 s13, s12
	s_xor_b32 s12, exec_lo, s13
; %bb.71:
	v_add_nc_u32_e32 v15, v2, v18
	ds_read_u8 v15, v15 offset:1
; %bb.72:
	s_or_saveexec_b32 s12, s12
	v_mov_b32_e32 v16, v14
	s_xor_b32 exec_lo, exec_lo, s12
	s_cbranch_execz .LBB82_74
; %bb.73:
	s_waitcnt lgkmcnt(0)
	v_add_nc_u32_e32 v15, v2, v17
	ds_read_u8 v16, v15 offset:1
	v_mov_b32_e32 v15, v13
.LBB82_74:
	s_or_b32 exec_lo, exec_lo, s12
	v_add_nc_u32_e32 v19, 1, v18
	v_add_nc_u32_e32 v21, 1, v17
	s_waitcnt lgkmcnt(0)
	v_cmp_lt_i16_sdwa s13, sext(v16), sext(v15) src0_sel:BYTE_0 src1_sel:BYTE_0
	v_cndmask_b32_e64 v20, v19, v18, s11
	v_cndmask_b32_e64 v19, v17, v21, s11
                                        ; implicit-def: $vgpr17
	v_cmp_ge_i32_e32 vcc_lo, v20, v1
	v_cmp_lt_i32_e64 s12, v19, v7
	s_or_b32 s13, vcc_lo, s13
	s_and_b32 s12, s12, s13
	s_xor_b32 s13, s12, -1
	s_and_saveexec_b32 s14, s13
	s_xor_b32 s13, exec_lo, s14
; %bb.75:
	v_add_nc_u32_e32 v17, v2, v20
	ds_read_u8 v17, v17 offset:1
; %bb.76:
	s_or_saveexec_b32 s13, s13
	v_mov_b32_e32 v18, v16
	s_xor_b32 exec_lo, exec_lo, s13
	s_cbranch_execz .LBB82_78
; %bb.77:
	s_waitcnt lgkmcnt(0)
	v_add_nc_u32_e32 v17, v2, v19
	ds_read_u8 v18, v17 offset:1
	v_mov_b32_e32 v17, v15
.LBB82_78:
	s_or_b32 exec_lo, exec_lo, s13
	v_add_nc_u32_e32 v21, 1, v20
	v_add_nc_u32_e32 v22, 1, v19
	s_waitcnt lgkmcnt(0)
	v_cmp_lt_i16_sdwa s14, sext(v18), sext(v17) src0_sel:BYTE_0 src1_sel:BYTE_0
	v_cndmask_b32_e64 v21, v21, v20, s12
	v_cndmask_b32_e64 v22, v19, v22, s12
                                        ; implicit-def: $vgpr19
	v_cmp_ge_i32_e32 vcc_lo, v21, v1
	v_cmp_lt_i32_e64 s13, v22, v7
	s_or_b32 s14, vcc_lo, s14
	s_and_b32 vcc_lo, s13, s14
	s_xor_b32 s13, vcc_lo, -1
	s_and_saveexec_b32 s14, s13
	s_xor_b32 s13, exec_lo, s14
; %bb.79:
	v_add_nc_u32_e32 v19, v2, v21
	ds_read_u8 v19, v19 offset:1
; %bb.80:
	s_or_saveexec_b32 s13, s13
	v_mov_b32_e32 v20, v18
	s_xor_b32 exec_lo, exec_lo, s13
	s_cbranch_execz .LBB82_82
; %bb.81:
	s_waitcnt lgkmcnt(0)
	v_add_nc_u32_e32 v19, v2, v22
	ds_read_u8 v20, v19 offset:1
	v_mov_b32_e32 v19, v17
.LBB82_82:
	s_or_b32 exec_lo, exec_lo, s13
	v_add_nc_u32_e32 v23, 1, v21
	v_add_nc_u32_e32 v24, 1, v22
	s_waitcnt lgkmcnt(0)
	v_cmp_lt_i16_sdwa s15, sext(v20), sext(v19) src0_sel:BYTE_0 src1_sel:BYTE_0
	v_cndmask_b32_e32 v21, v23, v21, vcc_lo
	v_cndmask_b32_e32 v22, v22, v24, vcc_lo
                                        ; implicit-def: $vgpr23
	v_cmp_ge_i32_e64 s13, v21, v1
	v_cmp_lt_i32_e64 s14, v22, v7
	s_or_b32 s13, s13, s15
	s_and_b32 s13, s14, s13
	s_xor_b32 s14, s13, -1
	s_and_saveexec_b32 s15, s14
	s_xor_b32 s14, exec_lo, s15
; %bb.83:
	v_add_nc_u32_e32 v23, v2, v21
	ds_read_u8 v23, v23 offset:1
; %bb.84:
	s_or_saveexec_b32 s14, s14
	v_mov_b32_e32 v24, v20
	s_xor_b32 exec_lo, exec_lo, s14
	s_cbranch_execz .LBB82_86
; %bb.85:
	s_waitcnt lgkmcnt(0)
	v_add_nc_u32_e32 v23, v2, v22
	ds_read_u8 v24, v23 offset:1
	v_mov_b32_e32 v23, v19
.LBB82_86:
	s_or_b32 exec_lo, exec_lo, s14
	v_and_b32_e32 v25, 0xc0, v5
	v_cndmask_b32_e64 v20, v19, v20, s13
	v_add_nc_u32_e32 v26, 1, v22
	v_cndmask_b32_e64 v9, v9, v10, s9
	v_cndmask_b32_e64 v15, v15, v16, s12
	v_min_i32_e32 v19, v6, v25
	v_add_nc_u32_e32 v25, 1, v21
	v_cndmask_b32_e64 v11, v11, v12, s10
	v_cndmask_b32_e64 v12, v22, v26, s13
	;; [unrolled: 1-line block ×3, first 2 shown]
	v_add_nc_u32_e32 v10, 32, v19
	v_cndmask_b32_e64 v16, v25, v21, s13
	s_waitcnt lgkmcnt(0)
	v_cmp_lt_i16_sdwa s10, sext(v24), sext(v23) src0_sel:BYTE_0 src1_sel:BYTE_0
	v_cmp_lt_i32_e64 s8, v12, v7
	v_cndmask_b32_sdwa v17, v17, v18, vcc_lo dst_sel:BYTE_1 dst_unused:UNUSED_PAD src0_sel:DWORD src1_sel:DWORD
	v_min_i32_e32 v3, v6, v10
	v_cmp_ge_i32_e64 s9, v16, v1
	s_mov_b32 vcc_lo, s11
	v_and_b32_e32 v10, 56, v5
	v_cndmask_b32_sdwa v12, v13, v14, vcc_lo dst_sel:BYTE_1 dst_unused:UNUSED_PAD src0_sel:DWORD src1_sel:DWORD
	v_add_nc_u32_e32 v1, 32, v3
	s_or_b32 s9, s9, s10
	v_lshlrev_b16 v9, 8, v9
	s_and_b32 vcc_lo, s8, s9
	s_mov_b32 s9, 0
	v_min_i32_e32 v7, v6, v1
	v_cndmask_b32_e32 v13, v23, v24, vcc_lo
	v_min_i32_e32 v1, v6, v10
	v_or_b32_sdwa v10, v11, v12 dst_sel:WORD_1 dst_unused:UNUSED_PAD src0_sel:BYTE_0 src1_sel:DWORD
	v_or_b32_sdwa v8, v8, v9 dst_sel:DWORD dst_unused:UNUSED_PAD src0_sel:BYTE_0 src1_sel:DWORD
	v_sub_nc_u32_e32 v14, v7, v3
	v_lshlrev_b16 v11, 8, v13
	v_or_b32_sdwa v12, v15, v17 dst_sel:DWORD dst_unused:UNUSED_PAD src0_sel:BYTE_0 src1_sel:DWORD
	v_sub_nc_u32_e32 v13, v3, v19
	v_or_b32_sdwa v10, v8, v10 dst_sel:DWORD dst_unused:UNUSED_PAD src0_sel:WORD_0 src1_sel:DWORD
	v_sub_nc_u32_e32 v9, v1, v14
	v_or_b32_sdwa v11, v20, v11 dst_sel:WORD_1 dst_unused:UNUSED_PAD src0_sel:BYTE_0 src1_sel:DWORD
	v_cmp_ge_i32_e32 vcc_lo, v1, v14
	s_mov_b32 s8, exec_lo
	; wave barrier
	v_or_b32_sdwa v11, v12, v11 dst_sel:DWORD dst_unused:UNUSED_PAD src0_sel:WORD_0 src1_sel:DWORD
	v_cndmask_b32_e32 v8, 0, v9, vcc_lo
	v_min_i32_e32 v9, v1, v13
	ds_write_b64 v0, v[10:11]
	; wave barrier
	v_cmpx_lt_i32_e64 v8, v9
	s_cbranch_execz .LBB82_90
; %bb.87:
	v_add_nc_u32_e32 v10, v2, v19
	v_add3_u32 v11, v2, v3, v1
	.p2align	6
.LBB82_88:                              ; =>This Inner Loop Header: Depth=1
	v_sub_nc_u32_e32 v12, v9, v8
	v_lshrrev_b32_e32 v12, 1, v12
	v_add_nc_u32_e32 v12, v12, v8
	v_add_nc_u32_e32 v13, v10, v12
	v_xad_u32 v14, v12, -1, v11
	v_add_nc_u32_e32 v15, 1, v12
	ds_read_i8 v13, v13
	ds_read_i8 v14, v14
	s_waitcnt lgkmcnt(0)
	v_cmp_lt_i16_e32 vcc_lo, v14, v13
	v_cndmask_b32_e32 v9, v9, v12, vcc_lo
	v_cndmask_b32_e32 v8, v15, v8, vcc_lo
	v_cmp_ge_i32_e32 vcc_lo, v8, v9
	s_or_b32 s9, vcc_lo, s9
	s_andn2_b32 exec_lo, exec_lo, s9
	s_cbranch_execnz .LBB82_88
; %bb.89:
	s_or_b32 exec_lo, exec_lo, s9
.LBB82_90:
	s_or_b32 exec_lo, exec_lo, s8
	v_add_nc_u32_e32 v1, v3, v1
	v_add_nc_u32_e32 v11, v8, v19
                                        ; implicit-def: $vgpr9
	v_sub_nc_u32_e32 v12, v1, v8
	v_add_nc_u32_e32 v10, v2, v11
	v_cmp_le_i32_e32 vcc_lo, v3, v11
	v_add_nc_u32_e32 v13, v2, v12
	v_cmp_gt_i32_e64 s9, v7, v12
	ds_read_u8 v1, v10
	ds_read_u8 v8, v13
	s_waitcnt lgkmcnt(1)
	v_bfe_i32 v1, v1, 0, 8
	s_waitcnt lgkmcnt(0)
	v_bfe_i32 v8, v8, 0, 8
	v_cmp_lt_i16_e64 s8, v8, v1
	s_or_b32 s8, vcc_lo, s8
	s_and_b32 s8, s9, s8
	s_xor_b32 s9, s8, -1
	s_and_saveexec_b32 s10, s9
	s_xor_b32 s9, exec_lo, s10
; %bb.91:
	ds_read_u8 v9, v10 offset:1
                                        ; implicit-def: $vgpr13
; %bb.92:
	s_or_saveexec_b32 s9, s9
	v_mov_b32_e32 v10, v8
	s_xor_b32 exec_lo, exec_lo, s9
	s_cbranch_execz .LBB82_94
; %bb.93:
	ds_read_u8 v10, v13 offset:1
	s_waitcnt lgkmcnt(1)
	v_mov_b32_e32 v9, v1
.LBB82_94:
	s_or_b32 exec_lo, exec_lo, s9
	v_add_nc_u32_e32 v13, 1, v11
	v_add_nc_u32_e32 v15, 1, v12
	s_waitcnt lgkmcnt(0)
	v_cmp_lt_i16_sdwa s10, sext(v10), sext(v9) src0_sel:BYTE_0 src1_sel:BYTE_0
	v_cndmask_b32_e64 v14, v13, v11, s8
	v_cndmask_b32_e64 v13, v12, v15, s8
                                        ; implicit-def: $vgpr11
	v_cmp_ge_i32_e32 vcc_lo, v14, v3
	v_cmp_lt_i32_e64 s9, v13, v7
	s_or_b32 s10, vcc_lo, s10
	s_and_b32 s9, s9, s10
	s_xor_b32 s10, s9, -1
	s_and_saveexec_b32 s11, s10
	s_xor_b32 s10, exec_lo, s11
; %bb.95:
	v_add_nc_u32_e32 v11, v2, v14
	ds_read_u8 v11, v11 offset:1
; %bb.96:
	s_or_saveexec_b32 s10, s10
	v_mov_b32_e32 v12, v10
	s_xor_b32 exec_lo, exec_lo, s10
	s_cbranch_execz .LBB82_98
; %bb.97:
	s_waitcnt lgkmcnt(0)
	v_add_nc_u32_e32 v11, v2, v13
	ds_read_u8 v12, v11 offset:1
	v_mov_b32_e32 v11, v9
.LBB82_98:
	s_or_b32 exec_lo, exec_lo, s10
	v_add_nc_u32_e32 v15, 1, v14
	v_add_nc_u32_e32 v17, 1, v13
	s_waitcnt lgkmcnt(0)
	v_cmp_lt_i16_sdwa s11, sext(v12), sext(v11) src0_sel:BYTE_0 src1_sel:BYTE_0
	v_cndmask_b32_e64 v16, v15, v14, s9
	v_cndmask_b32_e64 v15, v13, v17, s9
                                        ; implicit-def: $vgpr13
	v_cmp_ge_i32_e32 vcc_lo, v16, v3
	v_cmp_lt_i32_e64 s10, v15, v7
	s_or_b32 s11, vcc_lo, s11
	s_and_b32 s10, s10, s11
	s_xor_b32 s11, s10, -1
	s_and_saveexec_b32 s12, s11
	s_xor_b32 s11, exec_lo, s12
; %bb.99:
	v_add_nc_u32_e32 v13, v2, v16
	ds_read_u8 v13, v13 offset:1
; %bb.100:
	s_or_saveexec_b32 s11, s11
	v_mov_b32_e32 v14, v12
	s_xor_b32 exec_lo, exec_lo, s11
	s_cbranch_execz .LBB82_102
; %bb.101:
	s_waitcnt lgkmcnt(0)
	v_add_nc_u32_e32 v13, v2, v15
	ds_read_u8 v14, v13 offset:1
	v_mov_b32_e32 v13, v11
.LBB82_102:
	s_or_b32 exec_lo, exec_lo, s11
	v_add_nc_u32_e32 v17, 1, v16
	v_add_nc_u32_e32 v19, 1, v15
	s_waitcnt lgkmcnt(0)
	v_cmp_lt_i16_sdwa s12, sext(v14), sext(v13) src0_sel:BYTE_0 src1_sel:BYTE_0
	v_cndmask_b32_e64 v18, v17, v16, s10
	v_cndmask_b32_e64 v17, v15, v19, s10
                                        ; implicit-def: $vgpr15
	v_cmp_ge_i32_e32 vcc_lo, v18, v3
	v_cmp_lt_i32_e64 s11, v17, v7
	s_or_b32 s12, vcc_lo, s12
	s_and_b32 s11, s11, s12
	s_xor_b32 s12, s11, -1
	s_and_saveexec_b32 s13, s12
	s_xor_b32 s12, exec_lo, s13
; %bb.103:
	v_add_nc_u32_e32 v15, v2, v18
	ds_read_u8 v15, v15 offset:1
; %bb.104:
	s_or_saveexec_b32 s12, s12
	v_mov_b32_e32 v16, v14
	s_xor_b32 exec_lo, exec_lo, s12
	s_cbranch_execz .LBB82_106
; %bb.105:
	s_waitcnt lgkmcnt(0)
	v_add_nc_u32_e32 v15, v2, v17
	ds_read_u8 v16, v15 offset:1
	v_mov_b32_e32 v15, v13
.LBB82_106:
	s_or_b32 exec_lo, exec_lo, s12
	v_add_nc_u32_e32 v19, 1, v18
	v_add_nc_u32_e32 v21, 1, v17
	s_waitcnt lgkmcnt(0)
	v_cmp_lt_i16_sdwa s13, sext(v16), sext(v15) src0_sel:BYTE_0 src1_sel:BYTE_0
	v_cndmask_b32_e64 v20, v19, v18, s11
	v_cndmask_b32_e64 v19, v17, v21, s11
                                        ; implicit-def: $vgpr17
	v_cmp_ge_i32_e32 vcc_lo, v20, v3
	v_cmp_lt_i32_e64 s12, v19, v7
	s_or_b32 s13, vcc_lo, s13
	s_and_b32 s12, s12, s13
	s_xor_b32 s13, s12, -1
	s_and_saveexec_b32 s14, s13
	s_xor_b32 s13, exec_lo, s14
; %bb.107:
	v_add_nc_u32_e32 v17, v2, v20
	ds_read_u8 v17, v17 offset:1
; %bb.108:
	s_or_saveexec_b32 s13, s13
	v_mov_b32_e32 v18, v16
	s_xor_b32 exec_lo, exec_lo, s13
	s_cbranch_execz .LBB82_110
; %bb.109:
	s_waitcnt lgkmcnt(0)
	v_add_nc_u32_e32 v17, v2, v19
	ds_read_u8 v18, v17 offset:1
	v_mov_b32_e32 v17, v15
.LBB82_110:
	s_or_b32 exec_lo, exec_lo, s13
	v_add_nc_u32_e32 v21, 1, v20
	v_add_nc_u32_e32 v22, 1, v19
	s_waitcnt lgkmcnt(0)
	v_cmp_lt_i16_sdwa s14, sext(v18), sext(v17) src0_sel:BYTE_0 src1_sel:BYTE_0
	v_cndmask_b32_e64 v21, v21, v20, s12
	v_cndmask_b32_e64 v22, v19, v22, s12
                                        ; implicit-def: $vgpr19
	v_cmp_ge_i32_e32 vcc_lo, v21, v3
	v_cmp_lt_i32_e64 s13, v22, v7
	s_or_b32 s14, vcc_lo, s14
	s_and_b32 vcc_lo, s13, s14
	s_xor_b32 s13, vcc_lo, -1
	s_and_saveexec_b32 s14, s13
	s_xor_b32 s13, exec_lo, s14
; %bb.111:
	v_add_nc_u32_e32 v19, v2, v21
	ds_read_u8 v19, v19 offset:1
; %bb.112:
	s_or_saveexec_b32 s13, s13
	v_mov_b32_e32 v20, v18
	s_xor_b32 exec_lo, exec_lo, s13
	s_cbranch_execz .LBB82_114
; %bb.113:
	s_waitcnt lgkmcnt(0)
	v_add_nc_u32_e32 v19, v2, v22
	ds_read_u8 v20, v19 offset:1
	v_mov_b32_e32 v19, v17
.LBB82_114:
	s_or_b32 exec_lo, exec_lo, s13
	v_add_nc_u32_e32 v23, 1, v21
	v_add_nc_u32_e32 v24, 1, v22
	s_waitcnt lgkmcnt(0)
	v_cmp_lt_i16_sdwa s15, sext(v20), sext(v19) src0_sel:BYTE_0 src1_sel:BYTE_0
	v_cndmask_b32_e32 v21, v23, v21, vcc_lo
	v_cndmask_b32_e32 v22, v22, v24, vcc_lo
                                        ; implicit-def: $vgpr23
	v_cmp_ge_i32_e64 s13, v21, v3
	v_cmp_lt_i32_e64 s14, v22, v7
	s_or_b32 s13, s13, s15
	s_and_b32 s13, s14, s13
	s_xor_b32 s14, s13, -1
	s_and_saveexec_b32 s15, s14
	s_xor_b32 s14, exec_lo, s15
; %bb.115:
	v_add_nc_u32_e32 v23, v2, v21
	ds_read_u8 v23, v23 offset:1
; %bb.116:
	s_or_saveexec_b32 s14, s14
	v_mov_b32_e32 v24, v20
	s_xor_b32 exec_lo, exec_lo, s14
	s_cbranch_execz .LBB82_118
; %bb.117:
	s_waitcnt lgkmcnt(0)
	v_add_nc_u32_e32 v23, v2, v22
	ds_read_u8 v24, v23 offset:1
	v_mov_b32_e32 v23, v19
.LBB82_118:
	s_or_b32 exec_lo, exec_lo, s14
	v_and_b32_e32 v25, 0x80, v5
	v_cndmask_b32_e64 v20, v19, v20, s13
	v_add_nc_u32_e32 v26, 1, v22
	v_cndmask_b32_e64 v9, v9, v10, s9
	v_cndmask_b32_e64 v15, v15, v16, s12
	v_min_i32_e32 v19, v6, v25
	v_add_nc_u32_e32 v25, 1, v21
	v_cndmask_b32_e64 v11, v11, v12, s10
	v_cndmask_b32_e64 v12, v22, v26, s13
	;; [unrolled: 1-line block ×3, first 2 shown]
	v_add_nc_u32_e32 v10, 64, v19
	v_cndmask_b32_e64 v16, v25, v21, s13
	s_waitcnt lgkmcnt(0)
	v_cmp_lt_i16_sdwa s10, sext(v24), sext(v23) src0_sel:BYTE_0 src1_sel:BYTE_0
	v_cmp_lt_i32_e64 s8, v12, v7
	v_cndmask_b32_sdwa v17, v17, v18, vcc_lo dst_sel:BYTE_1 dst_unused:UNUSED_PAD src0_sel:DWORD src1_sel:DWORD
	v_min_i32_e32 v1, v6, v10
	v_cmp_ge_i32_e64 s9, v16, v3
	s_mov_b32 vcc_lo, s11
	v_and_b32_e32 v10, 0x78, v5
	v_cndmask_b32_sdwa v12, v13, v14, vcc_lo dst_sel:BYTE_1 dst_unused:UNUSED_PAD src0_sel:DWORD src1_sel:DWORD
	v_add_nc_u32_e32 v3, 64, v1
	s_or_b32 s9, s9, s10
	v_lshlrev_b16 v9, 8, v9
	s_and_b32 vcc_lo, s8, s9
	s_mov_b32 s9, 0
	v_min_i32_e32 v7, v6, v3
	v_cndmask_b32_e32 v13, v23, v24, vcc_lo
	v_min_i32_e32 v3, v6, v10
	v_or_b32_sdwa v10, v11, v12 dst_sel:WORD_1 dst_unused:UNUSED_PAD src0_sel:BYTE_0 src1_sel:DWORD
	v_or_b32_sdwa v8, v8, v9 dst_sel:DWORD dst_unused:UNUSED_PAD src0_sel:BYTE_0 src1_sel:DWORD
	v_sub_nc_u32_e32 v14, v7, v1
	v_lshlrev_b16 v11, 8, v13
	v_or_b32_sdwa v12, v15, v17 dst_sel:DWORD dst_unused:UNUSED_PAD src0_sel:BYTE_0 src1_sel:DWORD
	v_sub_nc_u32_e32 v13, v1, v19
	v_or_b32_sdwa v10, v8, v10 dst_sel:DWORD dst_unused:UNUSED_PAD src0_sel:WORD_0 src1_sel:DWORD
	v_sub_nc_u32_e32 v9, v3, v14
	v_or_b32_sdwa v11, v20, v11 dst_sel:WORD_1 dst_unused:UNUSED_PAD src0_sel:BYTE_0 src1_sel:DWORD
	v_cmp_ge_i32_e32 vcc_lo, v3, v14
	s_mov_b32 s8, exec_lo
	; wave barrier
	v_or_b32_sdwa v11, v12, v11 dst_sel:DWORD dst_unused:UNUSED_PAD src0_sel:WORD_0 src1_sel:DWORD
	v_cndmask_b32_e32 v8, 0, v9, vcc_lo
	v_min_i32_e32 v9, v3, v13
	ds_write_b64 v0, v[10:11]
	; wave barrier
	v_cmpx_lt_i32_e64 v8, v9
	s_cbranch_execz .LBB82_122
; %bb.119:
	v_add_nc_u32_e32 v10, v2, v19
	v_add3_u32 v11, v2, v1, v3
	.p2align	6
.LBB82_120:                             ; =>This Inner Loop Header: Depth=1
	v_sub_nc_u32_e32 v12, v9, v8
	v_lshrrev_b32_e32 v12, 1, v12
	v_add_nc_u32_e32 v12, v12, v8
	v_add_nc_u32_e32 v13, v10, v12
	v_xad_u32 v14, v12, -1, v11
	v_add_nc_u32_e32 v15, 1, v12
	ds_read_i8 v13, v13
	ds_read_i8 v14, v14
	s_waitcnt lgkmcnt(0)
	v_cmp_lt_i16_e32 vcc_lo, v14, v13
	v_cndmask_b32_e32 v9, v9, v12, vcc_lo
	v_cndmask_b32_e32 v8, v15, v8, vcc_lo
	v_cmp_ge_i32_e32 vcc_lo, v8, v9
	s_or_b32 s9, vcc_lo, s9
	s_andn2_b32 exec_lo, exec_lo, s9
	s_cbranch_execnz .LBB82_120
; %bb.121:
	s_or_b32 exec_lo, exec_lo, s9
.LBB82_122:
	s_or_b32 exec_lo, exec_lo, s8
	v_add_nc_u32_e32 v9, v1, v3
	v_add_nc_u32_e32 v3, v8, v19
                                        ; implicit-def: $vgpr10
	v_sub_nc_u32_e32 v12, v9, v8
	v_add_nc_u32_e32 v11, v2, v3
	v_cmp_le_i32_e32 vcc_lo, v1, v3
	v_add_nc_u32_e32 v13, v2, v12
	v_cmp_gt_i32_e64 s9, v7, v12
	ds_read_u8 v8, v11
	ds_read_u8 v9, v13
	s_waitcnt lgkmcnt(1)
	v_bfe_i32 v8, v8, 0, 8
	s_waitcnt lgkmcnt(0)
	v_bfe_i32 v9, v9, 0, 8
	v_cmp_lt_i16_e64 s8, v9, v8
	s_or_b32 s8, vcc_lo, s8
	s_and_b32 s8, s9, s8
	s_xor_b32 s9, s8, -1
	s_and_saveexec_b32 s10, s9
	s_xor_b32 s9, exec_lo, s10
; %bb.123:
	ds_read_u8 v10, v11 offset:1
                                        ; implicit-def: $vgpr13
; %bb.124:
	s_or_saveexec_b32 s9, s9
	v_mov_b32_e32 v11, v9
	s_xor_b32 exec_lo, exec_lo, s9
	s_cbranch_execz .LBB82_126
; %bb.125:
	ds_read_u8 v11, v13 offset:1
	s_waitcnt lgkmcnt(1)
	v_mov_b32_e32 v10, v8
.LBB82_126:
	s_or_b32 exec_lo, exec_lo, s9
	v_add_nc_u32_e32 v13, 1, v3
	v_add_nc_u32_e32 v15, 1, v12
	s_waitcnt lgkmcnt(0)
	v_cmp_lt_i16_sdwa s10, sext(v11), sext(v10) src0_sel:BYTE_0 src1_sel:BYTE_0
	v_cndmask_b32_e64 v14, v13, v3, s8
	v_cndmask_b32_e64 v3, v12, v15, s8
                                        ; implicit-def: $vgpr12
	v_cmp_ge_i32_e32 vcc_lo, v14, v1
	v_cmp_lt_i32_e64 s9, v3, v7
	s_or_b32 s10, vcc_lo, s10
	s_and_b32 s9, s9, s10
	s_xor_b32 s10, s9, -1
	s_and_saveexec_b32 s11, s10
	s_xor_b32 s10, exec_lo, s11
; %bb.127:
	v_add_nc_u32_e32 v12, v2, v14
	ds_read_u8 v12, v12 offset:1
; %bb.128:
	s_or_saveexec_b32 s10, s10
	v_mov_b32_e32 v13, v11
	s_xor_b32 exec_lo, exec_lo, s10
	s_cbranch_execz .LBB82_130
; %bb.129:
	s_waitcnt lgkmcnt(0)
	v_add_nc_u32_e32 v12, v2, v3
	ds_read_u8 v13, v12 offset:1
	v_mov_b32_e32 v12, v10
.LBB82_130:
	s_or_b32 exec_lo, exec_lo, s10
	v_add_nc_u32_e32 v15, 1, v14
	v_add_nc_u32_e32 v17, 1, v3
	s_waitcnt lgkmcnt(0)
	v_cmp_lt_i16_sdwa s11, sext(v13), sext(v12) src0_sel:BYTE_0 src1_sel:BYTE_0
	v_cndmask_b32_e64 v16, v15, v14, s9
	v_cndmask_b32_e64 v3, v3, v17, s9
                                        ; implicit-def: $vgpr14
	v_cmp_ge_i32_e32 vcc_lo, v16, v1
	v_cmp_lt_i32_e64 s10, v3, v7
	s_or_b32 s11, vcc_lo, s11
	s_and_b32 s10, s10, s11
	s_xor_b32 s11, s10, -1
	s_and_saveexec_b32 s12, s11
	s_xor_b32 s11, exec_lo, s12
; %bb.131:
	v_add_nc_u32_e32 v14, v2, v16
	ds_read_u8 v14, v14 offset:1
; %bb.132:
	s_or_saveexec_b32 s11, s11
	v_mov_b32_e32 v15, v13
	s_xor_b32 exec_lo, exec_lo, s11
	s_cbranch_execz .LBB82_134
; %bb.133:
	s_waitcnt lgkmcnt(0)
	v_add_nc_u32_e32 v14, v2, v3
	ds_read_u8 v15, v14 offset:1
	v_mov_b32_e32 v14, v12
.LBB82_134:
	s_or_b32 exec_lo, exec_lo, s11
	v_add_nc_u32_e32 v17, 1, v16
	v_add_nc_u32_e32 v19, 1, v3
	s_waitcnt lgkmcnt(0)
	v_cmp_lt_i16_sdwa s12, sext(v15), sext(v14) src0_sel:BYTE_0 src1_sel:BYTE_0
	v_cndmask_b32_e64 v18, v17, v16, s10
	v_cndmask_b32_e64 v17, v3, v19, s10
                                        ; implicit-def: $vgpr3
	v_cmp_ge_i32_e32 vcc_lo, v18, v1
	v_cmp_lt_i32_e64 s11, v17, v7
	s_or_b32 s12, vcc_lo, s12
	s_and_b32 s11, s11, s12
	s_xor_b32 s12, s11, -1
	s_and_saveexec_b32 s13, s12
	s_xor_b32 s12, exec_lo, s13
; %bb.135:
	v_add_nc_u32_e32 v3, v2, v18
	ds_read_u8 v3, v3 offset:1
; %bb.136:
	s_or_saveexec_b32 s12, s12
	v_mov_b32_e32 v16, v15
	s_xor_b32 exec_lo, exec_lo, s12
	s_cbranch_execz .LBB82_138
; %bb.137:
	s_waitcnt lgkmcnt(0)
	v_add_nc_u32_e32 v3, v2, v17
	ds_read_u8 v16, v3 offset:1
	v_mov_b32_e32 v3, v14
.LBB82_138:
	s_or_b32 exec_lo, exec_lo, s12
	v_add_nc_u32_e32 v19, 1, v18
	v_add_nc_u32_e32 v21, 1, v17
	s_waitcnt lgkmcnt(0)
	v_cmp_lt_i16_sdwa s13, sext(v16), sext(v3) src0_sel:BYTE_0 src1_sel:BYTE_0
	v_cndmask_b32_e64 v20, v19, v18, s11
	v_cndmask_b32_e64 v19, v17, v21, s11
                                        ; implicit-def: $vgpr17
	v_cmp_ge_i32_e32 vcc_lo, v20, v1
	v_cmp_lt_i32_e64 s12, v19, v7
	s_or_b32 s13, vcc_lo, s13
	s_and_b32 s12, s12, s13
	s_xor_b32 s13, s12, -1
	s_and_saveexec_b32 s14, s13
	s_xor_b32 s13, exec_lo, s14
; %bb.139:
	v_add_nc_u32_e32 v17, v2, v20
	ds_read_u8 v17, v17 offset:1
; %bb.140:
	s_or_saveexec_b32 s13, s13
	v_mov_b32_e32 v18, v16
	s_xor_b32 exec_lo, exec_lo, s13
	s_cbranch_execz .LBB82_142
; %bb.141:
	s_waitcnt lgkmcnt(0)
	v_add_nc_u32_e32 v17, v2, v19
	ds_read_u8 v18, v17 offset:1
	v_mov_b32_e32 v17, v3
.LBB82_142:
	s_or_b32 exec_lo, exec_lo, s13
	v_add_nc_u32_e32 v21, 1, v20
	v_add_nc_u32_e32 v23, 1, v19
	s_waitcnt lgkmcnt(0)
	v_cmp_lt_i16_sdwa s14, sext(v18), sext(v17) src0_sel:BYTE_0 src1_sel:BYTE_0
	v_cndmask_b32_e64 v22, v21, v20, s12
	v_cndmask_b32_e64 v20, v19, v23, s12
                                        ; implicit-def: $vgpr19
	v_cmp_ge_i32_e32 vcc_lo, v22, v1
	v_cmp_lt_i32_e64 s13, v20, v7
	s_or_b32 s14, vcc_lo, s14
	s_and_b32 vcc_lo, s13, s14
	s_xor_b32 s13, vcc_lo, -1
	s_and_saveexec_b32 s14, s13
	s_xor_b32 s13, exec_lo, s14
; %bb.143:
	v_add_nc_u32_e32 v19, v2, v22
	ds_read_u8 v19, v19 offset:1
; %bb.144:
	s_or_saveexec_b32 s13, s13
	v_mov_b32_e32 v21, v18
	s_xor_b32 exec_lo, exec_lo, s13
	s_cbranch_execz .LBB82_146
; %bb.145:
	s_waitcnt lgkmcnt(0)
	v_add_nc_u32_e32 v19, v2, v20
	ds_read_u8 v21, v19 offset:1
	v_mov_b32_e32 v19, v17
.LBB82_146:
	s_or_b32 exec_lo, exec_lo, s13
	v_add_nc_u32_e32 v23, 1, v22
	v_add_nc_u32_e32 v24, 1, v20
	s_waitcnt lgkmcnt(0)
	v_cmp_lt_i16_sdwa s15, sext(v21), sext(v19) src0_sel:BYTE_0 src1_sel:BYTE_0
	v_cndmask_b32_e32 v22, v23, v22, vcc_lo
	v_cndmask_b32_e32 v24, v20, v24, vcc_lo
                                        ; implicit-def: $vgpr23
	v_cmp_ge_i32_e64 s13, v22, v1
	v_cmp_lt_i32_e64 s14, v24, v7
	s_or_b32 s13, s13, s15
	s_and_b32 s13, s14, s13
	s_xor_b32 s14, s13, -1
	s_and_saveexec_b32 s15, s14
	s_xor_b32 s14, exec_lo, s15
; %bb.147:
	v_add_nc_u32_e32 v20, v2, v22
	ds_read_u8 v23, v20 offset:1
; %bb.148:
	s_or_saveexec_b32 s14, s14
	v_mov_b32_e32 v25, v21
	s_xor_b32 exec_lo, exec_lo, s14
	s_cbranch_execz .LBB82_150
; %bb.149:
	v_add_nc_u32_e32 v20, v2, v24
	s_waitcnt lgkmcnt(0)
	v_mov_b32_e32 v23, v19
	ds_read_u8 v25, v20 offset:1
.LBB82_150:
	s_or_b32 exec_lo, exec_lo, s14
	v_min_i32_e32 v20, 0, v6
	v_cndmask_b32_e64 v19, v19, v21, s13
	v_add_nc_u32_e32 v21, 1, v24
	v_add_nc_u32_e32 v26, 1, v22
	v_cndmask_b32_sdwa v17, v17, v18, vcc_lo dst_sel:BYTE_1 dst_unused:UNUSED_PAD src0_sel:DWORD src1_sel:DWORD
	v_add_nc_u32_e32 v27, 0x80, v20
	s_mov_b32 vcc_lo, s11
	v_cndmask_b32_e64 v18, v24, v21, s13
	v_cndmask_b32_e64 v21, v26, v22, s13
	;; [unrolled: 1-line block ×3, first 2 shown]
	v_min_i32_e32 v3, v6, v27
	v_cndmask_b32_sdwa v14, v14, v15, vcc_lo dst_sel:BYTE_1 dst_unused:UNUSED_PAD src0_sel:DWORD src1_sel:DWORD
	s_waitcnt lgkmcnt(0)
	v_cmp_lt_i16_sdwa s11, sext(v25), sext(v23) src0_sel:BYTE_0 src1_sel:BYTE_0
	v_cmp_ge_i32_e32 vcc_lo, v21, v1
	v_cndmask_b32_e64 v1, v10, v11, s9
	v_cmp_lt_i32_e64 s9, v18, v7
	v_add_nc_u32_e32 v10, 0x80, v3
	v_cndmask_b32_e64 v8, v8, v9, s8
	s_or_b32 s8, vcc_lo, s11
	v_lshlrev_b16 v9, 8, v1
	s_and_b32 vcc_lo, s9, s8
	v_min_i32_e32 v7, v6, v10
	v_cndmask_b32_e32 v10, v23, v25, vcc_lo
	v_cndmask_b32_e64 v11, v12, v13, s10
	v_min_i32_e32 v1, v6, v5
	v_or_b32_sdwa v8, v8, v9 dst_sel:DWORD dst_unused:UNUSED_PAD src0_sel:BYTE_0 src1_sel:DWORD
	v_sub_nc_u32_e32 v6, v7, v3
	v_lshlrev_b16 v9, 8, v10
	v_or_b32_sdwa v10, v11, v14 dst_sel:WORD_1 dst_unused:UNUSED_PAD src0_sel:BYTE_0 src1_sel:DWORD
	v_or_b32_sdwa v11, v16, v17 dst_sel:DWORD dst_unused:UNUSED_PAD src0_sel:BYTE_0 src1_sel:DWORD
	v_sub_nc_u32_e32 v13, v3, v20
	v_sub_nc_u32_e32 v12, v1, v6
	v_or_b32_sdwa v14, v19, v9 dst_sel:WORD_1 dst_unused:UNUSED_PAD src0_sel:BYTE_0 src1_sel:DWORD
	v_cmp_ge_i32_e32 vcc_lo, v1, v6
	v_or_b32_sdwa v9, v8, v10 dst_sel:DWORD dst_unused:UNUSED_PAD src0_sel:WORD_0 src1_sel:DWORD
	v_min_i32_e32 v8, v1, v13
	s_mov_b32 s9, 0
	v_or_b32_sdwa v10, v11, v14 dst_sel:DWORD dst_unused:UNUSED_PAD src0_sel:WORD_0 src1_sel:DWORD
	v_cndmask_b32_e32 v6, 0, v12, vcc_lo
	s_mov_b32 s8, exec_lo
	; wave barrier
	ds_write_b64 v0, v[9:10]
	; wave barrier
	v_cmpx_lt_i32_e64 v6, v8
	s_cbranch_execz .LBB82_154
; %bb.151:
	v_add_nc_u32_e32 v0, v2, v20
	v_add3_u32 v9, v2, v3, v1
	.p2align	6
.LBB82_152:                             ; =>This Inner Loop Header: Depth=1
	v_sub_nc_u32_e32 v10, v8, v6
	v_lshrrev_b32_e32 v10, 1, v10
	v_add_nc_u32_e32 v10, v10, v6
	v_add_nc_u32_e32 v11, v0, v10
	v_xad_u32 v12, v10, -1, v9
	v_add_nc_u32_e32 v13, 1, v10
	ds_read_i8 v11, v11
	ds_read_i8 v12, v12
	s_waitcnt lgkmcnt(0)
	v_cmp_lt_i16_e32 vcc_lo, v12, v11
	v_cndmask_b32_e32 v8, v8, v10, vcc_lo
	v_cndmask_b32_e32 v6, v13, v6, vcc_lo
	v_cmp_ge_i32_e32 vcc_lo, v6, v8
	s_or_b32 s9, vcc_lo, s9
	s_andn2_b32 exec_lo, exec_lo, s9
	s_cbranch_execnz .LBB82_152
; %bb.153:
	s_or_b32 exec_lo, exec_lo, s9
.LBB82_154:
	s_or_b32 exec_lo, exec_lo, s8
	v_add_nc_u32_e32 v1, v3, v1
	v_add_nc_u32_e32 v0, v6, v20
                                        ; implicit-def: $vgpr9
	v_sub_nc_u32_e32 v1, v1, v6
	v_add_nc_u32_e32 v10, v2, v0
	v_cmp_le_i32_e32 vcc_lo, v3, v0
	v_add_nc_u32_e32 v11, v2, v1
	v_cmp_gt_i32_e64 s9, v7, v1
	ds_read_u8 v6, v10
	ds_read_u8 v8, v11
	s_waitcnt lgkmcnt(1)
	v_bfe_i32 v6, v6, 0, 8
	s_waitcnt lgkmcnt(0)
	v_bfe_i32 v8, v8, 0, 8
	v_cmp_lt_i16_e64 s8, v8, v6
	s_or_b32 s8, vcc_lo, s8
	s_and_b32 vcc_lo, s9, s8
	s_xor_b32 s8, vcc_lo, -1
	s_and_saveexec_b32 s9, s8
	s_xor_b32 s8, exec_lo, s9
; %bb.155:
	ds_read_u8 v9, v10 offset:1
                                        ; implicit-def: $vgpr11
; %bb.156:
	s_or_saveexec_b32 s8, s8
	v_mov_b32_e32 v10, v8
	s_xor_b32 exec_lo, exec_lo, s8
	s_cbranch_execz .LBB82_158
; %bb.157:
	ds_read_u8 v10, v11 offset:1
	s_waitcnt lgkmcnt(1)
	v_mov_b32_e32 v9, v6
.LBB82_158:
	s_or_b32 exec_lo, exec_lo, s8
	v_add_nc_u32_e32 v11, 1, v0
	v_add_nc_u32_e32 v12, 1, v1
	s_waitcnt lgkmcnt(0)
	v_cmp_lt_i16_sdwa s10, sext(v10), sext(v9) src0_sel:BYTE_0 src1_sel:BYTE_0
	v_cndmask_b32_e32 v13, v11, v0, vcc_lo
	v_cndmask_b32_e32 v0, v1, v12, vcc_lo
                                        ; implicit-def: $vgpr11
	v_cmp_ge_i32_e64 s8, v13, v3
	v_cmp_lt_i32_e64 s9, v0, v7
	s_or_b32 s8, s8, s10
	s_and_b32 s8, s9, s8
	s_xor_b32 s9, s8, -1
	s_and_saveexec_b32 s10, s9
	s_xor_b32 s9, exec_lo, s10
; %bb.159:
	v_add_nc_u32_e32 v1, v2, v13
	ds_read_u8 v11, v1 offset:1
; %bb.160:
	s_or_saveexec_b32 s9, s9
	v_mov_b32_e32 v12, v10
	s_xor_b32 exec_lo, exec_lo, s9
	s_cbranch_execz .LBB82_162
; %bb.161:
	v_add_nc_u32_e32 v1, v2, v0
	s_waitcnt lgkmcnt(0)
	v_mov_b32_e32 v11, v9
	ds_read_u8 v12, v1 offset:1
.LBB82_162:
	s_or_b32 exec_lo, exec_lo, s9
	v_add_nc_u32_e32 v1, 1, v13
	v_add_nc_u32_e32 v14, 1, v0
	s_waitcnt lgkmcnt(0)
	v_cmp_lt_i16_sdwa s11, sext(v12), sext(v11) src0_sel:BYTE_0 src1_sel:BYTE_0
	v_cndmask_b32_e64 v1, v1, v13, s8
	v_cndmask_b32_e64 v0, v0, v14, s8
                                        ; implicit-def: $vgpr13
	v_cmp_ge_i32_e64 s9, v1, v3
	v_cmp_lt_i32_e64 s10, v0, v7
	s_or_b32 s9, s9, s11
	s_and_b32 s9, s10, s9
	s_xor_b32 s10, s9, -1
	s_and_saveexec_b32 s11, s10
	s_xor_b32 s10, exec_lo, s11
; %bb.163:
	v_add_nc_u32_e32 v13, v2, v1
	ds_read_u8 v13, v13 offset:1
; %bb.164:
	s_or_saveexec_b32 s10, s10
	v_mov_b32_e32 v14, v12
	s_xor_b32 exec_lo, exec_lo, s10
	s_cbranch_execz .LBB82_166
; %bb.165:
	s_waitcnt lgkmcnt(0)
	v_add_nc_u32_e32 v13, v2, v0
	ds_read_u8 v14, v13 offset:1
	v_mov_b32_e32 v13, v11
.LBB82_166:
	s_or_b32 exec_lo, exec_lo, s10
	v_add_nc_u32_e32 v15, 1, v1
	v_add_nc_u32_e32 v16, 1, v0
	s_waitcnt lgkmcnt(0)
	v_cmp_lt_i16_sdwa s12, sext(v14), sext(v13) src0_sel:BYTE_0 src1_sel:BYTE_0
	v_cndmask_b32_e64 v1, v15, v1, s9
	v_cndmask_b32_e64 v0, v0, v16, s9
                                        ; implicit-def: $vgpr15
	v_cmp_ge_i32_e64 s10, v1, v3
	v_cmp_lt_i32_e64 s11, v0, v7
	s_or_b32 s10, s10, s12
	s_and_b32 s10, s11, s10
	s_xor_b32 s11, s10, -1
	s_and_saveexec_b32 s12, s11
	s_xor_b32 s11, exec_lo, s12
; %bb.167:
	v_add_nc_u32_e32 v15, v2, v1
	ds_read_u8 v15, v15 offset:1
; %bb.168:
	s_or_saveexec_b32 s11, s11
	v_mov_b32_e32 v16, v14
	s_xor_b32 exec_lo, exec_lo, s11
	s_cbranch_execz .LBB82_170
; %bb.169:
	s_waitcnt lgkmcnt(0)
	v_add_nc_u32_e32 v15, v2, v0
	ds_read_u8 v16, v15 offset:1
	v_mov_b32_e32 v15, v13
.LBB82_170:
	s_or_b32 exec_lo, exec_lo, s11
	v_add_nc_u32_e32 v17, 1, v1
	v_add_nc_u32_e32 v18, 1, v0
	s_waitcnt lgkmcnt(0)
	v_cmp_lt_i16_sdwa s13, sext(v16), sext(v15) src0_sel:BYTE_0 src1_sel:BYTE_0
	v_cndmask_b32_e64 v1, v17, v1, s10
	v_cndmask_b32_e64 v0, v0, v18, s10
                                        ; implicit-def: $vgpr17
	v_cmp_ge_i32_e64 s11, v1, v3
	v_cmp_lt_i32_e64 s12, v0, v7
	s_or_b32 s11, s11, s13
	s_and_b32 s11, s12, s11
	s_xor_b32 s12, s11, -1
	s_and_saveexec_b32 s13, s12
	s_xor_b32 s12, exec_lo, s13
; %bb.171:
	v_add_nc_u32_e32 v17, v2, v1
	ds_read_u8 v17, v17 offset:1
; %bb.172:
	s_or_saveexec_b32 s12, s12
	v_mov_b32_e32 v18, v16
	s_xor_b32 exec_lo, exec_lo, s12
	s_cbranch_execz .LBB82_174
; %bb.173:
	s_waitcnt lgkmcnt(0)
	v_add_nc_u32_e32 v17, v2, v0
	ds_read_u8 v18, v17 offset:1
	v_mov_b32_e32 v17, v15
.LBB82_174:
	s_or_b32 exec_lo, exec_lo, s12
	v_add_nc_u32_e32 v19, 1, v1
	v_add_nc_u32_e32 v20, 1, v0
	s_waitcnt lgkmcnt(0)
	v_cmp_lt_i16_sdwa s14, sext(v18), sext(v17) src0_sel:BYTE_0 src1_sel:BYTE_0
	v_cndmask_b32_e64 v21, v19, v1, s11
	v_cndmask_b32_e64 v1, v0, v20, s11
                                        ; implicit-def: $vgpr19
	v_cmp_ge_i32_e64 s12, v21, v3
	v_cmp_lt_i32_e64 s13, v1, v7
	s_or_b32 s12, s12, s14
	s_and_b32 s12, s13, s12
	s_xor_b32 s13, s12, -1
	s_and_saveexec_b32 s14, s13
	s_xor_b32 s13, exec_lo, s14
; %bb.175:
	v_add_nc_u32_e32 v0, v2, v21
	ds_read_u8 v19, v0 offset:1
; %bb.176:
	s_or_saveexec_b32 s13, s13
	v_mov_b32_e32 v20, v18
	s_xor_b32 exec_lo, exec_lo, s13
	s_cbranch_execz .LBB82_178
; %bb.177:
	v_add_nc_u32_e32 v0, v2, v1
	s_waitcnt lgkmcnt(0)
	v_mov_b32_e32 v19, v17
	ds_read_u8 v20, v0 offset:1
.LBB82_178:
	s_or_b32 exec_lo, exec_lo, s13
	v_add_nc_u32_e32 v0, 1, v21
	v_add_nc_u32_e32 v22, 1, v1
	s_waitcnt lgkmcnt(0)
	v_cmp_lt_i16_sdwa s15, sext(v20), sext(v19) src0_sel:BYTE_0 src1_sel:BYTE_0
                                        ; implicit-def: $vgpr23
	v_cndmask_b32_e64 v0, v0, v21, s12
	v_cndmask_b32_e64 v21, v1, v22, s12
                                        ; implicit-def: $vgpr22
	v_cmp_ge_i32_e64 s13, v0, v3
	v_cmp_lt_i32_e64 s14, v21, v7
	s_or_b32 s13, s13, s15
	s_and_b32 s13, s14, s13
	s_xor_b32 s14, s13, -1
	s_and_saveexec_b32 s15, s14
	s_xor_b32 s14, exec_lo, s15
; %bb.179:
	v_add_nc_u32_e32 v1, v2, v0
	v_add_nc_u32_e32 v23, 1, v0
                                        ; implicit-def: $vgpr2
                                        ; implicit-def: $vgpr0
	ds_read_u8 v22, v1 offset:1
; %bb.180:
	s_or_saveexec_b32 s14, s14
	v_mov_b32_e32 v24, v20
	s_xor_b32 exec_lo, exec_lo, s14
	s_cbranch_execz .LBB82_182
; %bb.181:
	v_add_nc_u32_e32 v1, v2, v21
	v_add_nc_u32_e32 v21, 1, v21
	v_mov_b32_e32 v23, v0
	s_waitcnt lgkmcnt(0)
	v_mov_b32_e32 v22, v19
	ds_read_u8 v24, v1 offset:1
.LBB82_182:
	s_or_b32 exec_lo, exec_lo, s14
	v_add_co_u32 v0, s14, s18, v4
	v_add_co_ci_u32_e64 v1, null, s19, 0, s14
	v_add_co_u32 v0, s14, v0, v5
	v_add_co_ci_u32_e64 v1, null, 0, v1, s14
	s_and_saveexec_b32 s14, s0
	s_cbranch_execnz .LBB82_191
; %bb.183:
	s_or_b32 exec_lo, exec_lo, s14
	s_and_saveexec_b32 s0, s1
	s_cbranch_execnz .LBB82_192
.LBB82_184:
	s_or_b32 exec_lo, exec_lo, s0
	s_and_saveexec_b32 s0, s2
	s_cbranch_execnz .LBB82_193
.LBB82_185:
	s_or_b32 exec_lo, exec_lo, s0
	s_and_saveexec_b32 s0, s3
	s_cbranch_execnz .LBB82_194
.LBB82_186:
	s_or_b32 exec_lo, exec_lo, s0
	s_and_saveexec_b32 s0, s4
	s_cbranch_execnz .LBB82_195
.LBB82_187:
	s_or_b32 exec_lo, exec_lo, s0
	s_and_saveexec_b32 s0, s5
	s_cbranch_execnz .LBB82_196
.LBB82_188:
	s_or_b32 exec_lo, exec_lo, s0
	s_and_saveexec_b32 s0, s6
	s_cbranch_execnz .LBB82_197
.LBB82_189:
	s_or_b32 exec_lo, exec_lo, s0
	s_and_saveexec_b32 s0, s7
	s_cbranch_execnz .LBB82_198
.LBB82_190:
	s_endpgm
.LBB82_191:
	v_cndmask_b32_e32 v2, v6, v8, vcc_lo
	global_store_byte v[0:1], v2, off
	s_or_b32 exec_lo, exec_lo, s14
	s_and_saveexec_b32 s0, s1
	s_cbranch_execz .LBB82_184
.LBB82_192:
	v_cndmask_b32_e64 v2, v9, v10, s8
	global_store_byte v[0:1], v2, off offset:1
	s_or_b32 exec_lo, exec_lo, s0
	s_and_saveexec_b32 s0, s2
	s_cbranch_execz .LBB82_185
.LBB82_193:
	v_cndmask_b32_e64 v2, v11, v12, s9
	global_store_byte v[0:1], v2, off offset:2
	s_or_b32 exec_lo, exec_lo, s0
	s_and_saveexec_b32 s0, s3
	s_cbranch_execz .LBB82_186
.LBB82_194:
	v_cndmask_b32_e64 v2, v13, v14, s10
	global_store_byte v[0:1], v2, off offset:3
	s_or_b32 exec_lo, exec_lo, s0
	s_and_saveexec_b32 s0, s4
	s_cbranch_execz .LBB82_187
.LBB82_195:
	v_cndmask_b32_e64 v2, v15, v16, s11
	global_store_byte v[0:1], v2, off offset:4
	s_or_b32 exec_lo, exec_lo, s0
	s_and_saveexec_b32 s0, s5
	s_cbranch_execz .LBB82_188
.LBB82_196:
	v_cndmask_b32_e64 v2, v17, v18, s12
	global_store_byte v[0:1], v2, off offset:5
	s_or_b32 exec_lo, exec_lo, s0
	s_and_saveexec_b32 s0, s6
	s_cbranch_execz .LBB82_189
.LBB82_197:
	v_cndmask_b32_e64 v2, v19, v20, s13
	global_store_byte v[0:1], v2, off offset:6
	s_or_b32 exec_lo, exec_lo, s0
	s_and_saveexec_b32 s0, s7
	s_cbranch_execz .LBB82_190
.LBB82_198:
	v_cmp_ge_i32_e32 vcc_lo, v23, v3
	s_waitcnt lgkmcnt(0)
	v_cmp_lt_i16_sdwa s1, sext(v24), sext(v22) src0_sel:BYTE_0 src1_sel:BYTE_0
	v_cmp_lt_i32_e64 s0, v21, v7
	s_or_b32 s1, vcc_lo, s1
	s_and_b32 vcc_lo, s0, s1
	v_cndmask_b32_e32 v2, v22, v24, vcc_lo
	global_store_byte v[0:1], v2, off offset:7
	s_endpgm
	.section	.rodata,"a",@progbits
	.p2align	6, 0x0
	.amdhsa_kernel _Z19sort_keys_segmentedILj256ELj32ELj8EaN10test_utils4lessEEvPKT2_PS2_PKjT3_
		.amdhsa_group_segment_fixed_size 2056
		.amdhsa_private_segment_fixed_size 0
		.amdhsa_kernarg_size 28
		.amdhsa_user_sgpr_count 6
		.amdhsa_user_sgpr_private_segment_buffer 1
		.amdhsa_user_sgpr_dispatch_ptr 0
		.amdhsa_user_sgpr_queue_ptr 0
		.amdhsa_user_sgpr_kernarg_segment_ptr 1
		.amdhsa_user_sgpr_dispatch_id 0
		.amdhsa_user_sgpr_flat_scratch_init 0
		.amdhsa_user_sgpr_private_segment_size 0
		.amdhsa_wavefront_size32 1
		.amdhsa_uses_dynamic_stack 0
		.amdhsa_system_sgpr_private_segment_wavefront_offset 0
		.amdhsa_system_sgpr_workgroup_id_x 1
		.amdhsa_system_sgpr_workgroup_id_y 0
		.amdhsa_system_sgpr_workgroup_id_z 0
		.amdhsa_system_sgpr_workgroup_info 0
		.amdhsa_system_vgpr_workitem_id 0
		.amdhsa_next_free_vgpr 28
		.amdhsa_next_free_sgpr 20
		.amdhsa_reserve_vcc 1
		.amdhsa_reserve_flat_scratch 0
		.amdhsa_float_round_mode_32 0
		.amdhsa_float_round_mode_16_64 0
		.amdhsa_float_denorm_mode_32 3
		.amdhsa_float_denorm_mode_16_64 3
		.amdhsa_dx10_clamp 1
		.amdhsa_ieee_mode 1
		.amdhsa_fp16_overflow 0
		.amdhsa_workgroup_processor_mode 1
		.amdhsa_memory_ordered 1
		.amdhsa_forward_progress 1
		.amdhsa_shared_vgpr_count 0
		.amdhsa_exception_fp_ieee_invalid_op 0
		.amdhsa_exception_fp_denorm_src 0
		.amdhsa_exception_fp_ieee_div_zero 0
		.amdhsa_exception_fp_ieee_overflow 0
		.amdhsa_exception_fp_ieee_underflow 0
		.amdhsa_exception_fp_ieee_inexact 0
		.amdhsa_exception_int_div_zero 0
	.end_amdhsa_kernel
	.section	.text._Z19sort_keys_segmentedILj256ELj32ELj8EaN10test_utils4lessEEvPKT2_PS2_PKjT3_,"axG",@progbits,_Z19sort_keys_segmentedILj256ELj32ELj8EaN10test_utils4lessEEvPKT2_PS2_PKjT3_,comdat
.Lfunc_end82:
	.size	_Z19sort_keys_segmentedILj256ELj32ELj8EaN10test_utils4lessEEvPKT2_PS2_PKjT3_, .Lfunc_end82-_Z19sort_keys_segmentedILj256ELj32ELj8EaN10test_utils4lessEEvPKT2_PS2_PKjT3_
                                        ; -- End function
	.set _Z19sort_keys_segmentedILj256ELj32ELj8EaN10test_utils4lessEEvPKT2_PS2_PKjT3_.num_vgpr, 28
	.set _Z19sort_keys_segmentedILj256ELj32ELj8EaN10test_utils4lessEEvPKT2_PS2_PKjT3_.num_agpr, 0
	.set _Z19sort_keys_segmentedILj256ELj32ELj8EaN10test_utils4lessEEvPKT2_PS2_PKjT3_.numbered_sgpr, 20
	.set _Z19sort_keys_segmentedILj256ELj32ELj8EaN10test_utils4lessEEvPKT2_PS2_PKjT3_.num_named_barrier, 0
	.set _Z19sort_keys_segmentedILj256ELj32ELj8EaN10test_utils4lessEEvPKT2_PS2_PKjT3_.private_seg_size, 0
	.set _Z19sort_keys_segmentedILj256ELj32ELj8EaN10test_utils4lessEEvPKT2_PS2_PKjT3_.uses_vcc, 1
	.set _Z19sort_keys_segmentedILj256ELj32ELj8EaN10test_utils4lessEEvPKT2_PS2_PKjT3_.uses_flat_scratch, 0
	.set _Z19sort_keys_segmentedILj256ELj32ELj8EaN10test_utils4lessEEvPKT2_PS2_PKjT3_.has_dyn_sized_stack, 0
	.set _Z19sort_keys_segmentedILj256ELj32ELj8EaN10test_utils4lessEEvPKT2_PS2_PKjT3_.has_recursion, 0
	.set _Z19sort_keys_segmentedILj256ELj32ELj8EaN10test_utils4lessEEvPKT2_PS2_PKjT3_.has_indirect_call, 0
	.section	.AMDGPU.csdata,"",@progbits
; Kernel info:
; codeLenInByte = 9216
; TotalNumSgprs: 22
; NumVgprs: 28
; ScratchSize: 0
; MemoryBound: 0
; FloatMode: 240
; IeeeMode: 1
; LDSByteSize: 2056 bytes/workgroup (compile time only)
; SGPRBlocks: 0
; VGPRBlocks: 3
; NumSGPRsForWavesPerEU: 22
; NumVGPRsForWavesPerEU: 28
; Occupancy: 16
; WaveLimiterHint : 0
; COMPUTE_PGM_RSRC2:SCRATCH_EN: 0
; COMPUTE_PGM_RSRC2:USER_SGPR: 6
; COMPUTE_PGM_RSRC2:TRAP_HANDLER: 0
; COMPUTE_PGM_RSRC2:TGID_X_EN: 1
; COMPUTE_PGM_RSRC2:TGID_Y_EN: 0
; COMPUTE_PGM_RSRC2:TGID_Z_EN: 0
; COMPUTE_PGM_RSRC2:TIDIG_COMP_CNT: 0
	.section	.text._Z20sort_pairs_segmentedILj256ELj32ELj8EaN10test_utils4lessEEvPKT2_PS2_PKjT3_,"axG",@progbits,_Z20sort_pairs_segmentedILj256ELj32ELj8EaN10test_utils4lessEEvPKT2_PS2_PKjT3_,comdat
	.protected	_Z20sort_pairs_segmentedILj256ELj32ELj8EaN10test_utils4lessEEvPKT2_PS2_PKjT3_ ; -- Begin function _Z20sort_pairs_segmentedILj256ELj32ELj8EaN10test_utils4lessEEvPKT2_PS2_PKjT3_
	.globl	_Z20sort_pairs_segmentedILj256ELj32ELj8EaN10test_utils4lessEEvPKT2_PS2_PKjT3_
	.p2align	8
	.type	_Z20sort_pairs_segmentedILj256ELj32ELj8EaN10test_utils4lessEEvPKT2_PS2_PKjT3_,@function
_Z20sort_pairs_segmentedILj256ELj32ELj8EaN10test_utils4lessEEvPKT2_PS2_PKjT3_: ; @_Z20sort_pairs_segmentedILj256ELj32ELj8EaN10test_utils4lessEEvPKT2_PS2_PKjT3_
; %bb.0:
	s_clause 0x1
	s_load_dwordx2 s[0:1], s[4:5], 0x10
	s_load_dwordx4 s[16:19], s[4:5], 0x0
	v_lshrrev_b32_e32 v11, 5, v0
	v_mov_b32_e32 v1, 0
	v_mov_b32_e32 v6, 0
	;; [unrolled: 1-line block ×4, first 2 shown]
	v_lshl_or_b32 v0, s6, 3, v11
	v_mov_b32_e32 v12, 0
	v_mov_b32_e32 v5, 0
	v_lshlrev_b64 v[2:3], 2, v[0:1]
	v_lshlrev_b32_e32 v9, 8, v0
	s_waitcnt lgkmcnt(0)
	v_add_co_u32 v2, vcc_lo, s0, v2
	v_add_co_ci_u32_e64 v3, null, s1, v3, vcc_lo
	v_add_co_u32 v0, s0, s16, v9
	global_load_dword v10, v[2:3], off
	v_mbcnt_lo_u32_b32 v2, -1, 0
	v_add_co_ci_u32_e64 v3, null, s17, 0, s0
	v_lshlrev_b32_e32 v8, 3, v2
	v_add_co_u32 v2, vcc_lo, v0, v8
	v_add_co_ci_u32_e64 v3, null, 0, v3, vcc_lo
	v_mov_b32_e32 v0, 0
	s_waitcnt vmcnt(0)
	v_cmp_lt_u32_e64 s0, v8, v10
	s_and_saveexec_b32 s1, s0
	s_cbranch_execz .LBB83_2
; %bb.1:
	global_load_ubyte v6, v[2:3], off
	v_mov_b32_e32 v4, 0
	v_mov_b32_e32 v14, 0
	;; [unrolled: 1-line block ×5, first 2 shown]
.LBB83_2:
	s_or_b32 exec_lo, exec_lo, s1
	v_or_b32_e32 v7, 1, v8
	v_mov_b32_e32 v16, v1
	v_cmp_lt_u32_e64 s1, v7, v10
	s_and_saveexec_b32 s2, s1
	s_cbranch_execz .LBB83_4
; %bb.3:
	global_load_ubyte v16, v[2:3], off offset:1
.LBB83_4:
	s_or_b32 exec_lo, exec_lo, s2
	v_or_b32_e32 v13, 2, v8
	v_cmp_lt_u32_e64 s2, v13, v10
	s_and_saveexec_b32 s3, s2
	s_cbranch_execz .LBB83_6
; %bb.5:
	global_load_ubyte v1, v[2:3], off offset:2
.LBB83_6:
	s_or_b32 exec_lo, exec_lo, s3
	v_or_b32_e32 v15, 3, v8
	;; [unrolled: 8-line block ×6, first 2 shown]
	v_cmp_lt_u32_e64 s7, v20, v10
	s_and_saveexec_b32 s8, s7
	s_cbranch_execz .LBB83_16
; %bb.15:
	global_load_ubyte v0, v[2:3], off offset:7
.LBB83_16:
	s_or_b32 exec_lo, exec_lo, s8
	s_waitcnt vmcnt(0)
	v_add_nc_u16 v2, v6, 1
	v_mov_b32_e32 v3, 0xffff
	v_perm_b32 v21, v14, v12, 0xc0c0004
	v_add_nc_u16 v14, v14, 1
	v_perm_b32 v22, v5, v0, 0xc0c0004
	v_perm_b32 v23, v1, v4, 0xc0c0004
	v_and_b32_sdwa v2, v3, v2 dst_sel:DWORD dst_unused:UNUSED_PAD src0_sel:DWORD src1_sel:BYTE_0
	v_perm_b32 v3, v6, v16, 0xc0c0004
	v_perm_b32 v14, v14, 0, 0x3020104
	v_lshlrev_b16 v16, 8, v16
	v_lshlrev_b16 v12, 8, v12
	v_cndmask_b32_e64 v24, 0, v2, s0
	v_mov_b32_e32 v2, 0x7f00
	v_cndmask_b32_e64 v14, 0, v14, s4
	v_lshl_or_b32 v22, v22, 16, v21
	v_and_b32_e32 v21, 0xffffff00, v21
	v_or_b32_e32 v16, v16, v24
	v_lshlrev_b32_e32 v23, 16, v23
	v_or_b32_sdwa v6, v6, v2 dst_sel:DWORD dst_unused:UNUSED_PAD src0_sel:BYTE_0 src1_sel:DWORD
	v_or_b32_sdwa v12, v12, v14 dst_sel:DWORD dst_unused:UNUSED_PAD src0_sel:DWORD src1_sel:BYTE_0
	v_or_b32_e32 v21, 0x7f, v21
	v_add_nc_u16 v16, 0x100, v16
	v_or_b32_e32 v3, v3, v23
	v_or_b32_sdwa v6, v6, v23 dst_sel:DWORD dst_unused:UNUSED_PAD src0_sel:WORD_0 src1_sel:DWORD
	v_add_nc_u16 v12, 0x100, v12
	v_cmp_lt_i32_e32 vcc_lo, v7, v10
	v_mov_b32_e32 v25, 0xffffff00
	v_and_b32_e32 v16, 0xffff, v16
	v_and_b32_e32 v21, 0xffff, v21
	v_and_b32_e32 v7, 0xffff, v12
	v_cndmask_b32_e32 v6, v6, v3, vcc_lo
	v_add_nc_u16 v1, v1, 1
	v_cndmask_b32_e64 v16, v24, v16, s1
	v_mov_b32_e32 v12, 0x7f
	v_and_or_b32 v21, 0xffff0000, v22, v21
	v_and_b32_sdwa v23, v6, v25 dst_sel:DWORD dst_unused:UNUSED_PAD src0_sel:WORD_1 src1_sel:DWORD
	v_and_or_b32 v7, 0xffff0000, v14, v7
	v_cmp_lt_i32_e32 vcc_lo, v17, v10
	v_perm_b32 v1, v1, v16, 0xc0c0304
	v_add_nc_u16 v5, v5, 1
	v_cmp_lt_i32_e64 s8, v13, v10
	v_cndmask_b32_e64 v7, v14, v7, s5
	v_cndmask_b32_e32 v17, v21, v22, vcc_lo
	v_or_b32_sdwa v14, v23, v12 dst_sel:WORD_1 dst_unused:UNUSED_PAD src0_sel:DWORD src1_sel:DWORD
	v_lshl_or_b32 v1, v1, 16, v16
	v_lshlrev_b16 v4, 8, v4
	v_perm_b32 v5, v7, v5, 0x7000504
	v_or_b32_sdwa v21, v17, v2 dst_sel:DWORD dst_unused:UNUSED_PAD src0_sel:BYTE_0 src1_sel:DWORD
	v_and_or_b32 v6, 0xffff, v6, v14
	v_cndmask_b32_e64 v1, v16, v1, s2
	v_mov_b32_e32 v16, 0xff
	v_cndmask_b32_e64 v7, v7, v5, s6
	v_and_b32_e32 v14, 0xffff, v21
	v_cndmask_b32_e64 v5, v6, v3, s8
	v_cmp_lt_i32_e64 s8, v18, v10
	v_and_b32_sdwa v21, v1, v16 dst_sel:DWORD dst_unused:UNUSED_PAD src0_sel:WORD_1 src1_sel:DWORD
	v_and_b32_sdwa v13, v7, v16 dst_sel:DWORD dst_unused:UNUSED_PAD src0_sel:WORD_1 src1_sel:DWORD
	v_and_or_b32 v6, 0xffff0000, v17, v14
	v_and_b32_sdwa v14, v5, v16 dst_sel:DWORD dst_unused:UNUSED_PAD src0_sel:WORD_1 src1_sel:DWORD
	v_lshlrev_b16 v0, 8, v0
	v_or_b32_e32 v4, v4, v21
	v_cmp_lt_i32_e64 s9, v15, v10
	v_cndmask_b32_e64 v6, v6, v22, s8
	v_or_b32_sdwa v14, v14, v2 dst_sel:WORD_1 dst_unused:UNUSED_PAD src0_sel:DWORD src1_sel:DWORD
	v_or_b32_e32 v0, v0, v13
	v_add_nc_u16 v4, 0x100, v4
	v_and_b32_sdwa v13, v6, v25 dst_sel:DWORD dst_unused:UNUSED_PAD src0_sel:WORD_1 src1_sel:DWORD
	v_and_or_b32 v5, 0xffff, v5, v14
	v_add_nc_u16 v0, 0x100, v0
	v_lshlrev_b32_e32 v4, 16, v4
	v_or_b32_sdwa v12, v13, v12 dst_sel:WORD_1 dst_unused:UNUSED_PAD src0_sel:DWORD src1_sel:DWORD
	v_cndmask_b32_e64 v5, v5, v3, s9
	v_cmp_lt_i32_e64 s9, v19, v10
	v_lshlrev_b32_e32 v0, 16, v0
	v_and_or_b32 v4, 0xffff, v1, v4
	v_and_or_b32 v6, 0xffff, v6, v12
	v_cndmask_b32_e32 v12, v5, v3, vcc_lo
	s_or_b32 vcc_lo, s9, s8
	v_and_or_b32 v13, 0xffff, v7, v0
	v_cndmask_b32_e64 v0, v1, v4, s3
	v_cndmask_b32_e64 v5, v6, v22, s9
	v_cndmask_b32_e32 v4, v12, v3, vcc_lo
	v_cmp_lt_i32_e64 s8, v20, v10
	v_cndmask_b32_e64 v1, v7, v13, s7
	s_mov_b32 s9, exec_lo
	v_lshrrev_b32_e32 v14, 24, v5
	v_lshrrev_b64 v[6:7], 24, v[4:5]
	v_lshrrev_b32_e32 v12, 16, v5
	v_lshrrev_b32_e32 v13, 8, v5
	;; [unrolled: 1-line block ×4, first 2 shown]
                                        ; implicit-def: $vgpr3
	v_cmpx_ge_i32_e64 v20, v10
	s_cbranch_execz .LBB83_18
; %bb.17:
	v_lshrrev_b32_e32 v13, 8, v5
	v_lshrrev_b32_e32 v12, 16, v5
	;; [unrolled: 1-line block ×3, first 2 shown]
	v_cmp_lt_i32_e32 vcc_lo, v8, v10
	v_lshrrev_b32_e32 v7, 8, v4
	v_lshlrev_b16 v3, 8, v13
	v_or_b32_sdwa v14, v12, v2 dst_sel:WORD_1 dst_unused:UNUSED_PAD src0_sel:BYTE_0 src1_sel:DWORD
	v_perm_b32 v2, v4, v15, 0x7000504
	s_andn2_b32 s8, s8, exec_lo
	s_and_b32 s10, vcc_lo, exec_lo
	v_or_b32_sdwa v3, v5, v3 dst_sel:DWORD dst_unused:UNUSED_PAD src0_sel:BYTE_0 src1_sel:DWORD
	s_or_b32 s8, s8, s10
	v_or_b32_sdwa v3, v3, v14 dst_sel:DWORD dst_unused:UNUSED_PAD src0_sel:WORD_0 src1_sel:DWORD
	v_mov_b32_e32 v14, 0x7f
.LBB83_18:
	s_or_b32 exec_lo, exec_lo, s9
	s_and_saveexec_b32 s9, s8
	s_cbranch_execz .LBB83_22
; %bb.19:
	v_perm_b32 v2, v15, v6, 0xc0c0004
	v_perm_b32 v3, 0, v0, 0xc0c0001
	;; [unrolled: 1-line block ×4, first 2 shown]
	v_cmp_lt_i16_sdwa vcc_lo, sext(v7), sext(v4) src0_sel:BYTE_0 src1_sel:BYTE_0
	v_lshlrev_b32_e32 v2, 16, v2
	v_and_or_b32 v3, 0xffff0000, v0, v3
	v_perm_b32 v4, v12, v14, 0xc0c0004
	v_perm_b32 v7, v1, v1, 0x7060405
	v_or_b32_e32 v6, v6, v2
	v_or_b32_e32 v2, v15, v2
	v_cndmask_b32_e32 v0, v0, v3, vcc_lo
	v_perm_b32 v3, v5, v13, 0xc0c0004
	v_cndmask_b32_e32 v2, v2, v6, vcc_lo
	v_lshrrev_b32_e32 v5, 16, v0
	v_lshl_or_b32 v3, v4, 16, v3
	v_lshrrev_b32_e32 v6, 16, v2
	v_perm_b32 v4, 0, v5, 0xc0c0001
	v_lshrrev_b32_e32 v12, 8, v3
	v_lshrrev_b32_e32 v13, 24, v2
	v_perm_b32 v14, v3, v3, 0x7060405
	v_perm_b32 v5, 0, v6, 0xc0c0001
	v_lshlrev_b32_e32 v4, 16, v4
	v_cmp_lt_i16_sdwa vcc_lo, sext(v12), sext(v3) src0_sel:BYTE_0 src1_sel:BYTE_0
	v_cmp_lt_i16_sdwa s8, sext(v13), sext(v6) src0_sel:BYTE_0 src1_sel:BYTE_0
	v_lshlrev_b32_e32 v5, 16, v5
	v_and_or_b32 v4, 0xffff, v0, v4
	v_cndmask_b32_e32 v3, v3, v14, vcc_lo
	v_cndmask_b32_e32 v1, v1, v7, vcc_lo
	v_and_or_b32 v5, 0xffff, v2, v5
	v_cndmask_b32_e64 v0, v0, v4, s8
	v_lshrrev_b32_e32 v4, 24, v3
	v_perm_b32 v6, v1, v1, 0x6070504
	v_perm_b32 v13, v3, v3, 0x6070504
	v_cndmask_b32_e64 v2, v2, v5, s8
	v_lshrrev_b32_e32 v5, 16, v3
	v_lshrrev_b32_e32 v7, 16, v2
	v_lshrrev_b32_e32 v12, 8, v2
	v_cmp_lt_i16_sdwa vcc_lo, sext(v4), sext(v5) src0_sel:BYTE_0 src1_sel:BYTE_0
	v_perm_b32 v4, v0, v0, 0x7050604
	v_perm_b32 v5, v2, v2, 0x7050604
	v_cmp_lt_i16_sdwa s8, sext(v7), sext(v12) src0_sel:BYTE_0 src1_sel:BYTE_0
	v_mov_b32_e32 v7, 0xff
	v_cndmask_b32_e32 v1, v1, v6, vcc_lo
	v_cndmask_b32_e32 v3, v3, v13, vcc_lo
	v_cndmask_b32_e64 v0, v0, v4, s8
	v_cndmask_b32_e64 v2, v2, v5, s8
	v_lshlrev_b16 v4, 8, v1
	v_lshlrev_b16 v5, 8, v3
	v_and_b32_sdwa v6, v0, v7 dst_sel:DWORD dst_unused:UNUSED_PAD src0_sel:WORD_1 src1_sel:DWORD
	v_and_b32_sdwa v12, v2, v7 dst_sel:DWORD dst_unused:UNUSED_PAD src0_sel:WORD_1 src1_sel:DWORD
	v_or_b32_sdwa v4, v6, v4 dst_sel:WORD_1 dst_unused:UNUSED_PAD src0_sel:DWORD src1_sel:DWORD
	v_or_b32_sdwa v5, v12, v5 dst_sel:WORD_1 dst_unused:UNUSED_PAD src0_sel:DWORD src1_sel:DWORD
	v_lshrrev_b32_e32 v6, 24, v2
	v_and_or_b32 v4, 0xffff, v0, v4
	v_and_or_b32 v5, 0xffff, v2, v5
	v_cmp_lt_i16_sdwa vcc_lo, sext(v3), sext(v6) src0_sel:BYTE_0 src1_sel:BYTE_0
	v_cndmask_b32_e32 v5, v2, v5, vcc_lo
	v_cndmask_b32_e32 v4, v0, v4, vcc_lo
	v_perm_b32 v2, v2, v3, 0x3020107
	v_perm_b32 v0, v0, v1, 0x3020107
	;; [unrolled: 1-line block ×3, first 2 shown]
	v_lshrrev_b32_e32 v13, 8, v5
	v_perm_b32 v6, 0, v4, 0xc0c0001
	v_cndmask_b32_e32 v2, v3, v2, vcc_lo
	v_cndmask_b32_e32 v0, v1, v0, vcc_lo
	v_and_or_b32 v3, 0xffff0000, v5, v12
	v_cmp_lt_i16_sdwa vcc_lo, sext(v13), sext(v5) src0_sel:BYTE_0 src1_sel:BYTE_0
	v_and_or_b32 v1, 0xffff0000, v4, v6
	v_lshrrev_b32_e32 v6, 16, v2
	v_lshrrev_b32_e32 v12, 8, v2
	v_cndmask_b32_e32 v3, v5, v3, vcc_lo
	v_cndmask_b32_e32 v1, v4, v1, vcc_lo
	v_perm_b32 v4, v2, v2, 0x7050604
	v_perm_b32 v5, v0, v0, 0x7050604
	v_cmp_lt_i16_sdwa vcc_lo, sext(v6), sext(v12) src0_sel:BYTE_0 src1_sel:BYTE_0
	v_lshrrev_b32_e32 v12, 16, v3
	v_lshrrev_b32_e32 v6, 16, v1
	;; [unrolled: 1-line block ×3, first 2 shown]
	v_cndmask_b32_e32 v0, v0, v5, vcc_lo
	v_cndmask_b32_e32 v2, v2, v4, vcc_lo
	v_perm_b32 v5, 0, v12, 0xc0c0001
	v_perm_b32 v4, 0, v6, 0xc0c0001
	v_cmp_lt_i16_sdwa s8, sext(v14), sext(v12) src0_sel:BYTE_0 src1_sel:BYTE_0
	v_perm_b32 v6, v0, v0, 0x7060405
	v_lshrrev_b32_e32 v13, 8, v2
	v_lshlrev_b32_e32 v5, 16, v5
	v_lshlrev_b32_e32 v4, 16, v4
	v_perm_b32 v15, v2, v2, 0x7060405
	v_cmp_lt_i16_sdwa vcc_lo, sext(v13), sext(v2) src0_sel:BYTE_0 src1_sel:BYTE_0
	v_and_or_b32 v5, 0xffff, v3, v5
	v_and_or_b32 v4, 0xffff, v1, v4
	v_cndmask_b32_e32 v2, v2, v15, vcc_lo
	v_cndmask_b32_e64 v3, v3, v5, s8
	v_cndmask_b32_e32 v0, v0, v6, vcc_lo
	v_cndmask_b32_e64 v1, v1, v4, s8
	v_lshrrev_b32_e32 v4, 24, v2
	v_lshrrev_b32_e32 v5, 16, v2
	;; [unrolled: 1-line block ×4, first 2 shown]
	v_perm_b32 v6, v0, v0, 0x6070504
	v_perm_b32 v14, v2, v2, 0x6070504
	v_cmp_lt_i16_sdwa vcc_lo, sext(v4), sext(v5) src0_sel:BYTE_0 src1_sel:BYTE_0
	v_perm_b32 v4, v1, v1, 0x7050604
	v_perm_b32 v5, v3, v3, 0x7050604
	v_cmp_lt_i16_sdwa s8, sext(v12), sext(v13) src0_sel:BYTE_0 src1_sel:BYTE_0
	v_cndmask_b32_e32 v0, v0, v6, vcc_lo
	v_cndmask_b32_e32 v2, v2, v14, vcc_lo
	v_cndmask_b32_e64 v1, v1, v4, s8
	v_cndmask_b32_e64 v3, v3, v5, s8
	v_lshlrev_b16 v4, 8, v0
	v_lshlrev_b16 v5, 8, v2
	v_and_b32_sdwa v6, v1, v7 dst_sel:DWORD dst_unused:UNUSED_PAD src0_sel:WORD_1 src1_sel:DWORD
	v_and_b32_sdwa v12, v3, v7 dst_sel:DWORD dst_unused:UNUSED_PAD src0_sel:WORD_1 src1_sel:DWORD
	v_or_b32_sdwa v4, v6, v4 dst_sel:WORD_1 dst_unused:UNUSED_PAD src0_sel:DWORD src1_sel:DWORD
	v_or_b32_sdwa v5, v12, v5 dst_sel:WORD_1 dst_unused:UNUSED_PAD src0_sel:DWORD src1_sel:DWORD
	v_lshrrev_b32_e32 v6, 24, v3
	v_and_or_b32 v4, 0xffff, v1, v4
	v_and_or_b32 v5, 0xffff, v3, v5
	v_cmp_lt_i16_sdwa vcc_lo, sext(v2), sext(v6) src0_sel:BYTE_0 src1_sel:BYTE_0
	v_cndmask_b32_e32 v5, v3, v5, vcc_lo
	v_cndmask_b32_e32 v4, v1, v4, vcc_lo
	v_perm_b32 v3, v3, v2, 0x3020107
	v_perm_b32 v1, v1, v0, 0x3020107
	;; [unrolled: 1-line block ×3, first 2 shown]
	v_lshrrev_b32_e32 v13, 8, v5
	v_perm_b32 v6, 0, v4, 0xc0c0001
	v_cndmask_b32_e32 v2, v2, v3, vcc_lo
	v_cndmask_b32_e32 v0, v0, v1, vcc_lo
	v_and_or_b32 v3, 0xffff0000, v5, v12
	v_cmp_lt_i16_sdwa vcc_lo, sext(v13), sext(v5) src0_sel:BYTE_0 src1_sel:BYTE_0
	v_and_or_b32 v1, 0xffff0000, v4, v6
	v_lshrrev_b32_e32 v6, 16, v2
	v_lshrrev_b32_e32 v12, 8, v2
	v_cndmask_b32_e32 v3, v5, v3, vcc_lo
	v_cndmask_b32_e32 v1, v4, v1, vcc_lo
	v_perm_b32 v4, v2, v2, 0x7050604
	v_perm_b32 v5, v0, v0, 0x7050604
	v_cmp_lt_i16_sdwa vcc_lo, sext(v6), sext(v12) src0_sel:BYTE_0 src1_sel:BYTE_0
	v_lshrrev_b32_e32 v12, 16, v3
	v_lshrrev_b32_e32 v6, 16, v1
	;; [unrolled: 1-line block ×3, first 2 shown]
	v_cndmask_b32_e32 v0, v0, v5, vcc_lo
	v_cndmask_b32_e32 v2, v2, v4, vcc_lo
	v_perm_b32 v5, 0, v12, 0xc0c0001
	v_perm_b32 v4, 0, v6, 0xc0c0001
	v_cmp_lt_i16_sdwa s8, sext(v14), sext(v12) src0_sel:BYTE_0 src1_sel:BYTE_0
	v_perm_b32 v6, v0, v0, 0x7060405
	v_lshrrev_b32_e32 v13, 8, v2
	v_lshlrev_b32_e32 v5, 16, v5
	v_lshlrev_b32_e32 v4, 16, v4
	v_perm_b32 v15, v2, v2, 0x7060405
	v_cmp_lt_i16_sdwa vcc_lo, sext(v13), sext(v2) src0_sel:BYTE_0 src1_sel:BYTE_0
	v_and_or_b32 v5, 0xffff, v3, v5
	v_and_or_b32 v4, 0xffff, v1, v4
	v_cndmask_b32_e32 v2, v2, v15, vcc_lo
	v_cndmask_b32_e64 v3, v3, v5, s8
	v_cndmask_b32_e32 v0, v0, v6, vcc_lo
	v_cndmask_b32_e64 v1, v1, v4, s8
	v_lshrrev_b32_e32 v4, 24, v2
	v_lshrrev_b32_e32 v5, 16, v2
	;; [unrolled: 1-line block ×4, first 2 shown]
	v_perm_b32 v6, v0, v0, 0x6070504
	v_perm_b32 v14, v2, v2, 0x6070504
	v_cmp_lt_i16_sdwa vcc_lo, sext(v4), sext(v5) src0_sel:BYTE_0 src1_sel:BYTE_0
	v_perm_b32 v4, v1, v1, 0x7050604
	v_perm_b32 v5, v3, v3, 0x7050604
	v_cmp_lt_i16_sdwa s8, sext(v12), sext(v13) src0_sel:BYTE_0 src1_sel:BYTE_0
	v_cndmask_b32_e32 v0, v0, v6, vcc_lo
	v_cndmask_b32_e32 v2, v2, v14, vcc_lo
	v_cndmask_b32_e64 v1, v1, v4, s8
	v_cndmask_b32_e64 v3, v3, v5, s8
	v_lshlrev_b16 v4, 8, v0
	v_lshlrev_b16 v5, 8, v2
	v_and_b32_sdwa v6, v1, v7 dst_sel:DWORD dst_unused:UNUSED_PAD src0_sel:WORD_1 src1_sel:DWORD
	v_and_b32_sdwa v12, v3, v7 dst_sel:DWORD dst_unused:UNUSED_PAD src0_sel:WORD_1 src1_sel:DWORD
	v_or_b32_sdwa v4, v6, v4 dst_sel:WORD_1 dst_unused:UNUSED_PAD src0_sel:DWORD src1_sel:DWORD
	v_or_b32_sdwa v5, v12, v5 dst_sel:WORD_1 dst_unused:UNUSED_PAD src0_sel:DWORD src1_sel:DWORD
	v_lshrrev_b32_e32 v6, 24, v3
	v_and_or_b32 v4, 0xffff, v1, v4
	v_and_or_b32 v5, 0xffff, v3, v5
	v_cmp_lt_i16_sdwa vcc_lo, sext(v2), sext(v6) src0_sel:BYTE_0 src1_sel:BYTE_0
	v_cndmask_b32_e32 v5, v3, v5, vcc_lo
	v_cndmask_b32_e32 v4, v1, v4, vcc_lo
	v_perm_b32 v3, v3, v2, 0x3020107
	v_perm_b32 v1, v1, v0, 0x3020107
	;; [unrolled: 1-line block ×3, first 2 shown]
	v_lshrrev_b32_e32 v13, 8, v5
	v_perm_b32 v6, 0, v4, 0xc0c0001
	v_cndmask_b32_e32 v2, v2, v3, vcc_lo
	v_cndmask_b32_e32 v0, v0, v1, vcc_lo
	v_and_or_b32 v3, 0xffff0000, v5, v12
	v_cmp_lt_i16_sdwa vcc_lo, sext(v13), sext(v5) src0_sel:BYTE_0 src1_sel:BYTE_0
	v_and_or_b32 v1, 0xffff0000, v4, v6
	v_lshrrev_b32_e32 v6, 16, v2
	v_lshrrev_b32_e32 v12, 8, v2
	v_cndmask_b32_e32 v3, v5, v3, vcc_lo
	v_cndmask_b32_e32 v1, v4, v1, vcc_lo
	v_perm_b32 v4, v2, v2, 0x7050604
	v_perm_b32 v5, v0, v0, 0x7050604
	v_cmp_lt_i16_sdwa vcc_lo, sext(v6), sext(v12) src0_sel:BYTE_0 src1_sel:BYTE_0
	v_lshrrev_b32_e32 v12, 16, v3
	v_lshrrev_b32_e32 v6, 16, v1
	v_lshrrev_b32_e32 v14, 24, v3
	v_cndmask_b32_e32 v0, v0, v5, vcc_lo
	v_cndmask_b32_e32 v2, v2, v4, vcc_lo
	v_perm_b32 v5, 0, v12, 0xc0c0001
	v_perm_b32 v4, 0, v6, 0xc0c0001
	v_cmp_lt_i16_sdwa s8, sext(v14), sext(v12) src0_sel:BYTE_0 src1_sel:BYTE_0
	v_perm_b32 v6, v0, v0, 0x7060405
	v_lshrrev_b32_e32 v13, 8, v2
	v_lshlrev_b32_e32 v5, 16, v5
	v_lshlrev_b32_e32 v4, 16, v4
	v_perm_b32 v15, v2, v2, 0x7060405
	v_cmp_lt_i16_sdwa vcc_lo, sext(v13), sext(v2) src0_sel:BYTE_0 src1_sel:BYTE_0
	v_and_or_b32 v5, 0xffff, v3, v5
	v_and_or_b32 v4, 0xffff, v1, v4
	v_cndmask_b32_e32 v2, v2, v15, vcc_lo
	v_cndmask_b32_e64 v3, v3, v5, s8
	v_cndmask_b32_e32 v0, v0, v6, vcc_lo
	v_cndmask_b32_e64 v1, v1, v4, s8
	v_lshrrev_b32_e32 v5, 24, v2
	v_lshrrev_b32_e32 v6, 16, v2
	;; [unrolled: 1-line block ×4, first 2 shown]
	v_perm_b32 v4, v0, v0, 0x6070504
	v_perm_b32 v14, v1, v1, 0x7050604
	v_cmp_lt_i16_sdwa vcc_lo, sext(v5), sext(v6) src0_sel:BYTE_0 src1_sel:BYTE_0
	v_perm_b32 v5, v2, v2, 0x6070504
	v_cmp_lt_i16_sdwa s8, sext(v12), sext(v13) src0_sel:BYTE_0 src1_sel:BYTE_0
	v_cndmask_b32_e32 v0, v0, v4, vcc_lo
	v_perm_b32 v4, v3, v3, 0x7050604
	v_cndmask_b32_e64 v1, v1, v14, s8
	v_cndmask_b32_e32 v2, v2, v5, vcc_lo
	v_lshlrev_b16 v6, 8, v0
	v_cndmask_b32_e64 v13, v3, v4, s8
	v_and_b32_sdwa v12, v1, v7 dst_sel:DWORD dst_unused:UNUSED_PAD src0_sel:WORD_1 src1_sel:DWORD
	v_lshlrev_b16 v5, 8, v2
	v_lshrrev_b32_e32 v4, 24, v13
	v_or_b32_sdwa v3, v12, v6 dst_sel:WORD_1 dst_unused:UNUSED_PAD src0_sel:DWORD src1_sel:DWORD
	v_and_b32_sdwa v6, v13, v7 dst_sel:DWORD dst_unused:UNUSED_PAD src0_sel:WORD_1 src1_sel:DWORD
	v_perm_b32 v7, v13, v2, 0x3020107
	v_cmp_lt_i16_sdwa vcc_lo, sext(v2), sext(v4) src0_sel:BYTE_0 src1_sel:BYTE_0
	v_and_or_b32 v3, 0xffff, v1, v3
	v_or_b32_sdwa v5, v6, v5 dst_sel:WORD_1 dst_unused:UNUSED_PAD src0_sel:DWORD src1_sel:DWORD
	v_cndmask_b32_e32 v4, v1, v3, vcc_lo
	v_cndmask_b32_e32 v3, v2, v7, vcc_lo
	v_and_or_b32 v2, 0xffff, v13, v5
	v_perm_b32 v1, v1, v0, 0x3020107
	v_lshrrev_b32_e32 v6, 16, v3
	v_lshrrev_b32_e32 v7, 8, v3
	v_cndmask_b32_e32 v5, v13, v2, vcc_lo
	v_cndmask_b32_e32 v1, v0, v1, vcc_lo
	v_perm_b32 v0, v4, v4, 0x3020104
	v_cmp_lt_i16_sdwa s10, sext(v6), sext(v7) src0_sel:BYTE_0 src1_sel:BYTE_0
	v_perm_b32 v2, v5, v5, 0x3020104
	s_and_saveexec_b32 s8, s10
; %bb.20:
	v_perm_b32 v1, v1, v1, 0x7050604
	v_perm_b32 v3, v3, v3, 0x7050604
	;; [unrolled: 1-line block ×4, first 2 shown]
; %bb.21:
	s_or_b32 exec_lo, exec_lo, s8
.LBB83_22:
	s_or_b32 exec_lo, exec_lo, s9
	v_and_b32_e32 v4, 0xf0, v8
	v_and_b32_e32 v12, 8, v8
	v_mad_u32_u24 v15, 0x101, v11, v8
	s_mov_b32 s9, 0
	s_mov_b32 s8, exec_lo
	v_min_i32_e32 v7, v10, v4
	v_min_i32_e32 v12, v10, v12
	; wave barrier
	ds_write_b64 v15, v[2:3]
	v_add_nc_u32_e32 v4, 8, v7
	; wave barrier
	v_min_i32_e32 v6, v10, v4
	v_add_nc_u32_e32 v4, 8, v6
	v_sub_nc_u32_e32 v14, v6, v7
	v_min_i32_e32 v5, v10, v4
	v_min_i32_e32 v14, v12, v14
	v_sub_nc_u32_e32 v4, v5, v6
	v_sub_nc_u32_e32 v13, v12, v4
	v_cmp_ge_i32_e32 vcc_lo, v12, v4
	v_mul_u32_u24_e32 v4, 0x101, v11
	v_cndmask_b32_e32 v13, 0, v13, vcc_lo
	v_cmpx_lt_i32_e64 v13, v14
	s_cbranch_execz .LBB83_26
; %bb.23:
	v_add_nc_u32_e32 v2, v4, v7
	v_add3_u32 v3, v4, v6, v12
	.p2align	6
.LBB83_24:                              ; =>This Inner Loop Header: Depth=1
	v_sub_nc_u32_e32 v11, v14, v13
	v_lshrrev_b32_e32 v11, 1, v11
	v_add_nc_u32_e32 v11, v11, v13
	v_add_nc_u32_e32 v15, v2, v11
	v_xad_u32 v16, v11, -1, v3
	v_add_nc_u32_e32 v17, 1, v11
	ds_read_i8 v15, v15
	ds_read_i8 v16, v16
	s_waitcnt lgkmcnt(0)
	v_cmp_lt_i16_e32 vcc_lo, v16, v15
	v_cndmask_b32_e32 v14, v14, v11, vcc_lo
	v_cndmask_b32_e32 v13, v17, v13, vcc_lo
	v_cmp_ge_i32_e32 vcc_lo, v13, v14
	s_or_b32 s9, vcc_lo, s9
	s_andn2_b32 exec_lo, exec_lo, s9
	s_cbranch_execnz .LBB83_24
; %bb.25:
	s_or_b32 exec_lo, exec_lo, s9
.LBB83_26:
	s_or_b32 exec_lo, exec_lo, s8
	v_add_nc_u32_e32 v3, v6, v12
	v_add_nc_u32_e32 v2, v13, v7
                                        ; implicit-def: $vgpr12
	v_sub_nc_u32_e32 v3, v3, v13
	v_add_nc_u32_e32 v13, v4, v2
	v_cmp_le_i32_e32 vcc_lo, v6, v2
	v_add_nc_u32_e32 v14, v4, v3
	v_cmp_gt_i32_e64 s9, v5, v3
	ds_read_u8 v7, v13
	ds_read_u8 v11, v14
	s_waitcnt lgkmcnt(1)
	v_bfe_i32 v7, v7, 0, 8
	s_waitcnt lgkmcnt(0)
	v_bfe_i32 v11, v11, 0, 8
	v_cmp_lt_i16_e64 s8, v11, v7
	s_or_b32 s8, vcc_lo, s8
	s_and_b32 s8, s9, s8
	s_xor_b32 s9, s8, -1
	s_and_saveexec_b32 s10, s9
	s_xor_b32 s9, exec_lo, s10
; %bb.27:
	ds_read_u8 v12, v13 offset:1
                                        ; implicit-def: $vgpr14
; %bb.28:
	s_or_saveexec_b32 s9, s9
	v_mov_b32_e32 v13, v11
	s_xor_b32 exec_lo, exec_lo, s9
	s_cbranch_execz .LBB83_30
; %bb.29:
	ds_read_u8 v13, v14 offset:1
	s_waitcnt lgkmcnt(1)
	v_mov_b32_e32 v12, v7
.LBB83_30:
	s_or_b32 exec_lo, exec_lo, s9
	v_add_nc_u32_e32 v14, 1, v2
	v_add_nc_u32_e32 v15, 1, v3
	s_waitcnt lgkmcnt(0)
	v_cmp_lt_i16_sdwa s10, sext(v13), sext(v12) src0_sel:BYTE_0 src1_sel:BYTE_0
                                        ; implicit-def: $vgpr16
	v_cndmask_b32_e64 v14, v14, v2, s8
	v_cndmask_b32_e64 v15, v3, v15, s8
	v_cmp_ge_i32_e32 vcc_lo, v14, v6
	v_cmp_lt_i32_e64 s9, v15, v5
	s_or_b32 s10, vcc_lo, s10
	s_and_b32 s9, s9, s10
	s_xor_b32 s10, s9, -1
	s_and_saveexec_b32 s11, s10
	s_xor_b32 s10, exec_lo, s11
; %bb.31:
	v_add_nc_u32_e32 v16, v4, v14
	ds_read_u8 v16, v16 offset:1
; %bb.32:
	s_or_saveexec_b32 s10, s10
	v_mov_b32_e32 v17, v13
	s_xor_b32 exec_lo, exec_lo, s10
	s_cbranch_execz .LBB83_34
; %bb.33:
	s_waitcnt lgkmcnt(0)
	v_add_nc_u32_e32 v16, v4, v15
	ds_read_u8 v17, v16 offset:1
	v_mov_b32_e32 v16, v12
.LBB83_34:
	s_or_b32 exec_lo, exec_lo, s10
	v_add_nc_u32_e32 v18, 1, v14
	v_add_nc_u32_e32 v19, 1, v15
	s_waitcnt lgkmcnt(0)
	v_cmp_lt_i16_sdwa s11, sext(v17), sext(v16) src0_sel:BYTE_0 src1_sel:BYTE_0
                                        ; implicit-def: $vgpr20
	v_cndmask_b32_e64 v18, v18, v14, s9
	v_cndmask_b32_e64 v19, v15, v19, s9
	v_cmp_ge_i32_e32 vcc_lo, v18, v6
	v_cmp_lt_i32_e64 s10, v19, v5
	s_or_b32 s11, vcc_lo, s11
	s_and_b32 s10, s10, s11
	s_xor_b32 s11, s10, -1
	s_and_saveexec_b32 s12, s11
	s_xor_b32 s11, exec_lo, s12
; %bb.35:
	v_add_nc_u32_e32 v20, v4, v18
	ds_read_u8 v20, v20 offset:1
; %bb.36:
	s_or_saveexec_b32 s11, s11
	v_mov_b32_e32 v21, v17
	s_xor_b32 exec_lo, exec_lo, s11
	s_cbranch_execz .LBB83_38
; %bb.37:
	s_waitcnt lgkmcnt(0)
	v_add_nc_u32_e32 v20, v4, v19
	ds_read_u8 v21, v20 offset:1
	v_mov_b32_e32 v20, v16
.LBB83_38:
	s_or_b32 exec_lo, exec_lo, s11
	v_add_nc_u32_e32 v22, 1, v18
	v_add_nc_u32_e32 v23, 1, v19
	s_waitcnt lgkmcnt(0)
	v_cmp_lt_i16_sdwa s12, sext(v21), sext(v20) src0_sel:BYTE_0 src1_sel:BYTE_0
                                        ; implicit-def: $vgpr24
	v_cndmask_b32_e64 v22, v22, v18, s10
	v_cndmask_b32_e64 v23, v19, v23, s10
	v_cmp_ge_i32_e32 vcc_lo, v22, v6
	v_cmp_lt_i32_e64 s11, v23, v5
	s_or_b32 s12, vcc_lo, s12
	s_and_b32 s11, s11, s12
	s_xor_b32 s12, s11, -1
	s_and_saveexec_b32 s13, s12
	s_xor_b32 s12, exec_lo, s13
; %bb.39:
	v_add_nc_u32_e32 v24, v4, v22
	ds_read_u8 v24, v24 offset:1
; %bb.40:
	s_or_saveexec_b32 s12, s12
	v_mov_b32_e32 v25, v21
	s_xor_b32 exec_lo, exec_lo, s12
	s_cbranch_execz .LBB83_42
; %bb.41:
	s_waitcnt lgkmcnt(0)
	v_add_nc_u32_e32 v24, v4, v23
	ds_read_u8 v25, v24 offset:1
	v_mov_b32_e32 v24, v20
.LBB83_42:
	s_or_b32 exec_lo, exec_lo, s12
	v_add_nc_u32_e32 v26, 1, v22
	v_add_nc_u32_e32 v27, 1, v23
	s_waitcnt lgkmcnt(0)
	v_cmp_lt_i16_sdwa s13, sext(v25), sext(v24) src0_sel:BYTE_0 src1_sel:BYTE_0
                                        ; implicit-def: $vgpr28
	v_cndmask_b32_e64 v26, v26, v22, s11
	v_cndmask_b32_e64 v27, v23, v27, s11
	v_cmp_ge_i32_e32 vcc_lo, v26, v6
	v_cmp_lt_i32_e64 s12, v27, v5
	s_or_b32 s13, vcc_lo, s13
	s_and_b32 s12, s12, s13
	s_xor_b32 s13, s12, -1
	s_and_saveexec_b32 s14, s13
	s_xor_b32 s13, exec_lo, s14
; %bb.43:
	v_add_nc_u32_e32 v28, v4, v26
	ds_read_u8 v28, v28 offset:1
; %bb.44:
	s_or_saveexec_b32 s13, s13
	v_mov_b32_e32 v29, v25
	s_xor_b32 exec_lo, exec_lo, s13
	s_cbranch_execz .LBB83_46
; %bb.45:
	s_waitcnt lgkmcnt(0)
	v_add_nc_u32_e32 v28, v4, v27
	ds_read_u8 v29, v28 offset:1
	v_mov_b32_e32 v28, v24
.LBB83_46:
	s_or_b32 exec_lo, exec_lo, s13
	v_add_nc_u32_e32 v30, 1, v26
	v_add_nc_u32_e32 v32, 1, v27
	s_waitcnt lgkmcnt(0)
	v_cmp_lt_i16_sdwa s14, sext(v29), sext(v28) src0_sel:BYTE_0 src1_sel:BYTE_0
                                        ; implicit-def: $vgpr34
	v_cndmask_b32_e64 v31, v30, v26, s12
	v_cndmask_b32_e64 v32, v27, v32, s12
	v_cmp_ge_i32_e32 vcc_lo, v31, v6
	v_cmp_lt_i32_e64 s13, v32, v5
	s_or_b32 s14, vcc_lo, s14
	s_and_b32 vcc_lo, s13, s14
	s_xor_b32 s13, vcc_lo, -1
	s_and_saveexec_b32 s14, s13
	s_xor_b32 s13, exec_lo, s14
; %bb.47:
	v_add_nc_u32_e32 v30, v4, v31
	ds_read_u8 v34, v30 offset:1
; %bb.48:
	s_or_saveexec_b32 s13, s13
	v_mov_b32_e32 v35, v29
	s_xor_b32 exec_lo, exec_lo, s13
	s_cbranch_execz .LBB83_50
; %bb.49:
	v_add_nc_u32_e32 v30, v4, v32
	s_waitcnt lgkmcnt(0)
	v_mov_b32_e32 v34, v28
	ds_read_u8 v35, v30 offset:1
.LBB83_50:
	s_or_b32 exec_lo, exec_lo, s13
	v_add_nc_u32_e32 v30, 1, v31
	v_add_nc_u32_e32 v33, 1, v32
	s_waitcnt lgkmcnt(0)
	v_cmp_lt_i16_sdwa s15, sext(v35), sext(v34) src0_sel:BYTE_0 src1_sel:BYTE_0
	v_cndmask_b32_e32 v36, v30, v31, vcc_lo
	v_cndmask_b32_e32 v37, v32, v33, vcc_lo
                                        ; implicit-def: $vgpr30
	v_cmp_ge_i32_e64 s13, v36, v6
	v_cmp_lt_i32_e64 s14, v37, v5
	s_or_b32 s13, s13, s15
	s_and_b32 s13, s14, s13
	s_xor_b32 s14, s13, -1
	s_and_saveexec_b32 s15, s14
	s_xor_b32 s14, exec_lo, s15
; %bb.51:
	v_add_nc_u32_e32 v30, v4, v36
	ds_read_u8 v30, v30 offset:1
; %bb.52:
	s_or_saveexec_b32 s14, s14
	v_mov_b32_e32 v33, v35
	s_xor_b32 exec_lo, exec_lo, s14
	s_cbranch_execz .LBB83_54
; %bb.53:
	s_waitcnt lgkmcnt(0)
	v_add_nc_u32_e32 v30, v4, v37
	ds_read_u8 v33, v30 offset:1
	v_mov_b32_e32 v30, v34
.LBB83_54:
	s_or_b32 exec_lo, exec_lo, s14
	v_add_nc_u32_e32 v38, 1, v37
	v_add_nc_u32_e32 v39, 1, v36
	v_cndmask_b32_e64 v34, v34, v35, s13
	v_cndmask_b32_sdwa v28, v28, v29, vcc_lo dst_sel:BYTE_1 dst_unused:UNUSED_PAD src0_sel:DWORD src1_sel:DWORD
	v_cndmask_b32_e32 v29, v31, v32, vcc_lo
	v_cndmask_b32_e64 v35, v37, v38, s13
	v_cndmask_b32_e64 v38, v39, v36, s13
	;; [unrolled: 1-line block ×4, first 2 shown]
	v_add_nc_u32_e32 v2, v4, v8
	v_cmp_ge_i32_e32 vcc_lo, v38, v6
	v_cndmask_b32_e64 v6, v14, v15, s9
	v_cmp_lt_i32_e64 s9, v35, v5
	v_and_b32_e32 v5, 0xe0, v8
	; wave barrier
	ds_write_b64 v2, v[0:1]
	v_cndmask_b32_e64 v17, v16, v17, s10
	v_cndmask_b32_e64 v16, v18, v19, s10
	v_min_i32_e32 v15, v10, v5
	s_waitcnt lgkmcnt(1)
	v_cmp_lt_i16_sdwa s10, sext(v33), sext(v30) src0_sel:BYTE_0 src1_sel:BYTE_0
	v_add_nc_u32_e32 v1, v4, v3
	v_add_nc_u32_e32 v3, v4, v6
	v_cndmask_b32_e64 v20, v20, v21, s11
	v_add_nc_u32_e32 v0, 16, v15
	s_or_b32 s10, vcc_lo, s10
	v_cndmask_b32_e64 v21, v22, v23, s11
	s_and_b32 vcc_lo, s9, s10
	v_cndmask_b32_e64 v24, v24, v25, s12
	v_min_i32_e32 v6, v10, v0
	v_cndmask_b32_e64 v25, v26, v27, s12
	v_cndmask_b32_e64 v36, v36, v37, s13
	v_cndmask_b32_e32 v5, v38, v35, vcc_lo
	v_cndmask_b32_e64 v18, v7, v11, s8
	v_add_nc_u32_e32 v0, 16, v6
	v_add_nc_u32_e32 v7, v4, v16
	;; [unrolled: 1-line block ×4, first 2 shown]
	; wave barrier
	v_add_nc_u32_e32 v16, v4, v29
	v_add_nc_u32_e32 v21, v4, v36
	v_add_nc_u32_e32 v22, v4, v5
	v_lshlrev_b16 v23, 8, v12
	v_min_i32_e32 v14, v10, v0
	ds_read_u8 v0, v1
	ds_read_u8 v1, v3
	;; [unrolled: 1-line block ×8, first 2 shown]
	v_cndmask_b32_e32 v19, v30, v33, vcc_lo
	v_and_b32_e32 v25, 24, v8
	v_lshlrev_b16 v20, 8, v20
	v_sub_nc_u32_e32 v21, v14, v6
	v_or_b32_sdwa v18, v18, v23 dst_sel:DWORD dst_unused:UNUSED_PAD src0_sel:BYTE_0 src1_sel:DWORD
	v_lshlrev_b16 v19, 8, v19
	v_min_i32_e32 v16, v10, v25
	v_or_b32_sdwa v17, v17, v20 dst_sel:WORD_1 dst_unused:UNUSED_PAD src0_sel:BYTE_0 src1_sel:DWORD
	v_or_b32_sdwa v20, v24, v28 dst_sel:DWORD dst_unused:UNUSED_PAD src0_sel:BYTE_0 src1_sel:DWORD
	v_sub_nc_u32_e32 v23, v6, v15
	v_or_b32_sdwa v24, v34, v19 dst_sel:WORD_1 dst_unused:UNUSED_PAD src0_sel:BYTE_0 src1_sel:DWORD
	v_sub_nc_u32_e32 v22, v16, v21
	v_cmp_ge_i32_e32 vcc_lo, v16, v21
	v_or_b32_sdwa v19, v18, v17 dst_sel:DWORD dst_unused:UNUSED_PAD src0_sel:WORD_0 src1_sel:DWORD
	v_min_i32_e32 v18, v16, v23
	v_or_b32_sdwa v20, v20, v24 dst_sel:DWORD dst_unused:UNUSED_PAD src0_sel:WORD_0 src1_sel:DWORD
	s_mov_b32 s9, 0
	v_cndmask_b32_e32 v17, 0, v22, vcc_lo
	s_mov_b32 s8, exec_lo
	; wave barrier
	ds_write_b64 v2, v[19:20]
	; wave barrier
	v_cmpx_lt_i32_e64 v17, v18
	s_cbranch_execz .LBB83_58
; %bb.55:
	v_add_nc_u32_e32 v19, v4, v15
	v_add3_u32 v20, v4, v6, v16
	.p2align	6
.LBB83_56:                              ; =>This Inner Loop Header: Depth=1
	v_sub_nc_u32_e32 v21, v18, v17
	v_lshrrev_b32_e32 v21, 1, v21
	v_add_nc_u32_e32 v21, v21, v17
	v_add_nc_u32_e32 v22, v19, v21
	v_xad_u32 v23, v21, -1, v20
	v_add_nc_u32_e32 v24, 1, v21
	ds_read_i8 v22, v22
	ds_read_i8 v23, v23
	s_waitcnt lgkmcnt(0)
	v_cmp_lt_i16_e32 vcc_lo, v23, v22
	v_cndmask_b32_e32 v18, v18, v21, vcc_lo
	v_cndmask_b32_e32 v17, v24, v17, vcc_lo
	v_cmp_ge_i32_e32 vcc_lo, v17, v18
	s_or_b32 s9, vcc_lo, s9
	s_andn2_b32 exec_lo, exec_lo, s9
	s_cbranch_execnz .LBB83_56
; %bb.57:
	s_or_b32 exec_lo, exec_lo, s9
.LBB83_58:
	s_or_b32 exec_lo, exec_lo, s8
	v_add_nc_u32_e32 v16, v6, v16
	v_add_nc_u32_e32 v15, v17, v15
                                        ; implicit-def: $vgpr19
	v_sub_nc_u32_e32 v16, v16, v17
	v_add_nc_u32_e32 v20, v4, v15
	v_cmp_le_i32_e32 vcc_lo, v6, v15
	v_add_nc_u32_e32 v21, v4, v16
	v_cmp_gt_i32_e64 s9, v14, v16
	ds_read_u8 v17, v20
	ds_read_u8 v18, v21
	s_waitcnt lgkmcnt(1)
	v_bfe_i32 v17, v17, 0, 8
	s_waitcnt lgkmcnt(0)
	v_bfe_i32 v18, v18, 0, 8
	v_cmp_lt_i16_e64 s8, v18, v17
	s_or_b32 s8, vcc_lo, s8
	s_and_b32 s8, s9, s8
	s_xor_b32 s9, s8, -1
	s_and_saveexec_b32 s10, s9
	s_xor_b32 s9, exec_lo, s10
; %bb.59:
	ds_read_u8 v19, v20 offset:1
                                        ; implicit-def: $vgpr21
; %bb.60:
	s_or_saveexec_b32 s9, s9
	v_mov_b32_e32 v20, v18
	s_xor_b32 exec_lo, exec_lo, s9
	s_cbranch_execz .LBB83_62
; %bb.61:
	ds_read_u8 v20, v21 offset:1
	s_waitcnt lgkmcnt(1)
	v_mov_b32_e32 v19, v17
.LBB83_62:
	s_or_b32 exec_lo, exec_lo, s9
	v_add_nc_u32_e32 v21, 1, v15
	v_add_nc_u32_e32 v22, 1, v16
	s_waitcnt lgkmcnt(0)
	v_cmp_lt_i16_sdwa s10, sext(v20), sext(v19) src0_sel:BYTE_0 src1_sel:BYTE_0
                                        ; implicit-def: $vgpr23
	v_cndmask_b32_e64 v21, v21, v15, s8
	v_cndmask_b32_e64 v22, v16, v22, s8
	v_cmp_ge_i32_e32 vcc_lo, v21, v6
	v_cmp_lt_i32_e64 s9, v22, v14
	s_or_b32 s10, vcc_lo, s10
	s_and_b32 s9, s9, s10
	s_xor_b32 s10, s9, -1
	s_and_saveexec_b32 s11, s10
	s_xor_b32 s10, exec_lo, s11
; %bb.63:
	v_add_nc_u32_e32 v23, v4, v21
	ds_read_u8 v23, v23 offset:1
; %bb.64:
	s_or_saveexec_b32 s10, s10
	v_mov_b32_e32 v24, v20
	s_xor_b32 exec_lo, exec_lo, s10
	s_cbranch_execz .LBB83_66
; %bb.65:
	s_waitcnt lgkmcnt(0)
	v_add_nc_u32_e32 v23, v4, v22
	ds_read_u8 v24, v23 offset:1
	v_mov_b32_e32 v23, v19
.LBB83_66:
	s_or_b32 exec_lo, exec_lo, s10
	v_add_nc_u32_e32 v25, 1, v21
	v_add_nc_u32_e32 v26, 1, v22
	s_waitcnt lgkmcnt(0)
	v_cmp_lt_i16_sdwa s11, sext(v24), sext(v23) src0_sel:BYTE_0 src1_sel:BYTE_0
                                        ; implicit-def: $vgpr27
	v_cndmask_b32_e64 v25, v25, v21, s9
	v_cndmask_b32_e64 v26, v22, v26, s9
	v_cmp_ge_i32_e32 vcc_lo, v25, v6
	v_cmp_lt_i32_e64 s10, v26, v14
	s_or_b32 s11, vcc_lo, s11
	s_and_b32 s10, s10, s11
	s_xor_b32 s11, s10, -1
	s_and_saveexec_b32 s12, s11
	s_xor_b32 s11, exec_lo, s12
; %bb.67:
	v_add_nc_u32_e32 v27, v4, v25
	ds_read_u8 v27, v27 offset:1
; %bb.68:
	s_or_saveexec_b32 s11, s11
	v_mov_b32_e32 v28, v24
	s_xor_b32 exec_lo, exec_lo, s11
	s_cbranch_execz .LBB83_70
; %bb.69:
	s_waitcnt lgkmcnt(0)
	v_add_nc_u32_e32 v27, v4, v26
	ds_read_u8 v28, v27 offset:1
	v_mov_b32_e32 v27, v23
.LBB83_70:
	s_or_b32 exec_lo, exec_lo, s11
	v_add_nc_u32_e32 v29, 1, v25
	v_add_nc_u32_e32 v30, 1, v26
	s_waitcnt lgkmcnt(0)
	v_cmp_lt_i16_sdwa s12, sext(v28), sext(v27) src0_sel:BYTE_0 src1_sel:BYTE_0
                                        ; implicit-def: $vgpr31
	v_cndmask_b32_e64 v29, v29, v25, s10
	v_cndmask_b32_e64 v30, v26, v30, s10
	v_cmp_ge_i32_e32 vcc_lo, v29, v6
	v_cmp_lt_i32_e64 s11, v30, v14
	s_or_b32 s12, vcc_lo, s12
	s_and_b32 s11, s11, s12
	s_xor_b32 s12, s11, -1
	s_and_saveexec_b32 s13, s12
	s_xor_b32 s12, exec_lo, s13
; %bb.71:
	v_add_nc_u32_e32 v31, v4, v29
	ds_read_u8 v31, v31 offset:1
; %bb.72:
	s_or_saveexec_b32 s12, s12
	v_mov_b32_e32 v32, v28
	s_xor_b32 exec_lo, exec_lo, s12
	s_cbranch_execz .LBB83_74
; %bb.73:
	s_waitcnt lgkmcnt(0)
	v_add_nc_u32_e32 v31, v4, v30
	ds_read_u8 v32, v31 offset:1
	v_mov_b32_e32 v31, v27
.LBB83_74:
	s_or_b32 exec_lo, exec_lo, s12
	v_add_nc_u32_e32 v33, 1, v29
	v_add_nc_u32_e32 v34, 1, v30
	s_waitcnt lgkmcnt(0)
	v_cmp_lt_i16_sdwa s13, sext(v32), sext(v31) src0_sel:BYTE_0 src1_sel:BYTE_0
                                        ; implicit-def: $vgpr35
	v_cndmask_b32_e64 v33, v33, v29, s11
	v_cndmask_b32_e64 v34, v30, v34, s11
	v_cmp_ge_i32_e32 vcc_lo, v33, v6
	v_cmp_lt_i32_e64 s12, v34, v14
	s_or_b32 s13, vcc_lo, s13
	s_and_b32 s12, s12, s13
	s_xor_b32 s13, s12, -1
	s_and_saveexec_b32 s14, s13
	s_xor_b32 s13, exec_lo, s14
; %bb.75:
	v_add_nc_u32_e32 v35, v4, v33
	ds_read_u8 v35, v35 offset:1
; %bb.76:
	s_or_saveexec_b32 s13, s13
	v_mov_b32_e32 v37, v32
	s_xor_b32 exec_lo, exec_lo, s13
	s_cbranch_execz .LBB83_78
; %bb.77:
	s_waitcnt lgkmcnt(0)
	v_add_nc_u32_e32 v35, v4, v34
	ds_read_u8 v37, v35 offset:1
	v_mov_b32_e32 v35, v31
.LBB83_78:
	s_or_b32 exec_lo, exec_lo, s13
	v_add_nc_u32_e32 v36, 1, v33
	v_add_nc_u32_e32 v38, 1, v34
	s_waitcnt lgkmcnt(0)
	v_cmp_lt_i16_sdwa s14, sext(v37), sext(v35) src0_sel:BYTE_0 src1_sel:BYTE_0
                                        ; implicit-def: $vgpr41
	v_cndmask_b32_e64 v39, v36, v33, s12
	v_cndmask_b32_e64 v40, v34, v38, s12
	v_cmp_ge_i32_e32 vcc_lo, v39, v6
	v_cmp_lt_i32_e64 s13, v40, v14
	s_or_b32 s14, vcc_lo, s14
	s_and_b32 vcc_lo, s13, s14
	s_xor_b32 s13, vcc_lo, -1
	s_and_saveexec_b32 s14, s13
	s_xor_b32 s13, exec_lo, s14
; %bb.79:
	v_add_nc_u32_e32 v36, v4, v39
	ds_read_u8 v41, v36 offset:1
; %bb.80:
	s_or_saveexec_b32 s13, s13
	v_mov_b32_e32 v42, v37
	s_xor_b32 exec_lo, exec_lo, s13
	s_cbranch_execz .LBB83_82
; %bb.81:
	v_add_nc_u32_e32 v36, v4, v40
	s_waitcnt lgkmcnt(0)
	v_mov_b32_e32 v41, v35
	ds_read_u8 v42, v36 offset:1
.LBB83_82:
	s_or_b32 exec_lo, exec_lo, s13
	v_add_nc_u32_e32 v36, 1, v39
	v_add_nc_u32_e32 v38, 1, v40
	s_waitcnt lgkmcnt(0)
	v_cmp_lt_i16_sdwa s15, sext(v42), sext(v41) src0_sel:BYTE_0 src1_sel:BYTE_0
	v_cndmask_b32_e32 v43, v36, v39, vcc_lo
	v_cndmask_b32_e32 v44, v40, v38, vcc_lo
                                        ; implicit-def: $vgpr36
	v_cmp_ge_i32_e64 s13, v43, v6
	v_cmp_lt_i32_e64 s14, v44, v14
	s_or_b32 s13, s13, s15
	s_and_b32 s13, s14, s13
	s_xor_b32 s14, s13, -1
	s_and_saveexec_b32 s15, s14
	s_xor_b32 s14, exec_lo, s15
; %bb.83:
	v_add_nc_u32_e32 v36, v4, v43
	ds_read_u8 v36, v36 offset:1
; %bb.84:
	s_or_saveexec_b32 s14, s14
	v_mov_b32_e32 v38, v42
	s_xor_b32 exec_lo, exec_lo, s14
	s_cbranch_execz .LBB83_86
; %bb.85:
	s_waitcnt lgkmcnt(0)
	v_add_nc_u32_e32 v36, v4, v44
	ds_read_u8 v38, v36 offset:1
	v_mov_b32_e32 v36, v41
.LBB83_86:
	s_or_b32 exec_lo, exec_lo, s14
	v_add_nc_u32_e32 v45, 1, v44
	v_add_nc_u32_e32 v46, 1, v43
	v_perm_b32 v7, v7, v11, 0xc0c0004
	v_perm_b32 v11, v12, v13, 0xc0c0004
	v_perm_b32 v0, v0, v1, 0xc0c0004
	v_perm_b32 v3, v3, v5, 0xc0c0004
	v_and_b32_e32 v5, 0xc0, v8
	v_cndmask_b32_e64 v41, v41, v42, s13
	v_cndmask_b32_e64 v42, v44, v45, s13
	;; [unrolled: 1-line block ×4, first 2 shown]
	v_lshl_or_b32 v1, v11, 16, v7
	v_lshl_or_b32 v0, v3, 16, v0
	v_min_i32_e32 v15, v10, v5
	v_cndmask_b32_sdwa v35, v35, v37, vcc_lo dst_sel:BYTE_1 dst_unused:UNUSED_PAD src0_sel:DWORD src1_sel:DWORD
	v_cndmask_b32_e32 v37, v39, v40, vcc_lo
	v_cmp_ge_i32_e32 vcc_lo, v45, v6
	v_cndmask_b32_e64 v6, v21, v22, s9
	; wave barrier
	ds_write_b64 v2, v[0:1]
	v_add_nc_u32_e32 v0, 32, v15
	v_cndmask_b32_e64 v23, v23, v24, s10
	v_cndmask_b32_e64 v24, v25, v26, s10
	s_waitcnt lgkmcnt(1)
	v_cmp_lt_i16_sdwa s10, sext(v38), sext(v36) src0_sel:BYTE_0 src1_sel:BYTE_0
	v_cndmask_b32_e64 v17, v17, v18, s8
	v_cmp_lt_i32_e64 s8, v42, v14
	v_add_nc_u32_e32 v5, v4, v6
	v_min_i32_e32 v6, v10, v0
	v_cndmask_b32_e64 v19, v19, v20, s9
	s_or_b32 s9, vcc_lo, s10
	v_cndmask_b32_e64 v27, v27, v28, s11
	v_cndmask_b32_e64 v28, v29, v30, s11
	s_and_b32 vcc_lo, s8, s9
	v_cndmask_b32_e64 v31, v31, v32, s12
	v_cndmask_b32_e64 v32, v33, v34, s12
	;; [unrolled: 1-line block ×3, first 2 shown]
	v_cndmask_b32_e32 v3, v45, v42, vcc_lo
	v_add_nc_u32_e32 v1, v4, v16
	v_add_nc_u32_e32 v0, 32, v6
	;; [unrolled: 1-line block ×6, first 2 shown]
	; wave barrier
	v_add_nc_u32_e32 v16, v4, v43
	v_add_nc_u32_e32 v20, v4, v3
	v_min_i32_e32 v14, v10, v0
	ds_read_u8 v0, v1
	ds_read_u8 v1, v5
	;; [unrolled: 1-line block ×8, first 2 shown]
	v_cndmask_b32_e32 v18, v36, v38, vcc_lo
	v_and_b32_e32 v21, 56, v8
	v_lshlrev_b16 v19, 8, v19
	v_lshlrev_b16 v20, 8, v27
	s_mov_b32 s9, 0
	v_lshlrev_b16 v18, 8, v18
	v_min_i32_e32 v16, v10, v21
	v_sub_nc_u32_e32 v21, v14, v6
	v_or_b32_sdwa v17, v17, v19 dst_sel:DWORD dst_unused:UNUSED_PAD src0_sel:BYTE_0 src1_sel:DWORD
	v_or_b32_sdwa v19, v23, v20 dst_sel:WORD_1 dst_unused:UNUSED_PAD src0_sel:BYTE_0 src1_sel:DWORD
	v_or_b32_sdwa v20, v31, v35 dst_sel:DWORD dst_unused:UNUSED_PAD src0_sel:BYTE_0 src1_sel:DWORD
	v_sub_nc_u32_e32 v23, v6, v15
	v_sub_nc_u32_e32 v22, v16, v21
	v_or_b32_sdwa v24, v41, v18 dst_sel:WORD_1 dst_unused:UNUSED_PAD src0_sel:BYTE_0 src1_sel:DWORD
	v_cmp_ge_i32_e32 vcc_lo, v16, v21
	v_or_b32_sdwa v19, v17, v19 dst_sel:DWORD dst_unused:UNUSED_PAD src0_sel:WORD_0 src1_sel:DWORD
	v_min_i32_e32 v18, v16, v23
	s_mov_b32 s8, exec_lo
	v_or_b32_sdwa v20, v20, v24 dst_sel:DWORD dst_unused:UNUSED_PAD src0_sel:WORD_0 src1_sel:DWORD
	v_cndmask_b32_e32 v17, 0, v22, vcc_lo
	; wave barrier
	ds_write_b64 v2, v[19:20]
	; wave barrier
	v_cmpx_lt_i32_e64 v17, v18
	s_cbranch_execz .LBB83_90
; %bb.87:
	v_add_nc_u32_e32 v19, v4, v15
	v_add3_u32 v20, v4, v6, v16
	.p2align	6
.LBB83_88:                              ; =>This Inner Loop Header: Depth=1
	v_sub_nc_u32_e32 v21, v18, v17
	v_lshrrev_b32_e32 v21, 1, v21
	v_add_nc_u32_e32 v21, v21, v17
	v_add_nc_u32_e32 v22, v19, v21
	v_xad_u32 v23, v21, -1, v20
	v_add_nc_u32_e32 v24, 1, v21
	ds_read_i8 v22, v22
	ds_read_i8 v23, v23
	s_waitcnt lgkmcnt(0)
	v_cmp_lt_i16_e32 vcc_lo, v23, v22
	v_cndmask_b32_e32 v18, v18, v21, vcc_lo
	v_cndmask_b32_e32 v17, v24, v17, vcc_lo
	v_cmp_ge_i32_e32 vcc_lo, v17, v18
	s_or_b32 s9, vcc_lo, s9
	s_andn2_b32 exec_lo, exec_lo, s9
	s_cbranch_execnz .LBB83_88
; %bb.89:
	s_or_b32 exec_lo, exec_lo, s9
.LBB83_90:
	s_or_b32 exec_lo, exec_lo, s8
	v_add_nc_u32_e32 v16, v6, v16
	v_add_nc_u32_e32 v15, v17, v15
                                        ; implicit-def: $vgpr19
	v_sub_nc_u32_e32 v16, v16, v17
	v_add_nc_u32_e32 v20, v4, v15
	v_cmp_le_i32_e32 vcc_lo, v6, v15
	v_add_nc_u32_e32 v21, v4, v16
	v_cmp_gt_i32_e64 s9, v14, v16
	ds_read_u8 v17, v20
	ds_read_u8 v18, v21
	s_waitcnt lgkmcnt(1)
	v_bfe_i32 v17, v17, 0, 8
	s_waitcnt lgkmcnt(0)
	v_bfe_i32 v18, v18, 0, 8
	v_cmp_lt_i16_e64 s8, v18, v17
	s_or_b32 s8, vcc_lo, s8
	s_and_b32 s8, s9, s8
	s_xor_b32 s9, s8, -1
	s_and_saveexec_b32 s10, s9
	s_xor_b32 s9, exec_lo, s10
; %bb.91:
	ds_read_u8 v19, v20 offset:1
                                        ; implicit-def: $vgpr21
; %bb.92:
	s_or_saveexec_b32 s9, s9
	v_mov_b32_e32 v20, v18
	s_xor_b32 exec_lo, exec_lo, s9
	s_cbranch_execz .LBB83_94
; %bb.93:
	ds_read_u8 v20, v21 offset:1
	s_waitcnt lgkmcnt(1)
	v_mov_b32_e32 v19, v17
.LBB83_94:
	s_or_b32 exec_lo, exec_lo, s9
	v_add_nc_u32_e32 v21, 1, v15
	v_add_nc_u32_e32 v22, 1, v16
	s_waitcnt lgkmcnt(0)
	v_cmp_lt_i16_sdwa s10, sext(v20), sext(v19) src0_sel:BYTE_0 src1_sel:BYTE_0
                                        ; implicit-def: $vgpr23
	v_cndmask_b32_e64 v21, v21, v15, s8
	v_cndmask_b32_e64 v22, v16, v22, s8
	v_cmp_ge_i32_e32 vcc_lo, v21, v6
	v_cmp_lt_i32_e64 s9, v22, v14
	s_or_b32 s10, vcc_lo, s10
	s_and_b32 s9, s9, s10
	s_xor_b32 s10, s9, -1
	s_and_saveexec_b32 s11, s10
	s_xor_b32 s10, exec_lo, s11
; %bb.95:
	v_add_nc_u32_e32 v23, v4, v21
	ds_read_u8 v23, v23 offset:1
; %bb.96:
	s_or_saveexec_b32 s10, s10
	v_mov_b32_e32 v24, v20
	s_xor_b32 exec_lo, exec_lo, s10
	s_cbranch_execz .LBB83_98
; %bb.97:
	s_waitcnt lgkmcnt(0)
	v_add_nc_u32_e32 v23, v4, v22
	ds_read_u8 v24, v23 offset:1
	v_mov_b32_e32 v23, v19
.LBB83_98:
	s_or_b32 exec_lo, exec_lo, s10
	v_add_nc_u32_e32 v25, 1, v21
	v_add_nc_u32_e32 v26, 1, v22
	s_waitcnt lgkmcnt(0)
	v_cmp_lt_i16_sdwa s11, sext(v24), sext(v23) src0_sel:BYTE_0 src1_sel:BYTE_0
                                        ; implicit-def: $vgpr27
	v_cndmask_b32_e64 v25, v25, v21, s9
	v_cndmask_b32_e64 v26, v22, v26, s9
	v_cmp_ge_i32_e32 vcc_lo, v25, v6
	v_cmp_lt_i32_e64 s10, v26, v14
	s_or_b32 s11, vcc_lo, s11
	s_and_b32 s10, s10, s11
	s_xor_b32 s11, s10, -1
	s_and_saveexec_b32 s12, s11
	s_xor_b32 s11, exec_lo, s12
; %bb.99:
	v_add_nc_u32_e32 v27, v4, v25
	ds_read_u8 v27, v27 offset:1
; %bb.100:
	s_or_saveexec_b32 s11, s11
	v_mov_b32_e32 v28, v24
	s_xor_b32 exec_lo, exec_lo, s11
	s_cbranch_execz .LBB83_102
; %bb.101:
	s_waitcnt lgkmcnt(0)
	v_add_nc_u32_e32 v27, v4, v26
	ds_read_u8 v28, v27 offset:1
	v_mov_b32_e32 v27, v23
.LBB83_102:
	s_or_b32 exec_lo, exec_lo, s11
	v_add_nc_u32_e32 v29, 1, v25
	v_add_nc_u32_e32 v30, 1, v26
	s_waitcnt lgkmcnt(0)
	v_cmp_lt_i16_sdwa s12, sext(v28), sext(v27) src0_sel:BYTE_0 src1_sel:BYTE_0
                                        ; implicit-def: $vgpr31
	v_cndmask_b32_e64 v29, v29, v25, s10
	v_cndmask_b32_e64 v30, v26, v30, s10
	v_cmp_ge_i32_e32 vcc_lo, v29, v6
	v_cmp_lt_i32_e64 s11, v30, v14
	s_or_b32 s12, vcc_lo, s12
	s_and_b32 s11, s11, s12
	s_xor_b32 s12, s11, -1
	s_and_saveexec_b32 s13, s12
	s_xor_b32 s12, exec_lo, s13
; %bb.103:
	v_add_nc_u32_e32 v31, v4, v29
	ds_read_u8 v31, v31 offset:1
; %bb.104:
	s_or_saveexec_b32 s12, s12
	v_mov_b32_e32 v32, v28
	s_xor_b32 exec_lo, exec_lo, s12
	s_cbranch_execz .LBB83_106
; %bb.105:
	s_waitcnt lgkmcnt(0)
	v_add_nc_u32_e32 v31, v4, v30
	ds_read_u8 v32, v31 offset:1
	v_mov_b32_e32 v31, v27
.LBB83_106:
	s_or_b32 exec_lo, exec_lo, s12
	v_add_nc_u32_e32 v33, 1, v29
	v_add_nc_u32_e32 v34, 1, v30
	s_waitcnt lgkmcnt(0)
	v_cmp_lt_i16_sdwa s13, sext(v32), sext(v31) src0_sel:BYTE_0 src1_sel:BYTE_0
                                        ; implicit-def: $vgpr35
	v_cndmask_b32_e64 v33, v33, v29, s11
	v_cndmask_b32_e64 v34, v30, v34, s11
	v_cmp_ge_i32_e32 vcc_lo, v33, v6
	v_cmp_lt_i32_e64 s12, v34, v14
	s_or_b32 s13, vcc_lo, s13
	s_and_b32 s12, s12, s13
	s_xor_b32 s13, s12, -1
	s_and_saveexec_b32 s14, s13
	s_xor_b32 s13, exec_lo, s14
; %bb.107:
	v_add_nc_u32_e32 v35, v4, v33
	ds_read_u8 v35, v35 offset:1
; %bb.108:
	s_or_saveexec_b32 s13, s13
	v_mov_b32_e32 v37, v32
	s_xor_b32 exec_lo, exec_lo, s13
	s_cbranch_execz .LBB83_110
; %bb.109:
	s_waitcnt lgkmcnt(0)
	v_add_nc_u32_e32 v35, v4, v34
	ds_read_u8 v37, v35 offset:1
	v_mov_b32_e32 v35, v31
.LBB83_110:
	s_or_b32 exec_lo, exec_lo, s13
	v_add_nc_u32_e32 v36, 1, v33
	v_add_nc_u32_e32 v38, 1, v34
	s_waitcnt lgkmcnt(0)
	v_cmp_lt_i16_sdwa s14, sext(v37), sext(v35) src0_sel:BYTE_0 src1_sel:BYTE_0
                                        ; implicit-def: $vgpr41
	v_cndmask_b32_e64 v39, v36, v33, s12
	v_cndmask_b32_e64 v40, v34, v38, s12
	v_cmp_ge_i32_e32 vcc_lo, v39, v6
	v_cmp_lt_i32_e64 s13, v40, v14
	s_or_b32 s14, vcc_lo, s14
	s_and_b32 vcc_lo, s13, s14
	s_xor_b32 s13, vcc_lo, -1
	s_and_saveexec_b32 s14, s13
	s_xor_b32 s13, exec_lo, s14
; %bb.111:
	v_add_nc_u32_e32 v36, v4, v39
	ds_read_u8 v41, v36 offset:1
; %bb.112:
	s_or_saveexec_b32 s13, s13
	v_mov_b32_e32 v42, v37
	s_xor_b32 exec_lo, exec_lo, s13
	s_cbranch_execz .LBB83_114
; %bb.113:
	v_add_nc_u32_e32 v36, v4, v40
	s_waitcnt lgkmcnt(0)
	v_mov_b32_e32 v41, v35
	ds_read_u8 v42, v36 offset:1
.LBB83_114:
	s_or_b32 exec_lo, exec_lo, s13
	v_add_nc_u32_e32 v36, 1, v39
	v_add_nc_u32_e32 v38, 1, v40
	s_waitcnt lgkmcnt(0)
	v_cmp_lt_i16_sdwa s15, sext(v42), sext(v41) src0_sel:BYTE_0 src1_sel:BYTE_0
	v_cndmask_b32_e32 v43, v36, v39, vcc_lo
	v_cndmask_b32_e32 v44, v40, v38, vcc_lo
                                        ; implicit-def: $vgpr36
	v_cmp_ge_i32_e64 s13, v43, v6
	v_cmp_lt_i32_e64 s14, v44, v14
	s_or_b32 s13, s13, s15
	s_and_b32 s13, s14, s13
	s_xor_b32 s14, s13, -1
	s_and_saveexec_b32 s15, s14
	s_xor_b32 s14, exec_lo, s15
; %bb.115:
	v_add_nc_u32_e32 v36, v4, v43
	ds_read_u8 v36, v36 offset:1
; %bb.116:
	s_or_saveexec_b32 s14, s14
	v_mov_b32_e32 v38, v42
	s_xor_b32 exec_lo, exec_lo, s14
	s_cbranch_execz .LBB83_118
; %bb.117:
	s_waitcnt lgkmcnt(0)
	v_add_nc_u32_e32 v36, v4, v44
	ds_read_u8 v38, v36 offset:1
	v_mov_b32_e32 v36, v41
.LBB83_118:
	s_or_b32 exec_lo, exec_lo, s14
	v_add_nc_u32_e32 v45, 1, v44
	v_add_nc_u32_e32 v46, 1, v43
	v_perm_b32 v7, v7, v11, 0xc0c0004
	v_perm_b32 v11, v12, v13, 0xc0c0004
	;; [unrolled: 1-line block ×4, first 2 shown]
	v_and_b32_e32 v5, 0x80, v8
	v_cndmask_b32_e64 v41, v41, v42, s13
	v_cndmask_b32_e64 v42, v44, v45, s13
	v_cndmask_b32_e64 v45, v46, v43, s13
	v_cndmask_b32_e64 v16, v15, v16, s8
	v_lshl_or_b32 v1, v11, 16, v7
	v_lshl_or_b32 v0, v3, 16, v0
	v_min_i32_e32 v15, v10, v5
	v_cndmask_b32_sdwa v35, v35, v37, vcc_lo dst_sel:BYTE_1 dst_unused:UNUSED_PAD src0_sel:DWORD src1_sel:DWORD
	v_cndmask_b32_e32 v37, v39, v40, vcc_lo
	v_cmp_ge_i32_e32 vcc_lo, v45, v6
	v_cndmask_b32_e64 v6, v21, v22, s9
	; wave barrier
	ds_write_b64 v2, v[0:1]
	v_add_nc_u32_e32 v0, 64, v15
	v_cndmask_b32_e64 v23, v23, v24, s10
	v_cndmask_b32_e64 v24, v25, v26, s10
	s_waitcnt lgkmcnt(1)
	v_cmp_lt_i16_sdwa s10, sext(v38), sext(v36) src0_sel:BYTE_0 src1_sel:BYTE_0
	v_cndmask_b32_e64 v17, v17, v18, s8
	v_cmp_lt_i32_e64 s8, v42, v14
	v_add_nc_u32_e32 v5, v4, v6
	v_min_i32_e32 v6, v10, v0
	v_cndmask_b32_e64 v19, v19, v20, s9
	s_or_b32 s9, vcc_lo, s10
	v_cndmask_b32_e64 v27, v27, v28, s11
	v_cndmask_b32_e64 v28, v29, v30, s11
	s_and_b32 vcc_lo, s8, s9
	v_cndmask_b32_e64 v31, v31, v32, s12
	v_cndmask_b32_e64 v32, v33, v34, s12
	;; [unrolled: 1-line block ×3, first 2 shown]
	v_cndmask_b32_e32 v3, v45, v42, vcc_lo
	v_add_nc_u32_e32 v1, v4, v16
	v_add_nc_u32_e32 v0, 64, v6
	;; [unrolled: 1-line block ×6, first 2 shown]
	; wave barrier
	v_add_nc_u32_e32 v16, v4, v43
	v_add_nc_u32_e32 v20, v4, v3
	v_min_i32_e32 v14, v10, v0
	ds_read_u8 v0, v1
	ds_read_u8 v1, v5
	;; [unrolled: 1-line block ×8, first 2 shown]
	v_cndmask_b32_e32 v18, v36, v38, vcc_lo
	v_and_b32_e32 v21, 0x78, v8
	v_lshlrev_b16 v19, 8, v19
	v_lshlrev_b16 v20, 8, v27
	s_mov_b32 s9, 0
	v_lshlrev_b16 v18, 8, v18
	v_min_i32_e32 v16, v10, v21
	v_sub_nc_u32_e32 v21, v14, v6
	v_or_b32_sdwa v17, v17, v19 dst_sel:DWORD dst_unused:UNUSED_PAD src0_sel:BYTE_0 src1_sel:DWORD
	v_or_b32_sdwa v19, v23, v20 dst_sel:WORD_1 dst_unused:UNUSED_PAD src0_sel:BYTE_0 src1_sel:DWORD
	v_or_b32_sdwa v20, v31, v35 dst_sel:DWORD dst_unused:UNUSED_PAD src0_sel:BYTE_0 src1_sel:DWORD
	v_sub_nc_u32_e32 v23, v6, v15
	v_sub_nc_u32_e32 v22, v16, v21
	v_or_b32_sdwa v24, v41, v18 dst_sel:WORD_1 dst_unused:UNUSED_PAD src0_sel:BYTE_0 src1_sel:DWORD
	v_cmp_ge_i32_e32 vcc_lo, v16, v21
	v_or_b32_sdwa v19, v17, v19 dst_sel:DWORD dst_unused:UNUSED_PAD src0_sel:WORD_0 src1_sel:DWORD
	v_min_i32_e32 v18, v16, v23
	s_mov_b32 s8, exec_lo
	v_or_b32_sdwa v20, v20, v24 dst_sel:DWORD dst_unused:UNUSED_PAD src0_sel:WORD_0 src1_sel:DWORD
	v_cndmask_b32_e32 v17, 0, v22, vcc_lo
	; wave barrier
	ds_write_b64 v2, v[19:20]
	; wave barrier
	v_cmpx_lt_i32_e64 v17, v18
	s_cbranch_execz .LBB83_122
; %bb.119:
	v_add_nc_u32_e32 v19, v4, v15
	v_add3_u32 v20, v4, v6, v16
	.p2align	6
.LBB83_120:                             ; =>This Inner Loop Header: Depth=1
	v_sub_nc_u32_e32 v21, v18, v17
	v_lshrrev_b32_e32 v21, 1, v21
	v_add_nc_u32_e32 v21, v21, v17
	v_add_nc_u32_e32 v22, v19, v21
	v_xad_u32 v23, v21, -1, v20
	v_add_nc_u32_e32 v24, 1, v21
	ds_read_i8 v22, v22
	ds_read_i8 v23, v23
	s_waitcnt lgkmcnt(0)
	v_cmp_lt_i16_e32 vcc_lo, v23, v22
	v_cndmask_b32_e32 v18, v18, v21, vcc_lo
	v_cndmask_b32_e32 v17, v24, v17, vcc_lo
	v_cmp_ge_i32_e32 vcc_lo, v17, v18
	s_or_b32 s9, vcc_lo, s9
	s_andn2_b32 exec_lo, exec_lo, s9
	s_cbranch_execnz .LBB83_120
; %bb.121:
	s_or_b32 exec_lo, exec_lo, s9
.LBB83_122:
	s_or_b32 exec_lo, exec_lo, s8
	v_add_nc_u32_e32 v16, v6, v16
	v_add_nc_u32_e32 v15, v17, v15
                                        ; implicit-def: $vgpr19
	v_sub_nc_u32_e32 v16, v16, v17
	v_add_nc_u32_e32 v20, v4, v15
	v_cmp_le_i32_e32 vcc_lo, v6, v15
	v_add_nc_u32_e32 v21, v4, v16
	v_cmp_gt_i32_e64 s9, v14, v16
	ds_read_u8 v17, v20
	ds_read_u8 v18, v21
	s_waitcnt lgkmcnt(1)
	v_bfe_i32 v17, v17, 0, 8
	s_waitcnt lgkmcnt(0)
	v_bfe_i32 v18, v18, 0, 8
	v_cmp_lt_i16_e64 s8, v18, v17
	s_or_b32 s8, vcc_lo, s8
	s_and_b32 s8, s9, s8
	s_xor_b32 s9, s8, -1
	s_and_saveexec_b32 s10, s9
	s_xor_b32 s9, exec_lo, s10
; %bb.123:
	ds_read_u8 v19, v20 offset:1
                                        ; implicit-def: $vgpr21
; %bb.124:
	s_or_saveexec_b32 s9, s9
	v_mov_b32_e32 v20, v18
	s_xor_b32 exec_lo, exec_lo, s9
	s_cbranch_execz .LBB83_126
; %bb.125:
	ds_read_u8 v20, v21 offset:1
	s_waitcnt lgkmcnt(1)
	v_mov_b32_e32 v19, v17
.LBB83_126:
	s_or_b32 exec_lo, exec_lo, s9
	v_add_nc_u32_e32 v21, 1, v15
	v_add_nc_u32_e32 v22, 1, v16
	s_waitcnt lgkmcnt(0)
	v_cmp_lt_i16_sdwa s10, sext(v20), sext(v19) src0_sel:BYTE_0 src1_sel:BYTE_0
                                        ; implicit-def: $vgpr23
	v_cndmask_b32_e64 v21, v21, v15, s8
	v_cndmask_b32_e64 v22, v16, v22, s8
	v_cmp_ge_i32_e32 vcc_lo, v21, v6
	v_cmp_lt_i32_e64 s9, v22, v14
	s_or_b32 s10, vcc_lo, s10
	s_and_b32 s9, s9, s10
	s_xor_b32 s10, s9, -1
	s_and_saveexec_b32 s11, s10
	s_xor_b32 s10, exec_lo, s11
; %bb.127:
	v_add_nc_u32_e32 v23, v4, v21
	ds_read_u8 v23, v23 offset:1
; %bb.128:
	s_or_saveexec_b32 s10, s10
	v_mov_b32_e32 v24, v20
	s_xor_b32 exec_lo, exec_lo, s10
	s_cbranch_execz .LBB83_130
; %bb.129:
	s_waitcnt lgkmcnt(0)
	v_add_nc_u32_e32 v23, v4, v22
	ds_read_u8 v24, v23 offset:1
	v_mov_b32_e32 v23, v19
.LBB83_130:
	s_or_b32 exec_lo, exec_lo, s10
	v_add_nc_u32_e32 v25, 1, v21
	v_add_nc_u32_e32 v26, 1, v22
	s_waitcnt lgkmcnt(0)
	v_cmp_lt_i16_sdwa s11, sext(v24), sext(v23) src0_sel:BYTE_0 src1_sel:BYTE_0
                                        ; implicit-def: $vgpr27
	v_cndmask_b32_e64 v25, v25, v21, s9
	v_cndmask_b32_e64 v26, v22, v26, s9
	v_cmp_ge_i32_e32 vcc_lo, v25, v6
	v_cmp_lt_i32_e64 s10, v26, v14
	s_or_b32 s11, vcc_lo, s11
	s_and_b32 s10, s10, s11
	s_xor_b32 s11, s10, -1
	s_and_saveexec_b32 s12, s11
	s_xor_b32 s11, exec_lo, s12
; %bb.131:
	v_add_nc_u32_e32 v27, v4, v25
	ds_read_u8 v27, v27 offset:1
; %bb.132:
	s_or_saveexec_b32 s11, s11
	v_mov_b32_e32 v28, v24
	s_xor_b32 exec_lo, exec_lo, s11
	s_cbranch_execz .LBB83_134
; %bb.133:
	s_waitcnt lgkmcnt(0)
	v_add_nc_u32_e32 v27, v4, v26
	ds_read_u8 v28, v27 offset:1
	v_mov_b32_e32 v27, v23
.LBB83_134:
	s_or_b32 exec_lo, exec_lo, s11
	v_add_nc_u32_e32 v29, 1, v25
	v_add_nc_u32_e32 v30, 1, v26
	s_waitcnt lgkmcnt(0)
	v_cmp_lt_i16_sdwa s12, sext(v28), sext(v27) src0_sel:BYTE_0 src1_sel:BYTE_0
                                        ; implicit-def: $vgpr31
	v_cndmask_b32_e64 v29, v29, v25, s10
	v_cndmask_b32_e64 v30, v26, v30, s10
	v_cmp_ge_i32_e32 vcc_lo, v29, v6
	v_cmp_lt_i32_e64 s11, v30, v14
	s_or_b32 s12, vcc_lo, s12
	s_and_b32 s11, s11, s12
	s_xor_b32 s12, s11, -1
	s_and_saveexec_b32 s13, s12
	s_xor_b32 s12, exec_lo, s13
; %bb.135:
	v_add_nc_u32_e32 v31, v4, v29
	ds_read_u8 v31, v31 offset:1
; %bb.136:
	s_or_saveexec_b32 s12, s12
	v_mov_b32_e32 v32, v28
	s_xor_b32 exec_lo, exec_lo, s12
	s_cbranch_execz .LBB83_138
; %bb.137:
	s_waitcnt lgkmcnt(0)
	v_add_nc_u32_e32 v31, v4, v30
	ds_read_u8 v32, v31 offset:1
	v_mov_b32_e32 v31, v27
.LBB83_138:
	s_or_b32 exec_lo, exec_lo, s12
	v_add_nc_u32_e32 v33, 1, v29
	v_add_nc_u32_e32 v34, 1, v30
	s_waitcnt lgkmcnt(0)
	v_cmp_lt_i16_sdwa s13, sext(v32), sext(v31) src0_sel:BYTE_0 src1_sel:BYTE_0
                                        ; implicit-def: $vgpr35
	v_cndmask_b32_e64 v33, v33, v29, s11
	v_cndmask_b32_e64 v34, v30, v34, s11
	v_cmp_ge_i32_e32 vcc_lo, v33, v6
	v_cmp_lt_i32_e64 s12, v34, v14
	s_or_b32 s13, vcc_lo, s13
	s_and_b32 s12, s12, s13
	s_xor_b32 s13, s12, -1
	s_and_saveexec_b32 s14, s13
	s_xor_b32 s13, exec_lo, s14
; %bb.139:
	v_add_nc_u32_e32 v35, v4, v33
	ds_read_u8 v35, v35 offset:1
; %bb.140:
	s_or_saveexec_b32 s13, s13
	v_mov_b32_e32 v36, v32
	s_xor_b32 exec_lo, exec_lo, s13
	s_cbranch_execz .LBB83_142
; %bb.141:
	s_waitcnt lgkmcnt(0)
	v_add_nc_u32_e32 v35, v4, v34
	ds_read_u8 v36, v35 offset:1
	v_mov_b32_e32 v35, v31
.LBB83_142:
	s_or_b32 exec_lo, exec_lo, s13
	v_add_nc_u32_e32 v37, 1, v33
	v_add_nc_u32_e32 v38, 1, v34
	s_waitcnt lgkmcnt(0)
	v_cmp_lt_i16_sdwa s14, sext(v36), sext(v35) src0_sel:BYTE_0 src1_sel:BYTE_0
                                        ; implicit-def: $vgpr39
	v_cndmask_b32_e64 v37, v37, v33, s12
	v_cndmask_b32_e64 v38, v34, v38, s12
	v_cmp_ge_i32_e32 vcc_lo, v37, v6
	v_cmp_lt_i32_e64 s13, v38, v14
	s_or_b32 s14, vcc_lo, s14
	s_and_b32 vcc_lo, s13, s14
	s_xor_b32 s13, vcc_lo, -1
	s_and_saveexec_b32 s14, s13
	s_xor_b32 s13, exec_lo, s14
; %bb.143:
	v_add_nc_u32_e32 v39, v4, v37
	ds_read_u8 v39, v39 offset:1
; %bb.144:
	s_or_saveexec_b32 s13, s13
	v_mov_b32_e32 v41, v36
	s_xor_b32 exec_lo, exec_lo, s13
	s_cbranch_execz .LBB83_146
; %bb.145:
	s_waitcnt lgkmcnt(0)
	v_add_nc_u32_e32 v39, v4, v38
	ds_read_u8 v41, v39 offset:1
	v_mov_b32_e32 v39, v35
.LBB83_146:
	s_or_b32 exec_lo, exec_lo, s13
	v_add_nc_u32_e32 v40, 1, v37
	v_add_nc_u32_e32 v42, 1, v38
	s_waitcnt lgkmcnt(0)
	v_cmp_lt_i16_sdwa s15, sext(v41), sext(v39) src0_sel:BYTE_0 src1_sel:BYTE_0
	v_cndmask_b32_e32 v43, v40, v37, vcc_lo
	v_cndmask_b32_e32 v44, v38, v42, vcc_lo
                                        ; implicit-def: $vgpr40
	v_cmp_ge_i32_e64 s13, v43, v6
	v_cmp_lt_i32_e64 s14, v44, v14
	s_or_b32 s13, s13, s15
	s_and_b32 s13, s14, s13
	s_xor_b32 s14, s13, -1
	s_and_saveexec_b32 s15, s14
	s_xor_b32 s14, exec_lo, s15
; %bb.147:
	v_add_nc_u32_e32 v40, v4, v43
	ds_read_u8 v40, v40 offset:1
; %bb.148:
	s_or_saveexec_b32 s14, s14
	v_mov_b32_e32 v42, v41
	s_xor_b32 exec_lo, exec_lo, s14
	s_cbranch_execz .LBB83_150
; %bb.149:
	s_waitcnt lgkmcnt(0)
	v_add_nc_u32_e32 v40, v4, v44
	ds_read_u8 v42, v40 offset:1
	v_mov_b32_e32 v40, v39
.LBB83_150:
	s_or_b32 exec_lo, exec_lo, s14
	v_add_nc_u32_e32 v45, 1, v44
	v_add_nc_u32_e32 v46, 1, v43
	v_cndmask_b32_e64 v39, v39, v41, s13
	v_perm_b32 v7, v7, v11, 0xc0c0004
	v_perm_b32 v11, v12, v13, 0xc0c0004
	v_cndmask_b32_e64 v41, v44, v45, s13
	v_cndmask_b32_e64 v45, v46, v43, s13
	v_perm_b32 v0, v0, v1, 0xc0c0004
	v_perm_b32 v3, v3, v5, 0xc0c0004
	v_cndmask_b32_sdwa v35, v35, v36, vcc_lo dst_sel:BYTE_1 dst_unused:UNUSED_PAD src0_sel:DWORD src1_sel:DWORD
	v_cndmask_b32_e32 v36, v37, v38, vcc_lo
	v_cndmask_b32_e64 v23, v23, v24, s10
	v_cndmask_b32_e64 v24, v25, v26, s10
	v_cmp_ge_i32_e32 vcc_lo, v45, v6
	s_waitcnt lgkmcnt(0)
	v_cmp_lt_i16_sdwa s10, sext(v42), sext(v40) src0_sel:BYTE_0 src1_sel:BYTE_0
	v_cndmask_b32_e64 v16, v15, v16, s8
	v_min_i32_e32 v15, 0, v10
	v_cndmask_b32_e64 v17, v17, v18, s8
	v_cmp_lt_i32_e64 s8, v41, v14
	v_lshl_or_b32 v1, v11, 16, v7
	v_lshl_or_b32 v0, v3, 16, v0
	v_cndmask_b32_e64 v19, v19, v20, s9
	v_cndmask_b32_e64 v6, v21, v22, s9
	s_or_b32 s9, vcc_lo, s10
	v_add_nc_u32_e32 v5, 0x80, v15
	v_cndmask_b32_e64 v27, v27, v28, s11
	v_cndmask_b32_e64 v28, v29, v30, s11
	s_and_b32 vcc_lo, s8, s9
	v_cndmask_b32_e64 v43, v43, v44, s13
	v_cndmask_b32_e64 v31, v31, v32, s12
	;; [unrolled: 1-line block ×3, first 2 shown]
	v_cndmask_b32_e32 v3, v45, v41, vcc_lo
	; wave barrier
	ds_write_b64 v2, v[0:1]
	v_add_nc_u32_e32 v1, v4, v16
	v_min_i32_e32 v14, v10, v5
	v_add_nc_u32_e32 v5, v4, v6
	v_add_nc_u32_e32 v6, v4, v24
	;; [unrolled: 1-line block ×6, first 2 shown]
	; wave barrier
	v_add_nc_u32_e32 v16, v4, v3
	ds_read_u8 v1, v1
	ds_read_u8 v3, v5
	;; [unrolled: 1-line block ×8, first 2 shown]
	v_add_nc_u32_e32 v0, 0x80, v14
	v_cndmask_b32_e32 v18, v40, v42, vcc_lo
	v_lshlrev_b16 v19, 8, v19
	v_lshlrev_b16 v16, 8, v27
	v_sub_nc_u32_e32 v22, v14, v15
	v_min_i32_e32 v0, v10, v0
	v_min_i32_e32 v10, v10, v8
	v_lshlrev_b16 v18, 8, v18
	v_or_b32_sdwa v17, v17, v19 dst_sel:DWORD dst_unused:UNUSED_PAD src0_sel:BYTE_0 src1_sel:DWORD
	v_or_b32_sdwa v16, v23, v16 dst_sel:WORD_1 dst_unused:UNUSED_PAD src0_sel:BYTE_0 src1_sel:DWORD
	v_sub_nc_u32_e32 v20, v0, v14
	v_or_b32_sdwa v19, v31, v35 dst_sel:DWORD dst_unused:UNUSED_PAD src0_sel:BYTE_0 src1_sel:DWORD
	v_or_b32_sdwa v23, v39, v18 dst_sel:WORD_1 dst_unused:UNUSED_PAD src0_sel:BYTE_0 src1_sel:DWORD
	s_mov_b32 s9, 0
	v_or_b32_sdwa v18, v17, v16 dst_sel:DWORD dst_unused:UNUSED_PAD src0_sel:WORD_0 src1_sel:DWORD
	v_sub_nc_u32_e32 v21, v10, v20
	v_cmp_ge_i32_e32 vcc_lo, v10, v20
	v_min_i32_e32 v17, v10, v22
	v_or_b32_sdwa v19, v19, v23 dst_sel:DWORD dst_unused:UNUSED_PAD src0_sel:WORD_0 src1_sel:DWORD
	s_mov_b32 s8, exec_lo
	v_cndmask_b32_e32 v16, 0, v21, vcc_lo
	; wave barrier
	ds_write_b64 v2, v[18:19]
	; wave barrier
	v_cmpx_lt_i32_e64 v16, v17
	s_cbranch_execz .LBB83_154
; %bb.151:
	v_add_nc_u32_e32 v18, v4, v15
	v_add3_u32 v19, v4, v14, v10
	.p2align	6
.LBB83_152:                             ; =>This Inner Loop Header: Depth=1
	v_sub_nc_u32_e32 v20, v17, v16
	v_lshrrev_b32_e32 v20, 1, v20
	v_add_nc_u32_e32 v20, v20, v16
	v_add_nc_u32_e32 v21, v18, v20
	v_xad_u32 v22, v20, -1, v19
	v_add_nc_u32_e32 v23, 1, v20
	ds_read_i8 v21, v21
	ds_read_i8 v22, v22
	s_waitcnt lgkmcnt(0)
	v_cmp_lt_i16_e32 vcc_lo, v22, v21
	v_cndmask_b32_e32 v17, v17, v20, vcc_lo
	v_cndmask_b32_e32 v16, v23, v16, vcc_lo
	v_cmp_ge_i32_e32 vcc_lo, v16, v17
	s_or_b32 s9, vcc_lo, s9
	s_andn2_b32 exec_lo, exec_lo, s9
	s_cbranch_execnz .LBB83_152
; %bb.153:
	s_or_b32 exec_lo, exec_lo, s9
.LBB83_154:
	s_or_b32 exec_lo, exec_lo, s8
	v_add_nc_u32_e32 v17, v14, v10
	v_add_nc_u32_e32 v10, v16, v15
                                        ; implicit-def: $vgpr20
	v_sub_nc_u32_e32 v15, v17, v16
	v_add_nc_u32_e32 v17, v4, v10
	v_cmp_le_i32_e32 vcc_lo, v14, v10
	v_add_nc_u32_e32 v16, v4, v15
	v_cmp_gt_i32_e64 s9, v0, v15
	ds_read_u8 v18, v17
	ds_read_u8 v19, v16
	s_waitcnt lgkmcnt(1)
	v_bfe_i32 v18, v18, 0, 8
	s_waitcnt lgkmcnt(0)
	v_bfe_i32 v19, v19, 0, 8
	v_cmp_lt_i16_e64 s8, v19, v18
	s_or_b32 s8, vcc_lo, s8
	s_and_b32 s8, s9, s8
	s_xor_b32 s9, s8, -1
	s_and_saveexec_b32 s10, s9
	s_xor_b32 s9, exec_lo, s10
; %bb.155:
	ds_read_u8 v20, v17 offset:1
                                        ; implicit-def: $vgpr16
; %bb.156:
	s_or_saveexec_b32 s9, s9
	v_mov_b32_e32 v21, v19
	s_xor_b32 exec_lo, exec_lo, s9
	s_cbranch_execz .LBB83_158
; %bb.157:
	ds_read_u8 v21, v16 offset:1
	s_waitcnt lgkmcnt(1)
	v_mov_b32_e32 v20, v18
.LBB83_158:
	s_or_b32 exec_lo, exec_lo, s9
	v_add_nc_u32_e32 v16, 1, v10
	v_add_nc_u32_e32 v17, 1, v15
	s_waitcnt lgkmcnt(0)
	v_cmp_lt_i16_sdwa s10, sext(v21), sext(v20) src0_sel:BYTE_0 src1_sel:BYTE_0
                                        ; implicit-def: $vgpr22
	v_cndmask_b32_e64 v16, v16, v10, s8
	v_cndmask_b32_e64 v17, v15, v17, s8
	v_cmp_ge_i32_e32 vcc_lo, v16, v14
	v_cmp_lt_i32_e64 s9, v17, v0
	s_or_b32 s10, vcc_lo, s10
	s_and_b32 vcc_lo, s9, s10
	s_xor_b32 s9, vcc_lo, -1
	s_and_saveexec_b32 s10, s9
	s_xor_b32 s9, exec_lo, s10
; %bb.159:
	v_add_nc_u32_e32 v22, v4, v16
	ds_read_u8 v22, v22 offset:1
; %bb.160:
	s_or_saveexec_b32 s9, s9
	v_mov_b32_e32 v23, v21
	s_xor_b32 exec_lo, exec_lo, s9
	s_cbranch_execz .LBB83_162
; %bb.161:
	s_waitcnt lgkmcnt(0)
	v_add_nc_u32_e32 v22, v4, v17
	ds_read_u8 v23, v22 offset:1
	v_mov_b32_e32 v22, v20
.LBB83_162:
	s_or_b32 exec_lo, exec_lo, s9
	v_add_nc_u32_e32 v24, 1, v16
	v_add_nc_u32_e32 v25, 1, v17
	s_waitcnt lgkmcnt(0)
	v_cmp_lt_i16_sdwa s11, sext(v23), sext(v22) src0_sel:BYTE_0 src1_sel:BYTE_0
                                        ; implicit-def: $vgpr26
	v_cndmask_b32_e32 v24, v24, v16, vcc_lo
	v_cndmask_b32_e32 v25, v17, v25, vcc_lo
	v_cmp_ge_i32_e64 s9, v24, v14
	v_cmp_lt_i32_e64 s10, v25, v0
	s_or_b32 s9, s9, s11
	s_and_b32 s9, s10, s9
	s_xor_b32 s10, s9, -1
	s_and_saveexec_b32 s11, s10
	s_xor_b32 s10, exec_lo, s11
; %bb.163:
	v_add_nc_u32_e32 v26, v4, v24
	ds_read_u8 v26, v26 offset:1
; %bb.164:
	s_or_saveexec_b32 s10, s10
	v_mov_b32_e32 v27, v23
	s_xor_b32 exec_lo, exec_lo, s10
	s_cbranch_execz .LBB83_166
; %bb.165:
	s_waitcnt lgkmcnt(0)
	v_add_nc_u32_e32 v26, v4, v25
	ds_read_u8 v27, v26 offset:1
	v_mov_b32_e32 v26, v22
.LBB83_166:
	s_or_b32 exec_lo, exec_lo, s10
	v_add_nc_u32_e32 v28, 1, v24
	v_add_nc_u32_e32 v29, 1, v25
	s_waitcnt lgkmcnt(0)
	v_cmp_lt_i16_sdwa s12, sext(v27), sext(v26) src0_sel:BYTE_0 src1_sel:BYTE_0
                                        ; implicit-def: $vgpr30
	v_cndmask_b32_e64 v28, v28, v24, s9
	v_cndmask_b32_e64 v29, v25, v29, s9
	v_cmp_ge_i32_e64 s10, v28, v14
	v_cmp_lt_i32_e64 s11, v29, v0
	s_or_b32 s10, s10, s12
	s_and_b32 s10, s11, s10
	s_xor_b32 s11, s10, -1
	s_and_saveexec_b32 s12, s11
	s_xor_b32 s11, exec_lo, s12
; %bb.167:
	v_add_nc_u32_e32 v30, v4, v28
	ds_read_u8 v30, v30 offset:1
; %bb.168:
	s_or_saveexec_b32 s11, s11
	v_mov_b32_e32 v31, v27
	s_xor_b32 exec_lo, exec_lo, s11
	s_cbranch_execz .LBB83_170
; %bb.169:
	s_waitcnt lgkmcnt(0)
	v_add_nc_u32_e32 v30, v4, v29
	ds_read_u8 v31, v30 offset:1
	v_mov_b32_e32 v30, v26
.LBB83_170:
	s_or_b32 exec_lo, exec_lo, s11
	v_add_nc_u32_e32 v32, 1, v28
	v_add_nc_u32_e32 v33, 1, v29
	s_waitcnt lgkmcnt(0)
	v_cmp_lt_i16_sdwa s13, sext(v31), sext(v30) src0_sel:BYTE_0 src1_sel:BYTE_0
                                        ; implicit-def: $vgpr34
	v_cndmask_b32_e64 v32, v32, v28, s10
	v_cndmask_b32_e64 v33, v29, v33, s10
	v_cmp_ge_i32_e64 s11, v32, v14
	v_cmp_lt_i32_e64 s12, v33, v0
	s_or_b32 s11, s11, s13
	s_and_b32 s11, s12, s11
	s_xor_b32 s12, s11, -1
	s_and_saveexec_b32 s13, s12
	s_xor_b32 s12, exec_lo, s13
; %bb.171:
	v_add_nc_u32_e32 v34, v4, v32
	ds_read_u8 v34, v34 offset:1
; %bb.172:
	s_or_saveexec_b32 s12, s12
	v_mov_b32_e32 v35, v31
	s_xor_b32 exec_lo, exec_lo, s12
	s_cbranch_execz .LBB83_174
; %bb.173:
	s_waitcnt lgkmcnt(0)
	v_add_nc_u32_e32 v34, v4, v33
	ds_read_u8 v35, v34 offset:1
	v_mov_b32_e32 v34, v30
.LBB83_174:
	s_or_b32 exec_lo, exec_lo, s12
	v_add_nc_u32_e32 v36, 1, v32
	v_add_nc_u32_e32 v38, 1, v33
	s_waitcnt lgkmcnt(0)
	v_cmp_lt_i16_sdwa s14, sext(v35), sext(v34) src0_sel:BYTE_0 src1_sel:BYTE_0
                                        ; implicit-def: $vgpr42
	v_cndmask_b32_e64 v37, v36, v32, s11
	v_cndmask_b32_e64 v38, v33, v38, s11
	v_cmp_ge_i32_e64 s12, v37, v14
	v_cmp_lt_i32_e64 s13, v38, v0
	s_or_b32 s12, s12, s14
	s_and_b32 s12, s13, s12
	s_xor_b32 s13, s12, -1
	s_and_saveexec_b32 s14, s13
	s_xor_b32 s13, exec_lo, s14
; %bb.175:
	v_add_nc_u32_e32 v36, v4, v37
	ds_read_u8 v42, v36 offset:1
; %bb.176:
	s_or_saveexec_b32 s13, s13
	v_mov_b32_e32 v44, v35
	s_xor_b32 exec_lo, exec_lo, s13
	s_cbranch_execz .LBB83_178
; %bb.177:
	v_add_nc_u32_e32 v36, v4, v38
	s_waitcnt lgkmcnt(0)
	v_mov_b32_e32 v42, v34
	ds_read_u8 v44, v36 offset:1
.LBB83_178:
	s_or_b32 exec_lo, exec_lo, s13
	v_add_nc_u32_e32 v36, 1, v37
	v_add_nc_u32_e32 v39, 1, v38
	s_waitcnt lgkmcnt(0)
	v_cmp_lt_i16_sdwa s15, sext(v44), sext(v42) src0_sel:BYTE_0 src1_sel:BYTE_0
                                        ; implicit-def: $vgpr41
	v_cndmask_b32_e64 v45, v36, v37, s12
	v_cndmask_b32_e64 v36, v38, v39, s12
                                        ; implicit-def: $vgpr39
	v_cmp_ge_i32_e64 s13, v45, v14
	v_cmp_lt_i32_e64 s14, v36, v0
	s_or_b32 s13, s13, s15
	s_and_b32 s13, s14, s13
	s_xor_b32 s14, s13, -1
	s_and_saveexec_b32 s15, s14
	s_xor_b32 s14, exec_lo, s15
; %bb.179:
	v_add_nc_u32_e32 v39, v4, v45
	ds_read_u8 v41, v39 offset:1
	v_add_nc_u32_e32 v39, 1, v45
; %bb.180:
	s_or_saveexec_b32 s14, s14
	v_mov_b32_e32 v40, v45
	v_mov_b32_e32 v43, v44
	s_xor_b32 exec_lo, exec_lo, s14
	s_cbranch_execz .LBB83_182
; %bb.181:
	v_add_nc_u32_e32 v39, v4, v36
	s_waitcnt lgkmcnt(0)
	v_add_nc_u32_e32 v41, 1, v36
	v_mov_b32_e32 v40, v36
	ds_read_u8 v43, v39 offset:1
	v_mov_b32_e32 v39, v45
	v_mov_b32_e32 v36, v41
	;; [unrolled: 1-line block ×3, first 2 shown]
.LBB83_182:
	s_or_b32 exec_lo, exec_lo, s14
	v_perm_b32 v7, v7, v11, 0xc0c0004
	v_perm_b32 v11, v12, v13, 0xc0c0004
	;; [unrolled: 1-line block ×4, first 2 shown]
	v_cndmask_b32_e64 v6, v10, v15, s8
	v_cndmask_b32_e64 v18, v18, v19, s8
	v_cmp_lt_i32_e64 s8, v36, v0
	v_lshl_or_b32 v1, v11, 16, v7
	v_lshl_or_b32 v0, v5, 16, v3
	v_add_nc_u32_e32 v3, v4, v6
	; wave barrier
	v_cndmask_b32_sdwa v19, v20, v21, vcc_lo dst_sel:BYTE_1 dst_unused:UNUSED_PAD src0_sel:DWORD src1_sel:DWORD
	ds_write_b64 v2, v[0:1]
	; wave barrier
	ds_read_u8 v0, v3
	v_cndmask_b32_e64 v20, v22, v23, s9
	v_cndmask_b32_e64 v21, v26, v27, s10
	;; [unrolled: 1-line block ×4, first 2 shown]
	v_cmp_ge_i32_e64 s9, v39, v14
	s_waitcnt lgkmcnt(2)
	v_cmp_lt_i16_sdwa s10, sext(v43), sext(v41) src0_sel:BYTE_0 src1_sel:BYTE_0
	v_cndmask_b32_e64 v22, v30, v31, s11
	v_cndmask_b32_e64 v30, v32, v33, s11
	v_cndmask_b32_e32 v1, v16, v17, vcc_lo
	v_cndmask_b32_e64 v27, v37, v38, s12
	s_or_b32 s9, s9, s10
	v_add_nc_u32_e32 v6, v4, v24
	s_and_b32 vcc_lo, s8, s9
	v_add_nc_u32_e32 v7, v4, v30
	v_cndmask_b32_e32 v5, v39, v36, vcc_lo
	v_add_nc_u32_e32 v1, v4, v1
	v_add_nc_u32_e32 v10, v4, v28
	v_cndmask_b32_e64 v23, v34, v35, s12
	v_cndmask_b32_e32 v2, v41, v43, vcc_lo
	v_lshlrev_b16 v3, 8, v21
	v_add_nc_u32_e32 v11, v4, v27
	v_add_nc_u32_e32 v12, v4, v40
	;; [unrolled: 1-line block ×3, first 2 shown]
	s_waitcnt lgkmcnt(0)
	v_add_nc_u16 v0, v0, v18
	ds_read_u8 v5, v7
	ds_read_u8 v1, v1
	;; [unrolled: 1-line block ×7, first 2 shown]
	v_cndmask_b32_e64 v26, v42, v44, s13
	v_lshlrev_b16 v12, 8, v23
	v_lshlrev_b16 v2, 8, v2
	v_or_b32_sdwa v13, v18, v19 dst_sel:DWORD dst_unused:UNUSED_PAD src0_sel:BYTE_0 src1_sel:DWORD
	v_or_b32_sdwa v3, v20, v3 dst_sel:WORD_1 dst_unused:UNUSED_PAD src0_sel:BYTE_0 src1_sel:DWORD
	v_or_b32_sdwa v0, v0, v19 dst_sel:DWORD dst_unused:UNUSED_PAD src0_sel:BYTE_0 src1_sel:DWORD
	v_or_b32_sdwa v12, v22, v12 dst_sel:DWORD dst_unused:UNUSED_PAD src0_sel:BYTE_0 src1_sel:DWORD
	v_or_b32_sdwa v2, v26, v2 dst_sel:WORD_1 dst_unused:UNUSED_PAD src0_sel:BYTE_0 src1_sel:DWORD
	v_or_b32_sdwa v13, v13, v3 dst_sel:DWORD dst_unused:UNUSED_PAD src0_sel:WORD_0 src1_sel:DWORD
	v_or_b32_sdwa v0, v0, v3 dst_sel:DWORD dst_unused:UNUSED_PAD src0_sel:WORD_0 src1_sel:DWORD
	v_or_b32_sdwa v2, v12, v2 dst_sel:DWORD dst_unused:UNUSED_PAD src0_sel:WORD_0 src1_sel:DWORD
	s_waitcnt lgkmcnt(6)
	v_add_nc_u16 v3, v12, v5
	v_cndmask_b32_e64 v0, v13, v0, s0
	v_perm_b32 v3, v3, v2, 0x3020104
	v_lshrrev_b32_e32 v5, 8, v0
	v_cndmask_b32_e64 v2, v2, v3, s4
	s_waitcnt lgkmcnt(5)
	v_add_nc_u16 v1, v5, v1
	v_mov_b32_e32 v5, 0xff
	v_lshrrev_b32_e32 v3, 8, v2
	v_lshlrev_b16 v1, 8, v1
	s_waitcnt lgkmcnt(2)
	v_add_nc_u16 v3, v3, v10
	v_or_b32_sdwa v1, v0, v1 dst_sel:DWORD dst_unused:UNUSED_PAD src0_sel:BYTE_0 src1_sel:DWORD
	v_lshlrev_b16 v3, 8, v3
	v_and_b32_e32 v1, 0xffff, v1
	v_or_b32_sdwa v3, v2, v3 dst_sel:DWORD dst_unused:UNUSED_PAD src0_sel:BYTE_0 src1_sel:DWORD
	v_and_or_b32 v1, 0xffff0000, v0, v1
	v_and_b32_e32 v3, 0xffff, v3
	v_cndmask_b32_e64 v0, v0, v1, s1
	v_and_or_b32 v1, 0xffff0000, v2, v3
	v_lshrrev_b32_e32 v3, 16, v0
	v_cndmask_b32_e64 v1, v2, v1, s5
	v_add_nc_u16 v2, v3, v6
	v_lshrrev_b32_e32 v3, 16, v1
	v_perm_b32 v2, v2, v0, 0xc0c0304
	s_waitcnt lgkmcnt(1)
	v_add_nc_u16 v3, v3, v11
	v_lshlrev_b32_e32 v2, 16, v2
	v_perm_b32 v3, v1, v3, 0x7000504
	v_and_or_b32 v2, 0xffff, v0, v2
	v_cndmask_b32_e64 v1, v1, v3, s6
	v_cndmask_b32_e64 v0, v0, v2, s2
	v_lshrrev_b32_e32 v2, 24, v1
	v_lshrrev_b32_e32 v3, 24, v0
	s_waitcnt lgkmcnt(0)
	v_add_nc_u16 v2, v2, v4
	v_and_b32_sdwa v4, v1, v5 dst_sel:DWORD dst_unused:UNUSED_PAD src0_sel:WORD_1 src1_sel:DWORD
	v_add_nc_u16 v3, v3, v7
	v_and_b32_sdwa v5, v0, v5 dst_sel:DWORD dst_unused:UNUSED_PAD src0_sel:WORD_1 src1_sel:DWORD
	v_lshlrev_b16 v2, 8, v2
	v_lshlrev_b16 v3, 8, v3
	v_or_b32_sdwa v2, v4, v2 dst_sel:WORD_1 dst_unused:UNUSED_PAD src0_sel:DWORD src1_sel:DWORD
	v_add_co_u32 v4, s8, s18, v9
	v_or_b32_sdwa v3, v5, v3 dst_sel:WORD_1 dst_unused:UNUSED_PAD src0_sel:DWORD src1_sel:DWORD
	v_add_co_ci_u32_e64 v5, null, s19, 0, s8
	v_and_or_b32 v2, 0xffff, v1, v2
	v_and_or_b32 v3, 0xffff, v0, v3
	v_cndmask_b32_e64 v2, v1, v2, s7
	v_cndmask_b32_e64 v3, v0, v3, s3
	v_add_co_u32 v0, vcc_lo, v4, v8
	v_add_co_ci_u32_e64 v1, null, 0, v5, vcc_lo
	s_and_saveexec_b32 s8, s0
	s_cbranch_execnz .LBB83_191
; %bb.183:
	s_or_b32 exec_lo, exec_lo, s8
	s_and_saveexec_b32 s0, s1
	s_cbranch_execnz .LBB83_192
.LBB83_184:
	s_or_b32 exec_lo, exec_lo, s0
	s_and_saveexec_b32 s0, s2
	s_cbranch_execnz .LBB83_193
.LBB83_185:
	s_or_b32 exec_lo, exec_lo, s0
	s_and_saveexec_b32 s0, s3
	s_cbranch_execnz .LBB83_194
.LBB83_186:
	s_or_b32 exec_lo, exec_lo, s0
	s_and_saveexec_b32 s0, s4
	s_cbranch_execnz .LBB83_195
.LBB83_187:
	s_or_b32 exec_lo, exec_lo, s0
	s_and_saveexec_b32 s0, s5
	s_cbranch_execnz .LBB83_196
.LBB83_188:
	s_or_b32 exec_lo, exec_lo, s0
	s_and_saveexec_b32 s0, s6
	s_cbranch_execnz .LBB83_197
.LBB83_189:
	s_or_b32 exec_lo, exec_lo, s0
	s_and_saveexec_b32 s0, s7
	s_cbranch_execnz .LBB83_198
.LBB83_190:
	s_endpgm
.LBB83_191:
	global_store_byte v[0:1], v3, off
	s_or_b32 exec_lo, exec_lo, s8
	s_and_saveexec_b32 s0, s1
	s_cbranch_execz .LBB83_184
.LBB83_192:
	v_lshrrev_b32_e32 v4, 8, v3
	global_store_byte v[0:1], v4, off offset:1
	s_or_b32 exec_lo, exec_lo, s0
	s_and_saveexec_b32 s0, s2
	s_cbranch_execz .LBB83_185
.LBB83_193:
	global_store_byte_d16_hi v[0:1], v3, off offset:2
	s_or_b32 exec_lo, exec_lo, s0
	s_and_saveexec_b32 s0, s3
	s_cbranch_execz .LBB83_186
.LBB83_194:
	v_lshrrev_b32_e32 v3, 24, v3
	global_store_byte v[0:1], v3, off offset:3
	s_or_b32 exec_lo, exec_lo, s0
	s_and_saveexec_b32 s0, s4
	s_cbranch_execz .LBB83_187
.LBB83_195:
	global_store_byte v[0:1], v2, off offset:4
	s_or_b32 exec_lo, exec_lo, s0
	s_and_saveexec_b32 s0, s5
	s_cbranch_execz .LBB83_188
.LBB83_196:
	v_lshrrev_b32_e32 v3, 8, v2
	global_store_byte v[0:1], v3, off offset:5
	s_or_b32 exec_lo, exec_lo, s0
	s_and_saveexec_b32 s0, s6
	s_cbranch_execz .LBB83_189
.LBB83_197:
	global_store_byte_d16_hi v[0:1], v2, off offset:6
	s_or_b32 exec_lo, exec_lo, s0
	s_and_saveexec_b32 s0, s7
	s_cbranch_execz .LBB83_190
.LBB83_198:
	v_lshrrev_b32_e32 v2, 24, v2
	global_store_byte v[0:1], v2, off offset:7
	s_endpgm
	.section	.rodata,"a",@progbits
	.p2align	6, 0x0
	.amdhsa_kernel _Z20sort_pairs_segmentedILj256ELj32ELj8EaN10test_utils4lessEEvPKT2_PS2_PKjT3_
		.amdhsa_group_segment_fixed_size 2056
		.amdhsa_private_segment_fixed_size 0
		.amdhsa_kernarg_size 28
		.amdhsa_user_sgpr_count 6
		.amdhsa_user_sgpr_private_segment_buffer 1
		.amdhsa_user_sgpr_dispatch_ptr 0
		.amdhsa_user_sgpr_queue_ptr 0
		.amdhsa_user_sgpr_kernarg_segment_ptr 1
		.amdhsa_user_sgpr_dispatch_id 0
		.amdhsa_user_sgpr_flat_scratch_init 0
		.amdhsa_user_sgpr_private_segment_size 0
		.amdhsa_wavefront_size32 1
		.amdhsa_uses_dynamic_stack 0
		.amdhsa_system_sgpr_private_segment_wavefront_offset 0
		.amdhsa_system_sgpr_workgroup_id_x 1
		.amdhsa_system_sgpr_workgroup_id_y 0
		.amdhsa_system_sgpr_workgroup_id_z 0
		.amdhsa_system_sgpr_workgroup_info 0
		.amdhsa_system_vgpr_workitem_id 0
		.amdhsa_next_free_vgpr 47
		.amdhsa_next_free_sgpr 20
		.amdhsa_reserve_vcc 1
		.amdhsa_reserve_flat_scratch 0
		.amdhsa_float_round_mode_32 0
		.amdhsa_float_round_mode_16_64 0
		.amdhsa_float_denorm_mode_32 3
		.amdhsa_float_denorm_mode_16_64 3
		.amdhsa_dx10_clamp 1
		.amdhsa_ieee_mode 1
		.amdhsa_fp16_overflow 0
		.amdhsa_workgroup_processor_mode 1
		.amdhsa_memory_ordered 1
		.amdhsa_forward_progress 1
		.amdhsa_shared_vgpr_count 0
		.amdhsa_exception_fp_ieee_invalid_op 0
		.amdhsa_exception_fp_denorm_src 0
		.amdhsa_exception_fp_ieee_div_zero 0
		.amdhsa_exception_fp_ieee_overflow 0
		.amdhsa_exception_fp_ieee_underflow 0
		.amdhsa_exception_fp_ieee_inexact 0
		.amdhsa_exception_int_div_zero 0
	.end_amdhsa_kernel
	.section	.text._Z20sort_pairs_segmentedILj256ELj32ELj8EaN10test_utils4lessEEvPKT2_PS2_PKjT3_,"axG",@progbits,_Z20sort_pairs_segmentedILj256ELj32ELj8EaN10test_utils4lessEEvPKT2_PS2_PKjT3_,comdat
.Lfunc_end83:
	.size	_Z20sort_pairs_segmentedILj256ELj32ELj8EaN10test_utils4lessEEvPKT2_PS2_PKjT3_, .Lfunc_end83-_Z20sort_pairs_segmentedILj256ELj32ELj8EaN10test_utils4lessEEvPKT2_PS2_PKjT3_
                                        ; -- End function
	.set _Z20sort_pairs_segmentedILj256ELj32ELj8EaN10test_utils4lessEEvPKT2_PS2_PKjT3_.num_vgpr, 47
	.set _Z20sort_pairs_segmentedILj256ELj32ELj8EaN10test_utils4lessEEvPKT2_PS2_PKjT3_.num_agpr, 0
	.set _Z20sort_pairs_segmentedILj256ELj32ELj8EaN10test_utils4lessEEvPKT2_PS2_PKjT3_.numbered_sgpr, 20
	.set _Z20sort_pairs_segmentedILj256ELj32ELj8EaN10test_utils4lessEEvPKT2_PS2_PKjT3_.num_named_barrier, 0
	.set _Z20sort_pairs_segmentedILj256ELj32ELj8EaN10test_utils4lessEEvPKT2_PS2_PKjT3_.private_seg_size, 0
	.set _Z20sort_pairs_segmentedILj256ELj32ELj8EaN10test_utils4lessEEvPKT2_PS2_PKjT3_.uses_vcc, 1
	.set _Z20sort_pairs_segmentedILj256ELj32ELj8EaN10test_utils4lessEEvPKT2_PS2_PKjT3_.uses_flat_scratch, 0
	.set _Z20sort_pairs_segmentedILj256ELj32ELj8EaN10test_utils4lessEEvPKT2_PS2_PKjT3_.has_dyn_sized_stack, 0
	.set _Z20sort_pairs_segmentedILj256ELj32ELj8EaN10test_utils4lessEEvPKT2_PS2_PKjT3_.has_recursion, 0
	.set _Z20sort_pairs_segmentedILj256ELj32ELj8EaN10test_utils4lessEEvPKT2_PS2_PKjT3_.has_indirect_call, 0
	.section	.AMDGPU.csdata,"",@progbits
; Kernel info:
; codeLenInByte = 11340
; TotalNumSgprs: 22
; NumVgprs: 47
; ScratchSize: 0
; MemoryBound: 0
; FloatMode: 240
; IeeeMode: 1
; LDSByteSize: 2056 bytes/workgroup (compile time only)
; SGPRBlocks: 0
; VGPRBlocks: 5
; NumSGPRsForWavesPerEU: 22
; NumVGPRsForWavesPerEU: 47
; Occupancy: 16
; WaveLimiterHint : 0
; COMPUTE_PGM_RSRC2:SCRATCH_EN: 0
; COMPUTE_PGM_RSRC2:USER_SGPR: 6
; COMPUTE_PGM_RSRC2:TRAP_HANDLER: 0
; COMPUTE_PGM_RSRC2:TGID_X_EN: 1
; COMPUTE_PGM_RSRC2:TGID_Y_EN: 0
; COMPUTE_PGM_RSRC2:TGID_Z_EN: 0
; COMPUTE_PGM_RSRC2:TIDIG_COMP_CNT: 0
	.section	.text._Z9sort_keysILj256ELj64ELj1EaN10test_utils4lessEEvPKT2_PS2_T3_,"axG",@progbits,_Z9sort_keysILj256ELj64ELj1EaN10test_utils4lessEEvPKT2_PS2_T3_,comdat
	.protected	_Z9sort_keysILj256ELj64ELj1EaN10test_utils4lessEEvPKT2_PS2_T3_ ; -- Begin function _Z9sort_keysILj256ELj64ELj1EaN10test_utils4lessEEvPKT2_PS2_T3_
	.globl	_Z9sort_keysILj256ELj64ELj1EaN10test_utils4lessEEvPKT2_PS2_T3_
	.p2align	8
	.type	_Z9sort_keysILj256ELj64ELj1EaN10test_utils4lessEEvPKT2_PS2_T3_,@function
_Z9sort_keysILj256ELj64ELj1EaN10test_utils4lessEEvPKT2_PS2_T3_: ; @_Z9sort_keysILj256ELj64ELj1EaN10test_utils4lessEEvPKT2_PS2_T3_
; %bb.0:
	s_load_dwordx4 s[0:3], s[4:5], 0x0
	s_lshl_b32 s4, s6, 8
	v_mbcnt_lo_u32_b32 v1, -1, 0
	v_lshrrev_b32_e32 v9, 6, v0
	v_and_b32_e32 v3, 30, v1
	v_and_b32_e32 v4, 1, v1
	v_mad_u32_u24 v10, 0x41, v9, v1
	v_or_b32_e32 v5, 1, v3
	v_add_nc_u32_e32 v2, -1, v4
	v_cmp_lt_i32_e32 vcc_lo, 0, v4
	v_sub_nc_u32_e32 v7, v5, v3
	v_cndmask_b32_e32 v6, 0, v2, vcc_lo
	s_waitcnt lgkmcnt(0)
	s_add_u32 s0, s0, s4
	s_addc_u32 s1, s1, 0
	v_min_i32_e32 v7, v4, v7
	global_load_ubyte v8, v0, s[0:1]
	v_mul_u32_u24_e32 v2, 0x41, v9
	s_mov_b32 s0, 0
	s_mov_b32 s1, exec_lo
	; wave barrier
	s_waitcnt vmcnt(0)
	ds_write_b8 v10, v8
	; wave barrier
	v_cmpx_lt_i32_e64 v6, v7
	s_cbranch_execz .LBB84_4
; %bb.1:
	v_add_nc_u32_e32 v8, v2, v3
	v_add3_u32 v9, v2, v5, v4
	.p2align	6
.LBB84_2:                               ; =>This Inner Loop Header: Depth=1
	v_sub_nc_u32_e32 v10, v7, v6
	v_lshrrev_b32_e32 v10, 1, v10
	v_add_nc_u32_e32 v10, v10, v6
	v_add_nc_u32_e32 v11, v8, v10
	v_xad_u32 v12, v10, -1, v9
	v_add_nc_u32_e32 v13, 1, v10
	ds_read_i8 v11, v11
	ds_read_i8 v12, v12
	s_waitcnt lgkmcnt(0)
	v_cmp_lt_i16_e32 vcc_lo, v12, v11
	v_cndmask_b32_e32 v7, v7, v10, vcc_lo
	v_cndmask_b32_e32 v6, v13, v6, vcc_lo
	v_cmp_ge_i32_e32 vcc_lo, v6, v7
	s_or_b32 s0, vcc_lo, s0
	s_andn2_b32 exec_lo, exec_lo, s0
	s_cbranch_execnz .LBB84_2
; %bb.3:
	s_or_b32 exec_lo, exec_lo, s0
.LBB84_4:
	s_or_b32 exec_lo, exec_lo, s1
	v_add_nc_u32_e32 v4, v5, v4
	v_add_nc_u32_e32 v3, v6, v3
	v_and_b32_e32 v7, 28, v1
	v_and_b32_e32 v8, 3, v1
	v_sub_nc_u32_e32 v9, v4, v6
	v_add_nc_u32_e32 v4, v2, v3
	v_cmp_le_i32_e32 vcc_lo, v5, v3
	v_add_nc_u32_e32 v3, v2, v1
	v_add_nc_u32_e32 v6, v2, v9
	v_cmp_ge_i32_e64 s0, v5, v9
	ds_read_u8 v10, v4
	ds_read_u8 v11, v6
	v_or_b32_e32 v6, 2, v7
	v_add_nc_u32_e32 v4, 4, v7
	; wave barrier
	v_sub_nc_u32_e32 v13, v6, v7
	v_sub_nc_u32_e32 v12, v4, v6
	v_min_i32_e32 v9, v8, v13
	v_sub_nc_u32_e32 v14, v8, v12
	s_waitcnt lgkmcnt(0)
	v_cmp_lt_i16_sdwa s1, sext(v11), sext(v10) src0_sel:BYTE_0 src1_sel:BYTE_0
	s_or_b32 s1, vcc_lo, s1
	v_cmp_ge_i32_e32 vcc_lo, v8, v12
	v_cndmask_b32_e32 v5, 0, v14, vcc_lo
	s_and_b32 vcc_lo, s0, s1
	s_mov_b32 s0, 0
	v_cndmask_b32_e32 v10, v10, v11, vcc_lo
	s_mov_b32 s1, exec_lo
	ds_write_b8 v3, v10
	; wave barrier
	v_cmpx_lt_i32_e64 v5, v9
	s_cbranch_execz .LBB84_8
; %bb.5:
	v_add_nc_u32_e32 v10, v2, v7
	v_add3_u32 v11, v2, v6, v8
	.p2align	6
.LBB84_6:                               ; =>This Inner Loop Header: Depth=1
	v_sub_nc_u32_e32 v12, v9, v5
	v_lshrrev_b32_e32 v12, 1, v12
	v_add_nc_u32_e32 v12, v12, v5
	v_add_nc_u32_e32 v13, v10, v12
	v_xad_u32 v14, v12, -1, v11
	v_add_nc_u32_e32 v15, 1, v12
	ds_read_i8 v13, v13
	ds_read_i8 v14, v14
	s_waitcnt lgkmcnt(0)
	v_cmp_lt_i16_e32 vcc_lo, v14, v13
	v_cndmask_b32_e32 v9, v9, v12, vcc_lo
	v_cndmask_b32_e32 v5, v15, v5, vcc_lo
	v_cmp_ge_i32_e32 vcc_lo, v5, v9
	s_or_b32 s0, vcc_lo, s0
	s_andn2_b32 exec_lo, exec_lo, s0
	s_cbranch_execnz .LBB84_6
; %bb.7:
	s_or_b32 exec_lo, exec_lo, s0
.LBB84_8:
	s_or_b32 exec_lo, exec_lo, s1
	v_add_nc_u32_e32 v8, v6, v8
	v_add_nc_u32_e32 v10, v5, v7
	v_and_b32_e32 v9, 7, v1
	v_sub_nc_u32_e32 v11, v8, v5
	v_add_nc_u32_e32 v5, v2, v10
	v_and_b32_e32 v8, 24, v1
	v_cmp_le_i32_e32 vcc_lo, v6, v10
	v_add_nc_u32_e32 v7, v2, v11
	v_cmp_gt_i32_e64 s0, v4, v11
	ds_read_u8 v12, v5
	ds_read_u8 v13, v7
	v_or_b32_e32 v7, 4, v8
	v_add_nc_u32_e32 v5, 8, v8
	; wave barrier
	v_sub_nc_u32_e32 v6, v7, v8
	v_sub_nc_u32_e32 v14, v5, v7
	v_min_i32_e32 v6, v9, v6
	v_sub_nc_u32_e32 v10, v9, v14
	s_waitcnt lgkmcnt(0)
	v_cmp_lt_i16_sdwa s1, sext(v13), sext(v12) src0_sel:BYTE_0 src1_sel:BYTE_0
	s_or_b32 s1, vcc_lo, s1
	v_cmp_ge_i32_e32 vcc_lo, v9, v14
	v_cndmask_b32_e32 v4, 0, v10, vcc_lo
	s_and_b32 vcc_lo, s0, s1
	s_mov_b32 s0, 0
	v_cndmask_b32_e32 v10, v12, v13, vcc_lo
	s_mov_b32 s1, exec_lo
	ds_write_b8 v3, v10
	; wave barrier
	v_cmpx_lt_i32_e64 v4, v6
	s_cbranch_execz .LBB84_12
; %bb.9:
	v_add_nc_u32_e32 v10, v2, v8
	v_add3_u32 v11, v2, v7, v9
	.p2align	6
.LBB84_10:                              ; =>This Inner Loop Header: Depth=1
	v_sub_nc_u32_e32 v12, v6, v4
	v_lshrrev_b32_e32 v12, 1, v12
	v_add_nc_u32_e32 v12, v12, v4
	v_add_nc_u32_e32 v13, v10, v12
	v_xad_u32 v14, v12, -1, v11
	v_add_nc_u32_e32 v15, 1, v12
	ds_read_i8 v13, v13
	ds_read_i8 v14, v14
	s_waitcnt lgkmcnt(0)
	v_cmp_lt_i16_e32 vcc_lo, v14, v13
	v_cndmask_b32_e32 v6, v6, v12, vcc_lo
	v_cndmask_b32_e32 v4, v15, v4, vcc_lo
	v_cmp_ge_i32_e32 vcc_lo, v4, v6
	s_or_b32 s0, vcc_lo, s0
	s_andn2_b32 exec_lo, exec_lo, s0
	s_cbranch_execnz .LBB84_10
; %bb.11:
	s_or_b32 exec_lo, exec_lo, s0
.LBB84_12:
	s_or_b32 exec_lo, exec_lo, s1
	v_add_nc_u32_e32 v6, v7, v9
	v_add_nc_u32_e32 v10, v4, v8
	v_and_b32_e32 v8, 16, v1
	v_and_b32_e32 v9, 15, v1
	v_sub_nc_u32_e32 v11, v6, v4
	v_add_nc_u32_e32 v4, v2, v10
	v_cmp_le_i32_e32 vcc_lo, v7, v10
	v_add_nc_u32_e32 v6, v2, v11
	v_cmp_gt_i32_e64 s0, v5, v11
	ds_read_u8 v12, v4
	ds_read_u8 v13, v6
	v_or_b32_e32 v6, 8, v8
	v_add_nc_u32_e32 v4, 16, v8
	; wave barrier
	v_sub_nc_u32_e32 v7, v6, v8
	v_sub_nc_u32_e32 v14, v4, v6
	v_min_i32_e32 v7, v9, v7
	v_sub_nc_u32_e32 v10, v9, v14
	s_waitcnt lgkmcnt(0)
	v_cmp_lt_i16_sdwa s1, sext(v13), sext(v12) src0_sel:BYTE_0 src1_sel:BYTE_0
	s_or_b32 s1, vcc_lo, s1
	v_cmp_ge_i32_e32 vcc_lo, v9, v14
	v_cndmask_b32_e32 v5, 0, v10, vcc_lo
	s_and_b32 vcc_lo, s0, s1
	s_mov_b32 s0, 0
	v_cndmask_b32_e32 v10, v12, v13, vcc_lo
	s_mov_b32 s1, exec_lo
	ds_write_b8 v3, v10
	; wave barrier
	v_cmpx_lt_i32_e64 v5, v7
	s_cbranch_execz .LBB84_16
; %bb.13:
	v_add_nc_u32_e32 v10, v2, v8
	v_add3_u32 v11, v2, v6, v9
	.p2align	6
.LBB84_14:                              ; =>This Inner Loop Header: Depth=1
	v_sub_nc_u32_e32 v12, v7, v5
	v_lshrrev_b32_e32 v12, 1, v12
	v_add_nc_u32_e32 v12, v12, v5
	v_add_nc_u32_e32 v13, v10, v12
	v_xad_u32 v14, v12, -1, v11
	v_add_nc_u32_e32 v15, 1, v12
	ds_read_i8 v13, v13
	ds_read_i8 v14, v14
	s_waitcnt lgkmcnt(0)
	v_cmp_lt_i16_e32 vcc_lo, v14, v13
	v_cndmask_b32_e32 v7, v7, v12, vcc_lo
	v_cndmask_b32_e32 v5, v15, v5, vcc_lo
	v_cmp_ge_i32_e32 vcc_lo, v5, v7
	s_or_b32 s0, vcc_lo, s0
	s_andn2_b32 exec_lo, exec_lo, s0
	s_cbranch_execnz .LBB84_14
; %bb.15:
	s_or_b32 exec_lo, exec_lo, s0
.LBB84_16:
	s_or_b32 exec_lo, exec_lo, s1
	v_add_nc_u32_e32 v7, v6, v9
	v_add_nc_u32_e32 v8, v5, v8
	v_add_nc_u32_e32 v11, -16, v1
	v_cmp_lt_i32_e64 s1, 15, v1
	v_sub_nc_u32_e32 v7, v7, v5
	v_add_nc_u32_e32 v5, v2, v8
	v_cmp_le_i32_e32 vcc_lo, v6, v8
	v_add_nc_u32_e32 v9, v2, v7
	v_cmp_gt_i32_e64 s0, v4, v7
	v_cndmask_b32_e64 v4, 0, v11, s1
	ds_read_u8 v10, v5
	ds_read_u8 v9, v9
	v_min_i32_e32 v5, 16, v1
	; wave barrier
	s_waitcnt lgkmcnt(0)
	v_cmp_lt_i16_sdwa s5, sext(v9), sext(v10) src0_sel:BYTE_0 src1_sel:BYTE_0
	s_or_b32 s1, vcc_lo, s5
	s_and_b32 vcc_lo, s0, s1
	s_mov_b32 s0, exec_lo
	v_cndmask_b32_e32 v6, v10, v9, vcc_lo
	ds_write_b8 v3, v6
	; wave barrier
	v_cmpx_lt_i32_e64 v4, v5
	s_cbranch_execz .LBB84_20
; %bb.17:
	v_add3_u32 v6, v2, 16, v1
	s_mov_b32 s1, 0
	.p2align	6
.LBB84_18:                              ; =>This Inner Loop Header: Depth=1
	v_sub_nc_u32_e32 v7, v5, v4
	v_lshrrev_b32_e32 v7, 1, v7
	v_add_nc_u32_e32 v7, v7, v4
	v_add_nc_u32_e32 v8, v2, v7
	v_xad_u32 v9, v7, -1, v6
	v_add_nc_u32_e32 v10, 1, v7
	ds_read_i8 v8, v8
	ds_read_i8 v9, v9
	s_waitcnt lgkmcnt(0)
	v_cmp_lt_i16_e32 vcc_lo, v9, v8
	v_cndmask_b32_e32 v5, v5, v7, vcc_lo
	v_cndmask_b32_e32 v4, v10, v4, vcc_lo
	v_cmp_ge_i32_e32 vcc_lo, v4, v5
	s_or_b32 s1, vcc_lo, s1
	s_andn2_b32 exec_lo, exec_lo, s1
	s_cbranch_execnz .LBB84_18
; %bb.19:
	s_or_b32 exec_lo, exec_lo, s1
.LBB84_20:
	s_or_b32 exec_lo, exec_lo, s0
	v_add_nc_u32_e32 v5, 16, v1
	v_add_nc_u32_e32 v6, v2, v4
	v_cmp_le_i32_e32 vcc_lo, 16, v4
	v_cmp_lt_i32_e64 s1, 31, v1
	v_sub_nc_u32_e32 v5, v5, v4
	v_or_b32_e32 v4, 0xffffffe0, v1
	v_add_nc_u32_e32 v7, v2, v5
	v_cmp_gt_i32_e64 s0, 32, v5
	v_cndmask_b32_e64 v4, 0, v4, s1
	ds_read_u8 v6, v6
	ds_read_u8 v7, v7
	; wave barrier
	s_waitcnt lgkmcnt(0)
	v_cmp_lt_i16_sdwa s5, sext(v7), sext(v6) src0_sel:BYTE_0 src1_sel:BYTE_0
	s_or_b32 s1, vcc_lo, s5
	s_and_b32 vcc_lo, s0, s1
	s_mov_b32 s0, exec_lo
	v_cndmask_b32_e32 v5, v6, v7, vcc_lo
	ds_write_b8 v3, v5
	; wave barrier
	v_cmpx_lt_i32_e64 v4, v1
	s_cbranch_execz .LBB84_24
; %bb.21:
	v_add3_u32 v3, v2, 32, v1
	v_mov_b32_e32 v5, v1
	s_mov_b32 s1, 0
	.p2align	6
.LBB84_22:                              ; =>This Inner Loop Header: Depth=1
	v_sub_nc_u32_e32 v6, v5, v4
	v_lshrrev_b32_e32 v6, 1, v6
	v_add_nc_u32_e32 v6, v6, v4
	v_add_nc_u32_e32 v7, v2, v6
	v_xad_u32 v8, v6, -1, v3
	v_add_nc_u32_e32 v9, 1, v6
	ds_read_i8 v7, v7
	ds_read_i8 v8, v8
	s_waitcnt lgkmcnt(0)
	v_cmp_lt_i16_e32 vcc_lo, v8, v7
	v_cndmask_b32_e32 v5, v5, v6, vcc_lo
	v_cndmask_b32_e32 v4, v9, v4, vcc_lo
	v_cmp_ge_i32_e32 vcc_lo, v4, v5
	s_or_b32 s1, vcc_lo, s1
	s_andn2_b32 exec_lo, exec_lo, s1
	s_cbranch_execnz .LBB84_22
; %bb.23:
	s_or_b32 exec_lo, exec_lo, s1
.LBB84_24:
	s_or_b32 exec_lo, exec_lo, s0
	v_add_nc_u32_e32 v1, 32, v1
	v_add_nc_u32_e32 v3, v2, v4
	v_cmp_le_i32_e32 vcc_lo, 32, v4
	v_sub_nc_u32_e32 v1, v1, v4
	v_add_nc_u32_e32 v2, v2, v1
	v_cmp_gt_i32_e64 s0, 64, v1
	ds_read_u8 v3, v3
	ds_read_u8 v2, v2
	s_waitcnt lgkmcnt(0)
	v_cmp_lt_i16_sdwa s1, sext(v2), sext(v3) src0_sel:BYTE_0 src1_sel:BYTE_0
	s_or_b32 s1, vcc_lo, s1
	s_and_b32 vcc_lo, s0, s1
	s_add_u32 s0, s2, s4
	s_addc_u32 s1, s3, 0
	v_add_co_u32 v0, s0, s0, v0
	v_cndmask_b32_e32 v2, v3, v2, vcc_lo
	v_add_co_ci_u32_e64 v1, null, s1, 0, s0
	global_store_byte v[0:1], v2, off
	s_endpgm
	.section	.rodata,"a",@progbits
	.p2align	6, 0x0
	.amdhsa_kernel _Z9sort_keysILj256ELj64ELj1EaN10test_utils4lessEEvPKT2_PS2_T3_
		.amdhsa_group_segment_fixed_size 260
		.amdhsa_private_segment_fixed_size 0
		.amdhsa_kernarg_size 20
		.amdhsa_user_sgpr_count 6
		.amdhsa_user_sgpr_private_segment_buffer 1
		.amdhsa_user_sgpr_dispatch_ptr 0
		.amdhsa_user_sgpr_queue_ptr 0
		.amdhsa_user_sgpr_kernarg_segment_ptr 1
		.amdhsa_user_sgpr_dispatch_id 0
		.amdhsa_user_sgpr_flat_scratch_init 0
		.amdhsa_user_sgpr_private_segment_size 0
		.amdhsa_wavefront_size32 1
		.amdhsa_uses_dynamic_stack 0
		.amdhsa_system_sgpr_private_segment_wavefront_offset 0
		.amdhsa_system_sgpr_workgroup_id_x 1
		.amdhsa_system_sgpr_workgroup_id_y 0
		.amdhsa_system_sgpr_workgroup_id_z 0
		.amdhsa_system_sgpr_workgroup_info 0
		.amdhsa_system_vgpr_workitem_id 0
		.amdhsa_next_free_vgpr 16
		.amdhsa_next_free_sgpr 7
		.amdhsa_reserve_vcc 1
		.amdhsa_reserve_flat_scratch 0
		.amdhsa_float_round_mode_32 0
		.amdhsa_float_round_mode_16_64 0
		.amdhsa_float_denorm_mode_32 3
		.amdhsa_float_denorm_mode_16_64 3
		.amdhsa_dx10_clamp 1
		.amdhsa_ieee_mode 1
		.amdhsa_fp16_overflow 0
		.amdhsa_workgroup_processor_mode 1
		.amdhsa_memory_ordered 1
		.amdhsa_forward_progress 1
		.amdhsa_shared_vgpr_count 0
		.amdhsa_exception_fp_ieee_invalid_op 0
		.amdhsa_exception_fp_denorm_src 0
		.amdhsa_exception_fp_ieee_div_zero 0
		.amdhsa_exception_fp_ieee_overflow 0
		.amdhsa_exception_fp_ieee_underflow 0
		.amdhsa_exception_fp_ieee_inexact 0
		.amdhsa_exception_int_div_zero 0
	.end_amdhsa_kernel
	.section	.text._Z9sort_keysILj256ELj64ELj1EaN10test_utils4lessEEvPKT2_PS2_T3_,"axG",@progbits,_Z9sort_keysILj256ELj64ELj1EaN10test_utils4lessEEvPKT2_PS2_T3_,comdat
.Lfunc_end84:
	.size	_Z9sort_keysILj256ELj64ELj1EaN10test_utils4lessEEvPKT2_PS2_T3_, .Lfunc_end84-_Z9sort_keysILj256ELj64ELj1EaN10test_utils4lessEEvPKT2_PS2_T3_
                                        ; -- End function
	.set _Z9sort_keysILj256ELj64ELj1EaN10test_utils4lessEEvPKT2_PS2_T3_.num_vgpr, 16
	.set _Z9sort_keysILj256ELj64ELj1EaN10test_utils4lessEEvPKT2_PS2_T3_.num_agpr, 0
	.set _Z9sort_keysILj256ELj64ELj1EaN10test_utils4lessEEvPKT2_PS2_T3_.numbered_sgpr, 7
	.set _Z9sort_keysILj256ELj64ELj1EaN10test_utils4lessEEvPKT2_PS2_T3_.num_named_barrier, 0
	.set _Z9sort_keysILj256ELj64ELj1EaN10test_utils4lessEEvPKT2_PS2_T3_.private_seg_size, 0
	.set _Z9sort_keysILj256ELj64ELj1EaN10test_utils4lessEEvPKT2_PS2_T3_.uses_vcc, 1
	.set _Z9sort_keysILj256ELj64ELj1EaN10test_utils4lessEEvPKT2_PS2_T3_.uses_flat_scratch, 0
	.set _Z9sort_keysILj256ELj64ELj1EaN10test_utils4lessEEvPKT2_PS2_T3_.has_dyn_sized_stack, 0
	.set _Z9sort_keysILj256ELj64ELj1EaN10test_utils4lessEEvPKT2_PS2_T3_.has_recursion, 0
	.set _Z9sort_keysILj256ELj64ELj1EaN10test_utils4lessEEvPKT2_PS2_T3_.has_indirect_call, 0
	.section	.AMDGPU.csdata,"",@progbits
; Kernel info:
; codeLenInByte = 1660
; TotalNumSgprs: 9
; NumVgprs: 16
; ScratchSize: 0
; MemoryBound: 0
; FloatMode: 240
; IeeeMode: 1
; LDSByteSize: 260 bytes/workgroup (compile time only)
; SGPRBlocks: 0
; VGPRBlocks: 1
; NumSGPRsForWavesPerEU: 9
; NumVGPRsForWavesPerEU: 16
; Occupancy: 16
; WaveLimiterHint : 0
; COMPUTE_PGM_RSRC2:SCRATCH_EN: 0
; COMPUTE_PGM_RSRC2:USER_SGPR: 6
; COMPUTE_PGM_RSRC2:TRAP_HANDLER: 0
; COMPUTE_PGM_RSRC2:TGID_X_EN: 1
; COMPUTE_PGM_RSRC2:TGID_Y_EN: 0
; COMPUTE_PGM_RSRC2:TGID_Z_EN: 0
; COMPUTE_PGM_RSRC2:TIDIG_COMP_CNT: 0
	.section	.text._Z10sort_pairsILj256ELj64ELj1EaN10test_utils4lessEEvPKT2_PS2_T3_,"axG",@progbits,_Z10sort_pairsILj256ELj64ELj1EaN10test_utils4lessEEvPKT2_PS2_T3_,comdat
	.protected	_Z10sort_pairsILj256ELj64ELj1EaN10test_utils4lessEEvPKT2_PS2_T3_ ; -- Begin function _Z10sort_pairsILj256ELj64ELj1EaN10test_utils4lessEEvPKT2_PS2_T3_
	.globl	_Z10sort_pairsILj256ELj64ELj1EaN10test_utils4lessEEvPKT2_PS2_T3_
	.p2align	8
	.type	_Z10sort_pairsILj256ELj64ELj1EaN10test_utils4lessEEvPKT2_PS2_T3_,@function
_Z10sort_pairsILj256ELj64ELj1EaN10test_utils4lessEEvPKT2_PS2_T3_: ; @_Z10sort_pairsILj256ELj64ELj1EaN10test_utils4lessEEvPKT2_PS2_T3_
; %bb.0:
	s_load_dwordx4 s[0:3], s[4:5], 0x0
	s_lshl_b32 s4, s6, 8
	v_mbcnt_lo_u32_b32 v2, -1, 0
	v_lshrrev_b32_e32 v9, 6, v0
	v_and_b32_e32 v5, 30, v2
	v_and_b32_e32 v6, 1, v2
	v_mad_u32_u24 v10, 0x41, v9, v2
	v_or_b32_e32 v4, 1, v5
	v_add_nc_u32_e32 v1, -1, v6
	v_cmp_lt_i32_e32 vcc_lo, 0, v6
	v_sub_nc_u32_e32 v8, v4, v5
	v_cndmask_b32_e32 v7, 0, v1, vcc_lo
	s_waitcnt lgkmcnt(0)
	s_add_u32 s0, s0, s4
	s_addc_u32 s1, s1, 0
	v_min_i32_e32 v8, v6, v8
	global_load_ubyte v3, v0, s[0:1]
	v_mul_u32_u24_e32 v1, 0x41, v9
	s_mov_b32 s0, 0
	s_mov_b32 s1, exec_lo
	; wave barrier
	s_waitcnt vmcnt(0)
	ds_write_b8 v10, v3
	; wave barrier
	v_cmpx_lt_i32_e64 v7, v8
	s_cbranch_execz .LBB85_4
; %bb.1:
	v_add_nc_u32_e32 v9, v1, v5
	v_add3_u32 v10, v1, v4, v6
	.p2align	6
.LBB85_2:                               ; =>This Inner Loop Header: Depth=1
	v_sub_nc_u32_e32 v11, v8, v7
	v_lshrrev_b32_e32 v11, 1, v11
	v_add_nc_u32_e32 v11, v11, v7
	v_add_nc_u32_e32 v12, v9, v11
	v_xad_u32 v13, v11, -1, v10
	v_add_nc_u32_e32 v14, 1, v11
	ds_read_i8 v12, v12
	ds_read_i8 v13, v13
	s_waitcnt lgkmcnt(0)
	v_cmp_lt_i16_e32 vcc_lo, v13, v12
	v_cndmask_b32_e32 v8, v8, v11, vcc_lo
	v_cndmask_b32_e32 v7, v14, v7, vcc_lo
	v_cmp_ge_i32_e32 vcc_lo, v7, v8
	s_or_b32 s0, vcc_lo, s0
	s_andn2_b32 exec_lo, exec_lo, s0
	s_cbranch_execnz .LBB85_2
; %bb.3:
	s_or_b32 exec_lo, exec_lo, s0
.LBB85_4:
	s_or_b32 exec_lo, exec_lo, s1
	v_add_nc_u32_e32 v6, v4, v6
	v_add_nc_u32_e32 v8, v7, v5
	v_sub_nc_u32_e32 v6, v6, v7
	v_add_nc_u32_e32 v5, v1, v8
	v_cmp_le_i32_e32 vcc_lo, v4, v8
	v_add_nc_u32_e32 v7, v1, v6
	v_cmp_ge_i32_e64 s0, v4, v6
	v_add_nc_u16 v4, v3, 1
	v_add_nc_u32_e32 v3, v1, v2
	ds_read_u8 v9, v5
	ds_read_u8 v7, v7
	v_and_b32_e32 v5, 28, v2
	; wave barrier
	ds_write_b8 v3, v4
	; wave barrier
	s_waitcnt lgkmcnt(1)
	v_cmp_lt_i16_sdwa s1, sext(v7), sext(v9) src0_sel:BYTE_0 src1_sel:BYTE_0
	s_or_b32 s1, vcc_lo, s1
	s_and_b32 vcc_lo, s0, s1
	s_mov_b32 s1, 0
	v_cndmask_b32_e32 v8, v8, v6, vcc_lo
	v_cndmask_b32_e32 v11, v9, v7, vcc_lo
	v_or_b32_e32 v7, 2, v5
	v_add_nc_u32_e32 v6, 4, v5
	s_mov_b32 s0, exec_lo
	v_add_nc_u32_e32 v4, v1, v8
	v_and_b32_e32 v8, 3, v2
	v_sub_nc_u32_e32 v12, v7, v5
	v_sub_nc_u32_e32 v9, v6, v7
	ds_read_u8 v4, v4
	; wave barrier
	v_sub_nc_u32_e32 v10, v8, v9
	v_cmp_ge_i32_e32 vcc_lo, v8, v9
	ds_write_b8 v3, v11
	; wave barrier
	v_cndmask_b32_e32 v9, 0, v10, vcc_lo
	v_min_i32_e32 v10, v8, v12
	v_cmpx_lt_i32_e64 v9, v10
	s_cbranch_execz .LBB85_8
; %bb.5:
	v_add_nc_u32_e32 v11, v1, v5
	v_add3_u32 v12, v1, v7, v8
	.p2align	6
.LBB85_6:                               ; =>This Inner Loop Header: Depth=1
	v_sub_nc_u32_e32 v13, v10, v9
	v_lshrrev_b32_e32 v13, 1, v13
	v_add_nc_u32_e32 v13, v13, v9
	v_add_nc_u32_e32 v14, v11, v13
	v_xad_u32 v15, v13, -1, v12
	v_add_nc_u32_e32 v16, 1, v13
	ds_read_i8 v14, v14
	ds_read_i8 v15, v15
	s_waitcnt lgkmcnt(0)
	v_cmp_lt_i16_e32 vcc_lo, v15, v14
	v_cndmask_b32_e32 v10, v10, v13, vcc_lo
	v_cndmask_b32_e32 v9, v16, v9, vcc_lo
	v_cmp_ge_i32_e32 vcc_lo, v9, v10
	s_or_b32 s1, vcc_lo, s1
	s_andn2_b32 exec_lo, exec_lo, s1
	s_cbranch_execnz .LBB85_6
; %bb.7:
	s_or_b32 exec_lo, exec_lo, s1
.LBB85_8:
	s_or_b32 exec_lo, exec_lo, s0
	v_add_nc_u32_e32 v8, v7, v8
	v_add_nc_u32_e32 v10, v9, v5
	v_sub_nc_u32_e32 v8, v8, v9
	v_add_nc_u32_e32 v5, v1, v10
	v_cmp_le_i32_e32 vcc_lo, v7, v10
	v_add_nc_u32_e32 v9, v1, v8
	v_cmp_gt_i32_e64 s0, v6, v8
	ds_read_u8 v11, v5
	ds_read_u8 v9, v9
	v_and_b32_e32 v5, 24, v2
	; wave barrier
	s_waitcnt lgkmcnt(3)
	ds_write_b8 v3, v4
	v_or_b32_e32 v7, 4, v5
	v_add_nc_u32_e32 v6, 8, v5
	; wave barrier
	v_sub_nc_u32_e32 v12, v7, v5
	s_waitcnt lgkmcnt(1)
	v_cmp_lt_i16_sdwa s1, sext(v9), sext(v11) src0_sel:BYTE_0 src1_sel:BYTE_0
	s_or_b32 s1, vcc_lo, s1
	s_and_b32 vcc_lo, s0, s1
	s_mov_b32 s1, 0
	v_cndmask_b32_e32 v8, v10, v8, vcc_lo
	v_cndmask_b32_e32 v11, v11, v9, vcc_lo
	v_sub_nc_u32_e32 v9, v6, v7
	s_mov_b32 s0, exec_lo
	v_add_nc_u32_e32 v4, v1, v8
	v_and_b32_e32 v8, 7, v2
	ds_read_u8 v4, v4
	v_sub_nc_u32_e32 v10, v8, v9
	v_cmp_ge_i32_e32 vcc_lo, v8, v9
	; wave barrier
	ds_write_b8 v3, v11
	v_cndmask_b32_e32 v9, 0, v10, vcc_lo
	v_min_i32_e32 v10, v8, v12
	; wave barrier
	v_cmpx_lt_i32_e64 v9, v10
	s_cbranch_execz .LBB85_12
; %bb.9:
	v_add_nc_u32_e32 v11, v1, v5
	v_add3_u32 v12, v1, v7, v8
	.p2align	6
.LBB85_10:                              ; =>This Inner Loop Header: Depth=1
	v_sub_nc_u32_e32 v13, v10, v9
	v_lshrrev_b32_e32 v13, 1, v13
	v_add_nc_u32_e32 v13, v13, v9
	v_add_nc_u32_e32 v14, v11, v13
	v_xad_u32 v15, v13, -1, v12
	v_add_nc_u32_e32 v16, 1, v13
	ds_read_i8 v14, v14
	ds_read_i8 v15, v15
	s_waitcnt lgkmcnt(0)
	v_cmp_lt_i16_e32 vcc_lo, v15, v14
	v_cndmask_b32_e32 v10, v10, v13, vcc_lo
	v_cndmask_b32_e32 v9, v16, v9, vcc_lo
	v_cmp_ge_i32_e32 vcc_lo, v9, v10
	s_or_b32 s1, vcc_lo, s1
	s_andn2_b32 exec_lo, exec_lo, s1
	s_cbranch_execnz .LBB85_10
; %bb.11:
	s_or_b32 exec_lo, exec_lo, s1
.LBB85_12:
	s_or_b32 exec_lo, exec_lo, s0
	v_add_nc_u32_e32 v8, v7, v8
	v_add_nc_u32_e32 v10, v9, v5
	v_sub_nc_u32_e32 v8, v8, v9
	v_add_nc_u32_e32 v5, v1, v10
	v_cmp_le_i32_e32 vcc_lo, v7, v10
	v_add_nc_u32_e32 v9, v1, v8
	v_cmp_gt_i32_e64 s0, v6, v8
	ds_read_u8 v11, v5
	ds_read_u8 v9, v9
	v_and_b32_e32 v5, 16, v2
	; wave barrier
	s_waitcnt lgkmcnt(3)
	ds_write_b8 v3, v4
	v_or_b32_e32 v7, 8, v5
	v_add_nc_u32_e32 v6, 16, v5
	; wave barrier
	v_sub_nc_u32_e32 v12, v7, v5
	s_waitcnt lgkmcnt(1)
	v_cmp_lt_i16_sdwa s1, sext(v9), sext(v11) src0_sel:BYTE_0 src1_sel:BYTE_0
	s_or_b32 s1, vcc_lo, s1
	s_and_b32 vcc_lo, s0, s1
	s_mov_b32 s1, 0
	v_cndmask_b32_e32 v8, v10, v8, vcc_lo
	v_cndmask_b32_e32 v11, v11, v9, vcc_lo
	v_sub_nc_u32_e32 v9, v6, v7
	s_mov_b32 s0, exec_lo
	v_add_nc_u32_e32 v4, v1, v8
	v_and_b32_e32 v8, 15, v2
	ds_read_u8 v4, v4
	v_sub_nc_u32_e32 v10, v8, v9
	v_cmp_ge_i32_e32 vcc_lo, v8, v9
	; wave barrier
	ds_write_b8 v3, v11
	v_cndmask_b32_e32 v9, 0, v10, vcc_lo
	v_min_i32_e32 v10, v8, v12
	; wave barrier
	v_cmpx_lt_i32_e64 v9, v10
	s_cbranch_execz .LBB85_16
; %bb.13:
	v_add_nc_u32_e32 v11, v1, v5
	v_add3_u32 v12, v1, v7, v8
	.p2align	6
.LBB85_14:                              ; =>This Inner Loop Header: Depth=1
	v_sub_nc_u32_e32 v13, v10, v9
	v_lshrrev_b32_e32 v13, 1, v13
	v_add_nc_u32_e32 v13, v13, v9
	v_add_nc_u32_e32 v14, v11, v13
	v_xad_u32 v15, v13, -1, v12
	v_add_nc_u32_e32 v16, 1, v13
	ds_read_i8 v14, v14
	ds_read_i8 v15, v15
	s_waitcnt lgkmcnt(0)
	v_cmp_lt_i16_e32 vcc_lo, v15, v14
	v_cndmask_b32_e32 v10, v10, v13, vcc_lo
	v_cndmask_b32_e32 v9, v16, v9, vcc_lo
	v_cmp_ge_i32_e32 vcc_lo, v9, v10
	s_or_b32 s1, vcc_lo, s1
	s_andn2_b32 exec_lo, exec_lo, s1
	s_cbranch_execnz .LBB85_14
; %bb.15:
	s_or_b32 exec_lo, exec_lo, s1
.LBB85_16:
	s_or_b32 exec_lo, exec_lo, s0
	v_add_nc_u32_e32 v8, v7, v8
	v_add_nc_u32_e32 v5, v9, v5
	v_sub_nc_u32_e32 v8, v8, v9
	v_add_nc_u32_e32 v9, v1, v5
	v_cmp_le_i32_e32 vcc_lo, v7, v5
	v_add_nc_u32_e32 v10, v1, v8
	v_cmp_gt_i32_e64 s0, v6, v8
	v_min_i32_e32 v6, 16, v2
	ds_read_u8 v9, v9
	ds_read_u8 v10, v10
	; wave barrier
	s_waitcnt lgkmcnt(3)
	ds_write_b8 v3, v4
	; wave barrier
	s_waitcnt lgkmcnt(1)
	v_cmp_lt_i16_sdwa s1, sext(v10), sext(v9) src0_sel:BYTE_0 src1_sel:BYTE_0
	s_or_b32 s1, vcc_lo, s1
	s_and_b32 vcc_lo, s0, s1
	s_mov_b32 s0, exec_lo
	v_cndmask_b32_e32 v5, v5, v8, vcc_lo
	v_cndmask_b32_e32 v7, v9, v10, vcc_lo
	v_cmp_lt_i32_e32 vcc_lo, 15, v2
	v_add_nc_u32_e32 v5, v1, v5
	ds_read_u8 v4, v5
	v_add_nc_u32_e32 v5, -16, v2
	; wave barrier
	ds_write_b8 v3, v7
	v_cndmask_b32_e32 v5, 0, v5, vcc_lo
	; wave barrier
	v_cmpx_lt_i32_e64 v5, v6
	s_cbranch_execz .LBB85_20
; %bb.17:
	v_add3_u32 v7, v1, 16, v2
	s_mov_b32 s1, 0
	.p2align	6
.LBB85_18:                              ; =>This Inner Loop Header: Depth=1
	v_sub_nc_u32_e32 v8, v6, v5
	v_lshrrev_b32_e32 v8, 1, v8
	v_add_nc_u32_e32 v8, v8, v5
	v_add_nc_u32_e32 v9, v1, v8
	v_xad_u32 v10, v8, -1, v7
	v_add_nc_u32_e32 v11, 1, v8
	ds_read_i8 v9, v9
	ds_read_i8 v10, v10
	s_waitcnt lgkmcnt(0)
	v_cmp_lt_i16_e32 vcc_lo, v10, v9
	v_cndmask_b32_e32 v6, v6, v8, vcc_lo
	v_cndmask_b32_e32 v5, v11, v5, vcc_lo
	v_cmp_ge_i32_e32 vcc_lo, v5, v6
	s_or_b32 s1, vcc_lo, s1
	s_andn2_b32 exec_lo, exec_lo, s1
	s_cbranch_execnz .LBB85_18
; %bb.19:
	s_or_b32 exec_lo, exec_lo, s1
.LBB85_20:
	s_or_b32 exec_lo, exec_lo, s0
	v_add_nc_u32_e32 v6, 16, v2
	v_add_nc_u32_e32 v7, v1, v5
	v_cmp_le_i32_e32 vcc_lo, 16, v5
	v_sub_nc_u32_e32 v6, v6, v5
	v_add_nc_u32_e32 v8, v1, v6
	v_cmp_gt_i32_e64 s0, 32, v6
	ds_read_u8 v7, v7
	ds_read_u8 v8, v8
	; wave barrier
	s_waitcnt lgkmcnt(3)
	ds_write_b8 v3, v4
	; wave barrier
	s_waitcnt lgkmcnt(1)
	v_cmp_lt_i16_sdwa s1, sext(v8), sext(v7) src0_sel:BYTE_0 src1_sel:BYTE_0
	s_or_b32 s1, vcc_lo, s1
	s_and_b32 vcc_lo, s0, s1
	s_mov_b32 s0, exec_lo
	v_cndmask_b32_e32 v5, v5, v6, vcc_lo
	v_cndmask_b32_e32 v7, v7, v8, vcc_lo
	v_cmp_lt_i32_e32 vcc_lo, 31, v2
	v_add_nc_u32_e32 v5, v1, v5
	ds_read_u8 v4, v5
	v_or_b32_e32 v5, 0xffffffe0, v2
	; wave barrier
	ds_write_b8 v3, v7
	v_cndmask_b32_e32 v5, 0, v5, vcc_lo
	; wave barrier
	v_cmpx_lt_i32_e64 v5, v2
	s_cbranch_execz .LBB85_24
; %bb.21:
	v_add3_u32 v6, v1, 32, v2
	v_mov_b32_e32 v7, v2
	s_mov_b32 s1, 0
	.p2align	6
.LBB85_22:                              ; =>This Inner Loop Header: Depth=1
	v_sub_nc_u32_e32 v8, v7, v5
	v_lshrrev_b32_e32 v8, 1, v8
	v_add_nc_u32_e32 v8, v8, v5
	v_add_nc_u32_e32 v9, v1, v8
	v_xad_u32 v10, v8, -1, v6
	v_add_nc_u32_e32 v11, 1, v8
	ds_read_i8 v9, v9
	ds_read_i8 v10, v10
	s_waitcnt lgkmcnt(0)
	v_cmp_lt_i16_e32 vcc_lo, v10, v9
	v_cndmask_b32_e32 v7, v7, v8, vcc_lo
	v_cndmask_b32_e32 v5, v11, v5, vcc_lo
	v_cmp_ge_i32_e32 vcc_lo, v5, v7
	s_or_b32 s1, vcc_lo, s1
	s_andn2_b32 exec_lo, exec_lo, s1
	s_cbranch_execnz .LBB85_22
; %bb.23:
	s_or_b32 exec_lo, exec_lo, s1
.LBB85_24:
	s_or_b32 exec_lo, exec_lo, s0
	v_add_nc_u32_e32 v2, 32, v2
	v_add_nc_u32_e32 v6, v1, v5
	v_cmp_le_i32_e32 vcc_lo, 32, v5
	v_sub_nc_u32_e32 v2, v2, v5
	v_add_nc_u32_e32 v7, v1, v2
	v_cmp_gt_i32_e64 s0, 64, v2
	ds_read_u8 v6, v6
	ds_read_u8 v7, v7
	; wave barrier
	s_waitcnt lgkmcnt(3)
	ds_write_b8 v3, v4
	; wave barrier
	s_waitcnt lgkmcnt(1)
	v_cmp_lt_i16_sdwa s1, sext(v7), sext(v6) src0_sel:BYTE_0 src1_sel:BYTE_0
	s_or_b32 s1, vcc_lo, s1
	s_and_b32 vcc_lo, s0, s1
	s_add_u32 s0, s2, s4
	v_cndmask_b32_e32 v2, v5, v2, vcc_lo
	v_cndmask_b32_e32 v6, v6, v7, vcc_lo
	s_addc_u32 s1, s3, 0
	v_add_co_u32 v0, s0, s0, v0
	v_add_nc_u32_e32 v1, v1, v2
	ds_read_u8 v1, v1
	s_waitcnt lgkmcnt(0)
	v_add_nc_u16 v2, v1, v6
	v_add_co_ci_u32_e64 v1, null, s1, 0, s0
	global_store_byte v[0:1], v2, off
	s_endpgm
	.section	.rodata,"a",@progbits
	.p2align	6, 0x0
	.amdhsa_kernel _Z10sort_pairsILj256ELj64ELj1EaN10test_utils4lessEEvPKT2_PS2_T3_
		.amdhsa_group_segment_fixed_size 260
		.amdhsa_private_segment_fixed_size 0
		.amdhsa_kernarg_size 20
		.amdhsa_user_sgpr_count 6
		.amdhsa_user_sgpr_private_segment_buffer 1
		.amdhsa_user_sgpr_dispatch_ptr 0
		.amdhsa_user_sgpr_queue_ptr 0
		.amdhsa_user_sgpr_kernarg_segment_ptr 1
		.amdhsa_user_sgpr_dispatch_id 0
		.amdhsa_user_sgpr_flat_scratch_init 0
		.amdhsa_user_sgpr_private_segment_size 0
		.amdhsa_wavefront_size32 1
		.amdhsa_uses_dynamic_stack 0
		.amdhsa_system_sgpr_private_segment_wavefront_offset 0
		.amdhsa_system_sgpr_workgroup_id_x 1
		.amdhsa_system_sgpr_workgroup_id_y 0
		.amdhsa_system_sgpr_workgroup_id_z 0
		.amdhsa_system_sgpr_workgroup_info 0
		.amdhsa_system_vgpr_workitem_id 0
		.amdhsa_next_free_vgpr 17
		.amdhsa_next_free_sgpr 7
		.amdhsa_reserve_vcc 1
		.amdhsa_reserve_flat_scratch 0
		.amdhsa_float_round_mode_32 0
		.amdhsa_float_round_mode_16_64 0
		.amdhsa_float_denorm_mode_32 3
		.amdhsa_float_denorm_mode_16_64 3
		.amdhsa_dx10_clamp 1
		.amdhsa_ieee_mode 1
		.amdhsa_fp16_overflow 0
		.amdhsa_workgroup_processor_mode 1
		.amdhsa_memory_ordered 1
		.amdhsa_forward_progress 1
		.amdhsa_shared_vgpr_count 0
		.amdhsa_exception_fp_ieee_invalid_op 0
		.amdhsa_exception_fp_denorm_src 0
		.amdhsa_exception_fp_ieee_div_zero 0
		.amdhsa_exception_fp_ieee_overflow 0
		.amdhsa_exception_fp_ieee_underflow 0
		.amdhsa_exception_fp_ieee_inexact 0
		.amdhsa_exception_int_div_zero 0
	.end_amdhsa_kernel
	.section	.text._Z10sort_pairsILj256ELj64ELj1EaN10test_utils4lessEEvPKT2_PS2_T3_,"axG",@progbits,_Z10sort_pairsILj256ELj64ELj1EaN10test_utils4lessEEvPKT2_PS2_T3_,comdat
.Lfunc_end85:
	.size	_Z10sort_pairsILj256ELj64ELj1EaN10test_utils4lessEEvPKT2_PS2_T3_, .Lfunc_end85-_Z10sort_pairsILj256ELj64ELj1EaN10test_utils4lessEEvPKT2_PS2_T3_
                                        ; -- End function
	.set _Z10sort_pairsILj256ELj64ELj1EaN10test_utils4lessEEvPKT2_PS2_T3_.num_vgpr, 17
	.set _Z10sort_pairsILj256ELj64ELj1EaN10test_utils4lessEEvPKT2_PS2_T3_.num_agpr, 0
	.set _Z10sort_pairsILj256ELj64ELj1EaN10test_utils4lessEEvPKT2_PS2_T3_.numbered_sgpr, 7
	.set _Z10sort_pairsILj256ELj64ELj1EaN10test_utils4lessEEvPKT2_PS2_T3_.num_named_barrier, 0
	.set _Z10sort_pairsILj256ELj64ELj1EaN10test_utils4lessEEvPKT2_PS2_T3_.private_seg_size, 0
	.set _Z10sort_pairsILj256ELj64ELj1EaN10test_utils4lessEEvPKT2_PS2_T3_.uses_vcc, 1
	.set _Z10sort_pairsILj256ELj64ELj1EaN10test_utils4lessEEvPKT2_PS2_T3_.uses_flat_scratch, 0
	.set _Z10sort_pairsILj256ELj64ELj1EaN10test_utils4lessEEvPKT2_PS2_T3_.has_dyn_sized_stack, 0
	.set _Z10sort_pairsILj256ELj64ELj1EaN10test_utils4lessEEvPKT2_PS2_T3_.has_recursion, 0
	.set _Z10sort_pairsILj256ELj64ELj1EaN10test_utils4lessEEvPKT2_PS2_T3_.has_indirect_call, 0
	.section	.AMDGPU.csdata,"",@progbits
; Kernel info:
; codeLenInByte = 1892
; TotalNumSgprs: 9
; NumVgprs: 17
; ScratchSize: 0
; MemoryBound: 0
; FloatMode: 240
; IeeeMode: 1
; LDSByteSize: 260 bytes/workgroup (compile time only)
; SGPRBlocks: 0
; VGPRBlocks: 2
; NumSGPRsForWavesPerEU: 9
; NumVGPRsForWavesPerEU: 17
; Occupancy: 16
; WaveLimiterHint : 0
; COMPUTE_PGM_RSRC2:SCRATCH_EN: 0
; COMPUTE_PGM_RSRC2:USER_SGPR: 6
; COMPUTE_PGM_RSRC2:TRAP_HANDLER: 0
; COMPUTE_PGM_RSRC2:TGID_X_EN: 1
; COMPUTE_PGM_RSRC2:TGID_Y_EN: 0
; COMPUTE_PGM_RSRC2:TGID_Z_EN: 0
; COMPUTE_PGM_RSRC2:TIDIG_COMP_CNT: 0
	.section	.text._Z19sort_keys_segmentedILj256ELj64ELj1EaN10test_utils4lessEEvPKT2_PS2_PKjT3_,"axG",@progbits,_Z19sort_keys_segmentedILj256ELj64ELj1EaN10test_utils4lessEEvPKT2_PS2_PKjT3_,comdat
	.protected	_Z19sort_keys_segmentedILj256ELj64ELj1EaN10test_utils4lessEEvPKT2_PS2_PKjT3_ ; -- Begin function _Z19sort_keys_segmentedILj256ELj64ELj1EaN10test_utils4lessEEvPKT2_PS2_PKjT3_
	.globl	_Z19sort_keys_segmentedILj256ELj64ELj1EaN10test_utils4lessEEvPKT2_PS2_PKjT3_
	.p2align	8
	.type	_Z19sort_keys_segmentedILj256ELj64ELj1EaN10test_utils4lessEEvPKT2_PS2_PKjT3_,@function
_Z19sort_keys_segmentedILj256ELj64ELj1EaN10test_utils4lessEEvPKT2_PS2_PKjT3_: ; @_Z19sort_keys_segmentedILj256ELj64ELj1EaN10test_utils4lessEEvPKT2_PS2_PKjT3_
; %bb.0:
	s_load_dwordx2 s[0:1], s[4:5], 0x10
	v_lshrrev_b32_e32 v2, 6, v0
	v_mov_b32_e32 v5, 0
                                        ; implicit-def: $vgpr10
	v_lshl_or_b32 v4, s6, 2, v2
	v_lshlrev_b64 v[0:1], 2, v[4:5]
	s_waitcnt lgkmcnt(0)
	v_add_co_u32 v0, vcc_lo, s0, v0
	v_add_co_ci_u32_e64 v1, null, s1, v1, vcc_lo
	s_load_dwordx4 s[0:3], s[4:5], 0x0
	global_load_dword v3, v[0:1], off
	v_mbcnt_lo_u32_b32 v0, -1, 0
	v_lshlrev_b32_e32 v1, 6, v4
	s_waitcnt vmcnt(0)
	v_cmp_lt_u32_e32 vcc_lo, v0, v3
	s_and_saveexec_b32 s4, vcc_lo
	s_cbranch_execz .LBB86_2
; %bb.1:
	s_waitcnt lgkmcnt(0)
	v_add_co_u32 v4, s0, s0, v1
	v_add_co_ci_u32_e64 v5, null, s1, 0, s0
	v_add_co_u32 v4, s0, v4, v0
	v_add_co_ci_u32_e64 v5, null, 0, v5, s0
	global_load_ubyte v10, v[4:5], off
.LBB86_2:
	s_or_b32 exec_lo, exec_lo, s4
	v_and_b32_e32 v4, 30, v0
	v_and_b32_e32 v8, 1, v0
	s_waitcnt lgkmcnt(0)
	s_mov_b32 s1, exec_lo
	; wave barrier
	v_min_i32_e32 v5, v3, v4
	v_min_i32_e32 v8, v3, v8
	v_add_nc_u32_e32 v4, 1, v5
	v_min_i32_e32 v4, v3, v4
	v_add_nc_u32_e32 v6, 1, v4
	v_sub_nc_u32_e32 v11, v4, v5
	v_min_i32_e32 v7, v3, v6
	v_sub_nc_u32_e32 v6, v7, v4
	v_sub_nc_u32_e32 v9, v8, v6
	v_cmp_ge_i32_e64 s0, v8, v6
	v_cndmask_b32_e64 v6, 0, v9, s0
	v_min_i32_e32 v9, v8, v11
	v_mad_u32_u24 v11, 0x41, v2, v0
	v_mul_u32_u24_e32 v2, 0x41, v2
	s_waitcnt vmcnt(0)
	ds_write_b8 v11, v10
	; wave barrier
	v_cmpx_lt_i32_e64 v6, v9
	s_cbranch_execz .LBB86_6
; %bb.3:
	v_add_nc_u32_e32 v10, v2, v5
	v_add3_u32 v11, v2, v4, v8
	s_mov_b32 s4, 0
	.p2align	6
.LBB86_4:                               ; =>This Inner Loop Header: Depth=1
	v_sub_nc_u32_e32 v12, v9, v6
	v_lshrrev_b32_e32 v12, 1, v12
	v_add_nc_u32_e32 v12, v12, v6
	v_add_nc_u32_e32 v13, v10, v12
	v_xad_u32 v14, v12, -1, v11
	v_add_nc_u32_e32 v15, 1, v12
	ds_read_i8 v13, v13
	ds_read_i8 v14, v14
	s_waitcnt lgkmcnt(0)
	v_cmp_lt_i16_e64 s0, v14, v13
	v_cndmask_b32_e64 v9, v9, v12, s0
	v_cndmask_b32_e64 v6, v15, v6, s0
	v_cmp_ge_i32_e64 s0, v6, v9
	s_or_b32 s4, s0, s4
	s_andn2_b32 exec_lo, exec_lo, s4
	s_cbranch_execnz .LBB86_4
; %bb.5:
	s_or_b32 exec_lo, exec_lo, s4
.LBB86_6:
	s_or_b32 exec_lo, exec_lo, s1
	v_add_nc_u32_e32 v8, v4, v8
	v_and_b32_e32 v9, 28, v0
	v_add_nc_u32_e32 v10, v6, v5
	v_sub_nc_u32_e32 v11, v8, v6
	v_min_i32_e32 v8, v3, v9
	v_add_nc_u32_e32 v5, v2, v10
	v_cmp_le_i32_e64 s0, v4, v10
	v_add_nc_u32_e32 v4, v2, v0
	v_add_nc_u32_e32 v6, v2, v11
	;; [unrolled: 1-line block ×3, first 2 shown]
	v_cmp_gt_i32_e64 s1, v7, v11
	ds_read_u8 v12, v5
	ds_read_u8 v13, v6
	v_min_i32_e32 v6, v3, v9
	v_and_b32_e32 v9, 3, v0
	; wave barrier
	v_add_nc_u32_e32 v5, 2, v6
	v_min_i32_e32 v9, v3, v9
	v_sub_nc_u32_e32 v10, v6, v8
	v_min_i32_e32 v5, v3, v5
	v_min_i32_e32 v10, v9, v10
	v_sub_nc_u32_e32 v14, v5, v6
	s_waitcnt lgkmcnt(0)
	v_cmp_lt_i16_sdwa s4, sext(v13), sext(v12) src0_sel:BYTE_0 src1_sel:BYTE_0
	v_sub_nc_u32_e32 v15, v9, v14
	s_or_b32 s4, s0, s4
	v_cmp_ge_i32_e64 s0, v9, v14
	v_cndmask_b32_e64 v7, 0, v15, s0
	s_and_b32 s0, s1, s4
	s_mov_b32 s4, 0
	v_cndmask_b32_e64 v11, v12, v13, s0
	s_mov_b32 s1, exec_lo
	ds_write_b8 v4, v11
	; wave barrier
	v_cmpx_lt_i32_e64 v7, v10
	s_cbranch_execz .LBB86_10
; %bb.7:
	v_add_nc_u32_e32 v11, v2, v8
	v_add3_u32 v12, v2, v6, v9
	.p2align	6
.LBB86_8:                               ; =>This Inner Loop Header: Depth=1
	v_sub_nc_u32_e32 v13, v10, v7
	v_lshrrev_b32_e32 v13, 1, v13
	v_add_nc_u32_e32 v13, v13, v7
	v_add_nc_u32_e32 v14, v11, v13
	v_xad_u32 v15, v13, -1, v12
	v_add_nc_u32_e32 v16, 1, v13
	ds_read_i8 v14, v14
	ds_read_i8 v15, v15
	s_waitcnt lgkmcnt(0)
	v_cmp_lt_i16_e64 s0, v15, v14
	v_cndmask_b32_e64 v10, v10, v13, s0
	v_cndmask_b32_e64 v7, v16, v7, s0
	v_cmp_ge_i32_e64 s0, v7, v10
	s_or_b32 s4, s0, s4
	s_andn2_b32 exec_lo, exec_lo, s4
	s_cbranch_execnz .LBB86_8
; %bb.9:
	s_or_b32 exec_lo, exec_lo, s4
.LBB86_10:
	s_or_b32 exec_lo, exec_lo, s1
	v_add_nc_u32_e32 v9, v6, v9
	v_and_b32_e32 v10, 24, v0
	v_add_nc_u32_e32 v11, v7, v8
	v_sub_nc_u32_e32 v12, v9, v7
	v_min_i32_e32 v9, v3, v10
	v_add_nc_u32_e32 v7, v2, v11
	v_cmp_le_i32_e64 s0, v6, v11
	v_add_nc_u32_e32 v8, v2, v12
	v_add_nc_u32_e32 v10, 4, v9
	v_cmp_gt_i32_e64 s1, v5, v12
	ds_read_u8 v13, v7
	ds_read_u8 v14, v8
	v_min_i32_e32 v8, v3, v10
	v_and_b32_e32 v10, 7, v0
	; wave barrier
	v_add_nc_u32_e32 v7, 4, v8
	v_min_i32_e32 v10, v3, v10
	v_sub_nc_u32_e32 v6, v8, v9
	v_min_i32_e32 v7, v3, v7
	v_min_i32_e32 v6, v10, v6
	v_sub_nc_u32_e32 v15, v7, v8
	s_waitcnt lgkmcnt(0)
	v_cmp_lt_i16_sdwa s4, sext(v14), sext(v13) src0_sel:BYTE_0 src1_sel:BYTE_0
	v_sub_nc_u32_e32 v11, v10, v15
	s_or_b32 s4, s0, s4
	v_cmp_ge_i32_e64 s0, v10, v15
	v_cndmask_b32_e64 v5, 0, v11, s0
	s_and_b32 s0, s1, s4
	s_mov_b32 s4, 0
	v_cndmask_b32_e64 v11, v13, v14, s0
	s_mov_b32 s1, exec_lo
	ds_write_b8 v4, v11
	; wave barrier
	v_cmpx_lt_i32_e64 v5, v6
	s_cbranch_execz .LBB86_14
; %bb.11:
	v_add_nc_u32_e32 v11, v2, v9
	v_add3_u32 v12, v2, v8, v10
	.p2align	6
.LBB86_12:                              ; =>This Inner Loop Header: Depth=1
	v_sub_nc_u32_e32 v13, v6, v5
	v_lshrrev_b32_e32 v13, 1, v13
	v_add_nc_u32_e32 v13, v13, v5
	v_add_nc_u32_e32 v14, v11, v13
	v_xad_u32 v15, v13, -1, v12
	v_add_nc_u32_e32 v16, 1, v13
	ds_read_i8 v14, v14
	ds_read_i8 v15, v15
	s_waitcnt lgkmcnt(0)
	v_cmp_lt_i16_e64 s0, v15, v14
	v_cndmask_b32_e64 v6, v6, v13, s0
	v_cndmask_b32_e64 v5, v16, v5, s0
	v_cmp_ge_i32_e64 s0, v5, v6
	s_or_b32 s4, s0, s4
	s_andn2_b32 exec_lo, exec_lo, s4
	s_cbranch_execnz .LBB86_12
; %bb.13:
	s_or_b32 exec_lo, exec_lo, s4
.LBB86_14:
	s_or_b32 exec_lo, exec_lo, s1
	v_add_nc_u32_e32 v6, v8, v10
	v_and_b32_e32 v10, 16, v0
	v_add_nc_u32_e32 v11, v5, v9
	v_and_b32_e32 v15, 15, v0
	v_sub_nc_u32_e32 v12, v6, v5
	v_min_i32_e32 v5, v3, v10
	v_add_nc_u32_e32 v6, v2, v11
	v_cmp_le_i32_e64 s0, v8, v11
	v_add_nc_u32_e32 v9, v2, v12
	v_add_nc_u32_e32 v10, 8, v5
	v_cmp_gt_i32_e64 s1, v7, v12
	ds_read_u8 v13, v6
	ds_read_u8 v14, v9
	v_min_i32_e32 v10, v3, v10
	; wave barrier
	v_add_nc_u32_e32 v6, 8, v10
	v_sub_nc_u32_e32 v8, v10, v5
	v_min_i32_e32 v9, v3, v6
	v_min_i32_e32 v6, v3, v15
	v_sub_nc_u32_e32 v15, v9, v10
	v_min_i32_e32 v8, v6, v8
	s_waitcnt lgkmcnt(0)
	v_cmp_lt_i16_sdwa s4, sext(v14), sext(v13) src0_sel:BYTE_0 src1_sel:BYTE_0
	v_sub_nc_u32_e32 v11, v6, v15
	s_or_b32 s4, s0, s4
	v_cmp_ge_i32_e64 s0, v6, v15
	v_cndmask_b32_e64 v7, 0, v11, s0
	s_and_b32 s0, s1, s4
	s_mov_b32 s4, 0
	v_cndmask_b32_e64 v11, v13, v14, s0
	s_mov_b32 s1, exec_lo
	ds_write_b8 v4, v11
	; wave barrier
	v_cmpx_lt_i32_e64 v7, v8
	s_cbranch_execz .LBB86_18
; %bb.15:
	v_add_nc_u32_e32 v11, v2, v5
	v_add3_u32 v12, v2, v10, v6
	.p2align	6
.LBB86_16:                              ; =>This Inner Loop Header: Depth=1
	v_sub_nc_u32_e32 v13, v8, v7
	v_lshrrev_b32_e32 v13, 1, v13
	v_add_nc_u32_e32 v13, v13, v7
	v_add_nc_u32_e32 v14, v11, v13
	v_xad_u32 v15, v13, -1, v12
	v_add_nc_u32_e32 v16, 1, v13
	ds_read_i8 v14, v14
	ds_read_i8 v15, v15
	s_waitcnt lgkmcnt(0)
	v_cmp_lt_i16_e64 s0, v15, v14
	v_cndmask_b32_e64 v8, v8, v13, s0
	v_cndmask_b32_e64 v7, v16, v7, s0
	v_cmp_ge_i32_e64 s0, v7, v8
	s_or_b32 s4, s0, s4
	s_andn2_b32 exec_lo, exec_lo, s4
	s_cbranch_execnz .LBB86_16
; %bb.17:
	s_or_b32 exec_lo, exec_lo, s4
.LBB86_18:
	s_or_b32 exec_lo, exec_lo, s1
	v_add_nc_u32_e32 v6, v10, v6
	v_add_nc_u32_e32 v11, v7, v5
	v_min_i32_e32 v5, 0, v3
	v_sub_nc_u32_e32 v12, v6, v7
	v_add_nc_u32_e32 v6, v2, v11
	v_add_nc_u32_e32 v8, 16, v5
	v_cmp_le_i32_e64 s0, v10, v11
	v_add_nc_u32_e32 v7, v2, v12
	v_cmp_gt_i32_e64 s1, v9, v12
	v_min_i32_e32 v8, v3, v8
	ds_read_u8 v13, v6
	ds_read_u8 v14, v7
	; wave barrier
	v_add_nc_u32_e32 v6, 16, v8
	v_sub_nc_u32_e32 v10, v8, v5
	v_min_i32_e32 v7, v3, v6
	v_min_i32_e32 v6, v3, v0
	v_sub_nc_u32_e32 v15, v7, v8
	v_min_i32_e32 v10, v6, v10
	v_sub_nc_u32_e32 v11, v6, v15
	s_waitcnt lgkmcnt(0)
	v_cmp_lt_i16_sdwa s4, sext(v14), sext(v13) src0_sel:BYTE_0 src1_sel:BYTE_0
	s_or_b32 s4, s0, s4
	v_cmp_ge_i32_e64 s0, v6, v15
	v_cndmask_b32_e64 v9, 0, v11, s0
	s_and_b32 s0, s1, s4
	s_mov_b32 s1, 0
	v_cndmask_b32_e64 v11, v13, v14, s0
	s_mov_b32 s4, exec_lo
	ds_write_b8 v4, v11
	; wave barrier
	v_cmpx_lt_i32_e64 v9, v10
	s_cbranch_execz .LBB86_22
; %bb.19:
	v_add_nc_u32_e32 v11, v2, v5
	v_add3_u32 v12, v2, v8, v6
	.p2align	6
.LBB86_20:                              ; =>This Inner Loop Header: Depth=1
	v_sub_nc_u32_e32 v13, v10, v9
	v_lshrrev_b32_e32 v13, 1, v13
	v_add_nc_u32_e32 v13, v13, v9
	v_add_nc_u32_e32 v14, v11, v13
	v_xad_u32 v15, v13, -1, v12
	v_add_nc_u32_e32 v16, 1, v13
	ds_read_i8 v14, v14
	ds_read_i8 v15, v15
	s_waitcnt lgkmcnt(0)
	v_cmp_lt_i16_e64 s0, v15, v14
	v_cndmask_b32_e64 v10, v10, v13, s0
	v_cndmask_b32_e64 v9, v16, v9, s0
	v_cmp_ge_i32_e64 s0, v9, v10
	s_or_b32 s1, s0, s1
	s_andn2_b32 exec_lo, exec_lo, s1
	s_cbranch_execnz .LBB86_20
; %bb.21:
	s_or_b32 exec_lo, exec_lo, s1
.LBB86_22:
	s_or_b32 exec_lo, exec_lo, s4
	v_add_nc_u32_e32 v10, v8, v6
	v_add_nc_u32_e32 v11, v9, v5
	;; [unrolled: 1-line block ×3, first 2 shown]
	v_sub_nc_u32_e32 v10, v10, v9
	v_add_nc_u32_e32 v9, v2, v11
	v_cmp_le_i32_e64 s0, v8, v11
	v_add_nc_u32_e32 v12, v2, v10
	v_cmp_gt_i32_e64 s1, v7, v10
	ds_read_u8 v14, v9
	ds_read_u8 v12, v12
	v_min_i32_e32 v9, v3, v13
	; wave barrier
	v_add_nc_u32_e32 v13, 32, v9
	v_sub_nc_u32_e32 v8, v9, v5
	v_min_i32_e32 v3, v3, v13
	v_min_i32_e32 v8, v6, v8
	v_sub_nc_u32_e32 v13, v3, v9
	s_waitcnt lgkmcnt(0)
	v_cmp_lt_i16_sdwa s4, sext(v12), sext(v14) src0_sel:BYTE_0 src1_sel:BYTE_0
	v_sub_nc_u32_e32 v11, v6, v13
	s_or_b32 s4, s0, s4
	v_cmp_ge_i32_e64 s0, v6, v13
	v_cndmask_b32_e64 v7, 0, v11, s0
	s_and_b32 s0, s1, s4
	s_mov_b32 s1, 0
	v_cndmask_b32_e64 v10, v14, v12, s0
	s_mov_b32 s4, exec_lo
	ds_write_b8 v4, v10
	; wave barrier
	v_cmpx_lt_i32_e64 v7, v8
	s_cbranch_execnz .LBB86_25
; %bb.23:
	s_or_b32 exec_lo, exec_lo, s4
	s_and_saveexec_b32 s0, vcc_lo
	s_cbranch_execnz .LBB86_28
.LBB86_24:
	s_endpgm
.LBB86_25:
	v_add_nc_u32_e32 v4, v2, v5
	v_add3_u32 v10, v2, v9, v6
	.p2align	6
.LBB86_26:                              ; =>This Inner Loop Header: Depth=1
	v_sub_nc_u32_e32 v11, v8, v7
	v_lshrrev_b32_e32 v11, 1, v11
	v_add_nc_u32_e32 v11, v11, v7
	v_add_nc_u32_e32 v12, v4, v11
	v_xad_u32 v13, v11, -1, v10
	v_add_nc_u32_e32 v14, 1, v11
	ds_read_i8 v12, v12
	ds_read_i8 v13, v13
	s_waitcnt lgkmcnt(0)
	v_cmp_lt_i16_e64 s0, v13, v12
	v_cndmask_b32_e64 v8, v8, v11, s0
	v_cndmask_b32_e64 v7, v14, v7, s0
	v_cmp_ge_i32_e64 s0, v7, v8
	s_or_b32 s1, s0, s1
	s_andn2_b32 exec_lo, exec_lo, s1
	s_cbranch_execnz .LBB86_26
; %bb.27:
	s_or_b32 exec_lo, exec_lo, s1
	s_or_b32 exec_lo, exec_lo, s4
	s_and_saveexec_b32 s0, vcc_lo
	s_cbranch_execz .LBB86_24
.LBB86_28:
	v_add_nc_u32_e32 v4, v9, v6
	v_add_nc_u32_e32 v5, v7, v5
	v_add_co_u32 v1, s0, s2, v1
	v_sub_nc_u32_e32 v4, v4, v7
	v_cmp_le_i32_e32 vcc_lo, v9, v5
	v_add_nc_u32_e32 v6, v2, v4
	v_add_nc_u32_e32 v2, v2, v5
	v_add_co_ci_u32_e64 v5, null, s3, 0, s0
	v_cmp_gt_i32_e64 s0, v3, v4
	ds_read_u8 v6, v6
	ds_read_u8 v2, v2
	s_waitcnt lgkmcnt(0)
	v_cmp_lt_i16_sdwa s1, sext(v6), sext(v2) src0_sel:BYTE_0 src1_sel:BYTE_0
	s_or_b32 s1, vcc_lo, s1
	v_add_co_u32 v0, vcc_lo, v1, v0
	v_add_co_ci_u32_e64 v1, null, 0, v5, vcc_lo
	s_and_b32 vcc_lo, s0, s1
	v_cndmask_b32_e32 v2, v2, v6, vcc_lo
	global_store_byte v[0:1], v2, off
	s_endpgm
	.section	.rodata,"a",@progbits
	.p2align	6, 0x0
	.amdhsa_kernel _Z19sort_keys_segmentedILj256ELj64ELj1EaN10test_utils4lessEEvPKT2_PS2_PKjT3_
		.amdhsa_group_segment_fixed_size 260
		.amdhsa_private_segment_fixed_size 0
		.amdhsa_kernarg_size 28
		.amdhsa_user_sgpr_count 6
		.amdhsa_user_sgpr_private_segment_buffer 1
		.amdhsa_user_sgpr_dispatch_ptr 0
		.amdhsa_user_sgpr_queue_ptr 0
		.amdhsa_user_sgpr_kernarg_segment_ptr 1
		.amdhsa_user_sgpr_dispatch_id 0
		.amdhsa_user_sgpr_flat_scratch_init 0
		.amdhsa_user_sgpr_private_segment_size 0
		.amdhsa_wavefront_size32 1
		.amdhsa_uses_dynamic_stack 0
		.amdhsa_system_sgpr_private_segment_wavefront_offset 0
		.amdhsa_system_sgpr_workgroup_id_x 1
		.amdhsa_system_sgpr_workgroup_id_y 0
		.amdhsa_system_sgpr_workgroup_id_z 0
		.amdhsa_system_sgpr_workgroup_info 0
		.amdhsa_system_vgpr_workitem_id 0
		.amdhsa_next_free_vgpr 17
		.amdhsa_next_free_sgpr 7
		.amdhsa_reserve_vcc 1
		.amdhsa_reserve_flat_scratch 0
		.amdhsa_float_round_mode_32 0
		.amdhsa_float_round_mode_16_64 0
		.amdhsa_float_denorm_mode_32 3
		.amdhsa_float_denorm_mode_16_64 3
		.amdhsa_dx10_clamp 1
		.amdhsa_ieee_mode 1
		.amdhsa_fp16_overflow 0
		.amdhsa_workgroup_processor_mode 1
		.amdhsa_memory_ordered 1
		.amdhsa_forward_progress 1
		.amdhsa_shared_vgpr_count 0
		.amdhsa_exception_fp_ieee_invalid_op 0
		.amdhsa_exception_fp_denorm_src 0
		.amdhsa_exception_fp_ieee_div_zero 0
		.amdhsa_exception_fp_ieee_overflow 0
		.amdhsa_exception_fp_ieee_underflow 0
		.amdhsa_exception_fp_ieee_inexact 0
		.amdhsa_exception_int_div_zero 0
	.end_amdhsa_kernel
	.section	.text._Z19sort_keys_segmentedILj256ELj64ELj1EaN10test_utils4lessEEvPKT2_PS2_PKjT3_,"axG",@progbits,_Z19sort_keys_segmentedILj256ELj64ELj1EaN10test_utils4lessEEvPKT2_PS2_PKjT3_,comdat
.Lfunc_end86:
	.size	_Z19sort_keys_segmentedILj256ELj64ELj1EaN10test_utils4lessEEvPKT2_PS2_PKjT3_, .Lfunc_end86-_Z19sort_keys_segmentedILj256ELj64ELj1EaN10test_utils4lessEEvPKT2_PS2_PKjT3_
                                        ; -- End function
	.set _Z19sort_keys_segmentedILj256ELj64ELj1EaN10test_utils4lessEEvPKT2_PS2_PKjT3_.num_vgpr, 17
	.set _Z19sort_keys_segmentedILj256ELj64ELj1EaN10test_utils4lessEEvPKT2_PS2_PKjT3_.num_agpr, 0
	.set _Z19sort_keys_segmentedILj256ELj64ELj1EaN10test_utils4lessEEvPKT2_PS2_PKjT3_.numbered_sgpr, 7
	.set _Z19sort_keys_segmentedILj256ELj64ELj1EaN10test_utils4lessEEvPKT2_PS2_PKjT3_.num_named_barrier, 0
	.set _Z19sort_keys_segmentedILj256ELj64ELj1EaN10test_utils4lessEEvPKT2_PS2_PKjT3_.private_seg_size, 0
	.set _Z19sort_keys_segmentedILj256ELj64ELj1EaN10test_utils4lessEEvPKT2_PS2_PKjT3_.uses_vcc, 1
	.set _Z19sort_keys_segmentedILj256ELj64ELj1EaN10test_utils4lessEEvPKT2_PS2_PKjT3_.uses_flat_scratch, 0
	.set _Z19sort_keys_segmentedILj256ELj64ELj1EaN10test_utils4lessEEvPKT2_PS2_PKjT3_.has_dyn_sized_stack, 0
	.set _Z19sort_keys_segmentedILj256ELj64ELj1EaN10test_utils4lessEEvPKT2_PS2_PKjT3_.has_recursion, 0
	.set _Z19sort_keys_segmentedILj256ELj64ELj1EaN10test_utils4lessEEvPKT2_PS2_PKjT3_.has_indirect_call, 0
	.section	.AMDGPU.csdata,"",@progbits
; Kernel info:
; codeLenInByte = 2144
; TotalNumSgprs: 9
; NumVgprs: 17
; ScratchSize: 0
; MemoryBound: 0
; FloatMode: 240
; IeeeMode: 1
; LDSByteSize: 260 bytes/workgroup (compile time only)
; SGPRBlocks: 0
; VGPRBlocks: 2
; NumSGPRsForWavesPerEU: 9
; NumVGPRsForWavesPerEU: 17
; Occupancy: 16
; WaveLimiterHint : 0
; COMPUTE_PGM_RSRC2:SCRATCH_EN: 0
; COMPUTE_PGM_RSRC2:USER_SGPR: 6
; COMPUTE_PGM_RSRC2:TRAP_HANDLER: 0
; COMPUTE_PGM_RSRC2:TGID_X_EN: 1
; COMPUTE_PGM_RSRC2:TGID_Y_EN: 0
; COMPUTE_PGM_RSRC2:TGID_Z_EN: 0
; COMPUTE_PGM_RSRC2:TIDIG_COMP_CNT: 0
	.section	.text._Z20sort_pairs_segmentedILj256ELj64ELj1EaN10test_utils4lessEEvPKT2_PS2_PKjT3_,"axG",@progbits,_Z20sort_pairs_segmentedILj256ELj64ELj1EaN10test_utils4lessEEvPKT2_PS2_PKjT3_,comdat
	.protected	_Z20sort_pairs_segmentedILj256ELj64ELj1EaN10test_utils4lessEEvPKT2_PS2_PKjT3_ ; -- Begin function _Z20sort_pairs_segmentedILj256ELj64ELj1EaN10test_utils4lessEEvPKT2_PS2_PKjT3_
	.globl	_Z20sort_pairs_segmentedILj256ELj64ELj1EaN10test_utils4lessEEvPKT2_PS2_PKjT3_
	.p2align	8
	.type	_Z20sort_pairs_segmentedILj256ELj64ELj1EaN10test_utils4lessEEvPKT2_PS2_PKjT3_,@function
_Z20sort_pairs_segmentedILj256ELj64ELj1EaN10test_utils4lessEEvPKT2_PS2_PKjT3_: ; @_Z20sort_pairs_segmentedILj256ELj64ELj1EaN10test_utils4lessEEvPKT2_PS2_PKjT3_
; %bb.0:
	s_load_dwordx2 s[0:1], s[4:5], 0x10
	v_lshrrev_b32_e32 v2, 6, v0
	v_mov_b32_e32 v5, 0
	v_lshl_or_b32 v4, s6, 2, v2
	v_lshlrev_b64 v[0:1], 2, v[4:5]
	s_waitcnt lgkmcnt(0)
	v_add_co_u32 v0, vcc_lo, s0, v0
	v_add_co_ci_u32_e64 v1, null, s1, v1, vcc_lo
	s_load_dwordx4 s[0:3], s[4:5], 0x0
	global_load_dword v3, v[0:1], off
	v_mbcnt_lo_u32_b32 v0, -1, 0
	v_lshlrev_b32_e32 v1, 6, v4
                                        ; implicit-def: $vgpr4
	s_waitcnt vmcnt(0)
	v_cmp_lt_u32_e32 vcc_lo, v0, v3
	s_and_saveexec_b32 s4, vcc_lo
	s_cbranch_execz .LBB87_2
; %bb.1:
	s_waitcnt lgkmcnt(0)
	v_add_co_u32 v4, s0, s0, v1
	v_add_co_ci_u32_e64 v5, null, s1, 0, s0
	v_add_co_u32 v4, s0, v4, v0
	v_add_co_ci_u32_e64 v5, null, 0, v5, s0
	global_load_ubyte v4, v[4:5], off
.LBB87_2:
	s_or_b32 exec_lo, exec_lo, s4
	v_and_b32_e32 v5, 30, v0
	v_and_b32_e32 v8, 1, v0
	s_waitcnt lgkmcnt(0)
	s_mov_b32 s1, exec_lo
	; wave barrier
	v_min_i32_e32 v7, v3, v5
	v_min_i32_e32 v8, v3, v8
	v_add_nc_u32_e32 v5, 1, v7
	v_min_i32_e32 v5, v3, v5
	v_add_nc_u32_e32 v6, 1, v5
	v_sub_nc_u32_e32 v11, v5, v7
	v_min_i32_e32 v6, v3, v6
	v_sub_nc_u32_e32 v9, v6, v5
	v_sub_nc_u32_e32 v10, v8, v9
	v_cmp_ge_i32_e64 s0, v8, v9
	v_cndmask_b32_e64 v9, 0, v10, s0
	v_min_i32_e32 v10, v8, v11
	v_mad_u32_u24 v11, 0x41, v2, v0
	v_mul_u32_u24_e32 v2, 0x41, v2
	s_waitcnt vmcnt(0)
	ds_write_b8 v11, v4
	; wave barrier
	v_cmpx_lt_i32_e64 v9, v10
	s_cbranch_execz .LBB87_6
; %bb.3:
	v_add_nc_u32_e32 v11, v2, v7
	v_add3_u32 v12, v2, v5, v8
	s_mov_b32 s4, 0
	.p2align	6
.LBB87_4:                               ; =>This Inner Loop Header: Depth=1
	v_sub_nc_u32_e32 v13, v10, v9
	v_lshrrev_b32_e32 v13, 1, v13
	v_add_nc_u32_e32 v13, v13, v9
	v_add_nc_u32_e32 v14, v11, v13
	v_xad_u32 v15, v13, -1, v12
	v_add_nc_u32_e32 v16, 1, v13
	ds_read_i8 v14, v14
	ds_read_i8 v15, v15
	s_waitcnt lgkmcnt(0)
	v_cmp_lt_i16_e64 s0, v15, v14
	v_cndmask_b32_e64 v10, v10, v13, s0
	v_cndmask_b32_e64 v9, v16, v9, s0
	v_cmp_ge_i32_e64 s0, v9, v10
	s_or_b32 s4, s0, s4
	s_andn2_b32 exec_lo, exec_lo, s4
	s_cbranch_execnz .LBB87_4
; %bb.5:
	s_or_b32 exec_lo, exec_lo, s4
.LBB87_6:
	s_or_b32 exec_lo, exec_lo, s1
	v_add_nc_u32_e32 v8, v5, v8
	v_add_nc_u32_e32 v7, v9, v7
	v_sub_nc_u32_e32 v9, v8, v9
	v_add_nc_u32_e32 v8, v2, v7
	v_cmp_le_i32_e64 s0, v5, v7
	v_add_nc_u32_e32 v10, v2, v9
	v_cmp_gt_i32_e64 s1, v6, v9
	v_add_nc_u16 v6, v4, 1
	v_add_nc_u32_e32 v4, v2, v0
	ds_read_u8 v11, v8
	ds_read_u8 v10, v10
	v_and_b32_e32 v8, 28, v0
	; wave barrier
	ds_write_b8 v4, v6
	v_and_b32_e32 v6, 3, v0
	v_min_i32_e32 v8, v3, v8
	; wave barrier
	v_add_nc_u32_e32 v12, 2, v8
	v_min_i32_e32 v5, v3, v12
	s_waitcnt lgkmcnt(1)
	v_cmp_lt_i16_sdwa s4, sext(v10), sext(v11) src0_sel:BYTE_0 src1_sel:BYTE_0
	v_add_nc_u32_e32 v12, 2, v5
	s_or_b32 s0, s0, s4
	s_mov_b32 s4, 0
	s_and_b32 s0, s1, s0
	s_mov_b32 s1, exec_lo
	v_cndmask_b32_e64 v9, v7, v9, s0
	v_cndmask_b32_e64 v13, v11, v10, s0
	v_min_i32_e32 v7, v3, v12
	v_sub_nc_u32_e32 v12, v5, v8
	v_add_nc_u32_e32 v10, v2, v9
	v_min_i32_e32 v9, v3, v6
	v_sub_nc_u32_e32 v11, v7, v5
	ds_read_u8 v6, v10
	v_sub_nc_u32_e32 v10, v9, v11
	v_cmp_ge_i32_e64 s0, v9, v11
	v_min_i32_e32 v11, v9, v12
	; wave barrier
	ds_write_b8 v4, v13
	v_cndmask_b32_e64 v10, 0, v10, s0
	; wave barrier
	v_cmpx_lt_i32_e64 v10, v11
	s_cbranch_execz .LBB87_10
; %bb.7:
	v_add_nc_u32_e32 v12, v2, v8
	v_add3_u32 v13, v2, v5, v9
	.p2align	6
.LBB87_8:                               ; =>This Inner Loop Header: Depth=1
	v_sub_nc_u32_e32 v14, v11, v10
	v_lshrrev_b32_e32 v14, 1, v14
	v_add_nc_u32_e32 v14, v14, v10
	v_add_nc_u32_e32 v15, v12, v14
	v_xad_u32 v16, v14, -1, v13
	v_add_nc_u32_e32 v17, 1, v14
	ds_read_i8 v15, v15
	ds_read_i8 v16, v16
	s_waitcnt lgkmcnt(0)
	v_cmp_lt_i16_e64 s0, v16, v15
	v_cndmask_b32_e64 v11, v11, v14, s0
	v_cndmask_b32_e64 v10, v17, v10, s0
	v_cmp_ge_i32_e64 s0, v10, v11
	s_or_b32 s4, s0, s4
	s_andn2_b32 exec_lo, exec_lo, s4
	s_cbranch_execnz .LBB87_8
; %bb.9:
	s_or_b32 exec_lo, exec_lo, s4
.LBB87_10:
	s_or_b32 exec_lo, exec_lo, s1
	v_add_nc_u32_e32 v9, v5, v9
	v_add_nc_u32_e32 v8, v10, v8
	v_sub_nc_u32_e32 v10, v9, v10
	v_add_nc_u32_e32 v9, v2, v8
	v_cmp_le_i32_e64 s0, v5, v8
	v_add_nc_u32_e32 v11, v2, v10
	v_cmp_gt_i32_e64 s1, v7, v10
	ds_read_u8 v12, v9
	ds_read_u8 v11, v11
	v_and_b32_e32 v9, 24, v0
	; wave barrier
	s_waitcnt lgkmcnt(3)
	ds_write_b8 v4, v6
	v_and_b32_e32 v6, 7, v0
	v_min_i32_e32 v9, v3, v9
	; wave barrier
	v_min_i32_e32 v6, v3, v6
	v_add_nc_u32_e32 v13, 4, v9
	v_min_i32_e32 v5, v3, v13
	s_waitcnt lgkmcnt(1)
	v_cmp_lt_i16_sdwa s4, sext(v11), sext(v12) src0_sel:BYTE_0 src1_sel:BYTE_0
	v_add_nc_u32_e32 v7, 4, v5
	v_sub_nc_u32_e32 v13, v5, v9
	s_or_b32 s0, s0, s4
	s_mov_b32 s4, 0
	s_and_b32 s0, s1, s0
	s_mov_b32 s1, exec_lo
	v_cndmask_b32_e64 v10, v8, v10, s0
	v_min_i32_e32 v8, v3, v7
	v_cndmask_b32_e64 v12, v12, v11, s0
	v_add_nc_u32_e32 v7, v2, v10
	v_sub_nc_u32_e32 v10, v8, v5
	ds_read_u8 v7, v7
	v_sub_nc_u32_e32 v11, v6, v10
	v_cmp_ge_i32_e64 s0, v6, v10
	; wave barrier
	ds_write_b8 v4, v12
	v_cndmask_b32_e64 v10, 0, v11, s0
	v_min_i32_e32 v11, v6, v13
	; wave barrier
	v_cmpx_lt_i32_e64 v10, v11
	s_cbranch_execz .LBB87_14
; %bb.11:
	v_add_nc_u32_e32 v12, v2, v9
	v_add3_u32 v13, v2, v5, v6
	.p2align	6
.LBB87_12:                              ; =>This Inner Loop Header: Depth=1
	v_sub_nc_u32_e32 v14, v11, v10
	v_lshrrev_b32_e32 v14, 1, v14
	v_add_nc_u32_e32 v14, v14, v10
	v_add_nc_u32_e32 v15, v12, v14
	v_xad_u32 v16, v14, -1, v13
	v_add_nc_u32_e32 v17, 1, v14
	ds_read_i8 v15, v15
	ds_read_i8 v16, v16
	s_waitcnt lgkmcnt(0)
	v_cmp_lt_i16_e64 s0, v16, v15
	v_cndmask_b32_e64 v11, v11, v14, s0
	v_cndmask_b32_e64 v10, v17, v10, s0
	v_cmp_ge_i32_e64 s0, v10, v11
	s_or_b32 s4, s0, s4
	s_andn2_b32 exec_lo, exec_lo, s4
	s_cbranch_execnz .LBB87_12
; %bb.13:
	s_or_b32 exec_lo, exec_lo, s4
.LBB87_14:
	s_or_b32 exec_lo, exec_lo, s1
	v_add_nc_u32_e32 v6, v5, v6
	v_add_nc_u32_e32 v11, v10, v9
	v_sub_nc_u32_e32 v10, v6, v10
	v_add_nc_u32_e32 v6, v2, v11
	v_cmp_le_i32_e64 s0, v5, v11
	v_add_nc_u32_e32 v9, v2, v10
	v_cmp_gt_i32_e64 s1, v8, v10
	ds_read_u8 v12, v6
	ds_read_u8 v13, v9
	v_and_b32_e32 v6, 16, v0
	; wave barrier
	s_waitcnt lgkmcnt(3)
	ds_write_b8 v4, v7
	v_min_i32_e32 v9, v3, v6
	; wave barrier
	v_add_nc_u32_e32 v6, 8, v9
	v_min_i32_e32 v6, v3, v6
	s_waitcnt lgkmcnt(1)
	v_cmp_lt_i16_sdwa s4, sext(v13), sext(v12) src0_sel:BYTE_0 src1_sel:BYTE_0
	v_add_nc_u32_e32 v5, 8, v6
	s_or_b32 s0, s0, s4
	v_min_i32_e32 v7, v3, v5
	s_and_b32 s0, s1, s0
	s_mov_b32 s4, 0
	v_cndmask_b32_e64 v8, v11, v10, s0
	v_and_b32_e32 v10, 15, v0
	v_cndmask_b32_e64 v12, v12, v13, s0
	v_sub_nc_u32_e32 v13, v6, v9
	s_mov_b32 s1, exec_lo
	v_add_nc_u32_e32 v8, v2, v8
	v_min_i32_e32 v5, v3, v10
	v_sub_nc_u32_e32 v10, v7, v6
	ds_read_u8 v8, v8
	v_sub_nc_u32_e32 v11, v5, v10
	v_cmp_ge_i32_e64 s0, v5, v10
	; wave barrier
	ds_write_b8 v4, v12
	; wave barrier
	v_cndmask_b32_e64 v10, 0, v11, s0
	v_min_i32_e32 v11, v5, v13
	v_cmpx_lt_i32_e64 v10, v11
	s_cbranch_execz .LBB87_18
; %bb.15:
	v_add_nc_u32_e32 v12, v2, v9
	v_add3_u32 v13, v2, v6, v5
	.p2align	6
.LBB87_16:                              ; =>This Inner Loop Header: Depth=1
	v_sub_nc_u32_e32 v14, v11, v10
	v_lshrrev_b32_e32 v14, 1, v14
	v_add_nc_u32_e32 v14, v14, v10
	v_add_nc_u32_e32 v15, v12, v14
	v_xad_u32 v16, v14, -1, v13
	v_add_nc_u32_e32 v17, 1, v14
	ds_read_i8 v15, v15
	ds_read_i8 v16, v16
	s_waitcnt lgkmcnt(0)
	v_cmp_lt_i16_e64 s0, v16, v15
	v_cndmask_b32_e64 v11, v11, v14, s0
	v_cndmask_b32_e64 v10, v17, v10, s0
	v_cmp_ge_i32_e64 s0, v10, v11
	s_or_b32 s4, s0, s4
	s_andn2_b32 exec_lo, exec_lo, s4
	s_cbranch_execnz .LBB87_16
; %bb.17:
	s_or_b32 exec_lo, exec_lo, s4
.LBB87_18:
	s_or_b32 exec_lo, exec_lo, s1
	v_add_nc_u32_e32 v5, v6, v5
	v_add_nc_u32_e32 v9, v10, v9
	v_sub_nc_u32_e32 v10, v5, v10
	v_add_nc_u32_e32 v5, v2, v9
	v_cmp_le_i32_e64 s0, v6, v9
	v_add_nc_u32_e32 v11, v2, v10
	v_cmp_gt_i32_e64 s1, v7, v10
	ds_read_u8 v12, v5
	ds_read_u8 v11, v11
	v_min_i32_e32 v5, 0, v3
	; wave barrier
	s_waitcnt lgkmcnt(3)
	ds_write_b8 v4, v8
	v_add_nc_u32_e32 v6, 16, v5
	; wave barrier
	v_min_i32_e32 v7, v3, v6
	v_add_nc_u32_e32 v6, 16, v7
	v_sub_nc_u32_e32 v13, v7, v5
	s_waitcnt lgkmcnt(1)
	v_cmp_lt_i16_sdwa s4, sext(v11), sext(v12) src0_sel:BYTE_0 src1_sel:BYTE_0
	s_or_b32 s0, s0, s4
	s_mov_b32 s4, 0
	s_and_b32 s0, s1, s0
	s_mov_b32 s1, exec_lo
	v_cndmask_b32_e64 v10, v9, v10, s0
	v_min_i32_e32 v9, v3, v6
	v_min_i32_e32 v6, v3, v0
	v_cndmask_b32_e64 v12, v12, v11, s0
	v_add_nc_u32_e32 v8, v2, v10
	v_sub_nc_u32_e32 v10, v9, v7
	ds_read_u8 v8, v8
	v_sub_nc_u32_e32 v11, v6, v10
	v_cmp_ge_i32_e64 s0, v6, v10
	; wave barrier
	ds_write_b8 v4, v12
	v_cndmask_b32_e64 v10, 0, v11, s0
	v_min_i32_e32 v11, v6, v13
	; wave barrier
	v_cmpx_lt_i32_e64 v10, v11
	s_cbranch_execz .LBB87_22
; %bb.19:
	v_add_nc_u32_e32 v12, v2, v5
	v_add3_u32 v13, v2, v7, v6
	.p2align	6
.LBB87_20:                              ; =>This Inner Loop Header: Depth=1
	v_sub_nc_u32_e32 v14, v11, v10
	v_lshrrev_b32_e32 v14, 1, v14
	v_add_nc_u32_e32 v14, v14, v10
	v_add_nc_u32_e32 v15, v12, v14
	v_xad_u32 v16, v14, -1, v13
	v_add_nc_u32_e32 v17, 1, v14
	ds_read_i8 v15, v15
	ds_read_i8 v16, v16
	s_waitcnt lgkmcnt(0)
	v_cmp_lt_i16_e64 s0, v16, v15
	v_cndmask_b32_e64 v11, v11, v14, s0
	v_cndmask_b32_e64 v10, v17, v10, s0
	v_cmp_ge_i32_e64 s0, v10, v11
	s_or_b32 s4, s0, s4
	s_andn2_b32 exec_lo, exec_lo, s4
	s_cbranch_execnz .LBB87_20
; %bb.21:
	s_or_b32 exec_lo, exec_lo, s4
.LBB87_22:
	s_or_b32 exec_lo, exec_lo, s1
	v_add_nc_u32_e32 v11, v7, v6
	v_add_nc_u32_e32 v12, v10, v5
	;; [unrolled: 1-line block ×3, first 2 shown]
	v_sub_nc_u32_e32 v10, v11, v10
	v_add_nc_u32_e32 v11, v2, v12
	v_cmp_le_i32_e64 s0, v7, v12
	v_min_i32_e32 v7, v3, v14
	v_add_nc_u32_e32 v13, v2, v10
	v_cmp_gt_i32_e64 s1, v9, v10
	ds_read_u8 v11, v11
	ds_read_u8 v13, v13
	v_add_nc_u32_e32 v9, 32, v7
	; wave barrier
	s_waitcnt lgkmcnt(3)
	ds_write_b8 v4, v8
	v_min_i32_e32 v3, v3, v9
	; wave barrier
	s_waitcnt lgkmcnt(1)
	v_cmp_lt_i16_sdwa s4, sext(v13), sext(v11) src0_sel:BYTE_0 src1_sel:BYTE_0
	s_or_b32 s0, s0, s4
	s_mov_b32 s4, 0
	s_and_b32 s0, s1, s0
	s_mov_b32 s1, exec_lo
	v_cndmask_b32_e64 v10, v12, v10, s0
	v_cndmask_b32_e64 v11, v11, v13, s0
	v_sub_nc_u32_e32 v12, v7, v5
	v_add_nc_u32_e32 v9, v2, v10
	v_sub_nc_u32_e32 v10, v3, v7
	ds_read_u8 v8, v9
	v_sub_nc_u32_e32 v9, v6, v10
	v_cmp_ge_i32_e64 s0, v6, v10
	v_min_i32_e32 v10, v6, v12
	; wave barrier
	ds_write_b8 v4, v11
	v_cndmask_b32_e64 v9, 0, v9, s0
	; wave barrier
	v_cmpx_lt_i32_e64 v9, v10
	s_cbranch_execz .LBB87_26
; %bb.23:
	v_add_nc_u32_e32 v11, v2, v5
	v_add3_u32 v12, v2, v7, v6
	.p2align	6
.LBB87_24:                              ; =>This Inner Loop Header: Depth=1
	v_sub_nc_u32_e32 v13, v10, v9
	v_lshrrev_b32_e32 v13, 1, v13
	v_add_nc_u32_e32 v13, v13, v9
	v_add_nc_u32_e32 v14, v11, v13
	v_xad_u32 v15, v13, -1, v12
	v_add_nc_u32_e32 v16, 1, v13
	ds_read_i8 v14, v14
	ds_read_i8 v15, v15
	s_waitcnt lgkmcnt(0)
	v_cmp_lt_i16_e64 s0, v15, v14
	v_cndmask_b32_e64 v10, v10, v13, s0
	v_cndmask_b32_e64 v9, v16, v9, s0
	v_cmp_ge_i32_e64 s0, v9, v10
	s_or_b32 s4, s0, s4
	s_andn2_b32 exec_lo, exec_lo, s4
	s_cbranch_execnz .LBB87_24
; %bb.25:
	s_or_b32 exec_lo, exec_lo, s4
.LBB87_26:
	s_or_b32 exec_lo, exec_lo, s1
	v_add_nc_u32_e32 v6, v7, v6
	v_add_nc_u32_e32 v5, v9, v5
	v_sub_nc_u32_e32 v6, v6, v9
	v_add_nc_u32_e32 v9, v2, v5
	v_add_nc_u32_e32 v10, v2, v6
	ds_read_i8 v9, v9
	ds_read_i8 v10, v10
	; wave barrier
	s_waitcnt lgkmcnt(3)
	ds_write_b8 v4, v8
	; wave barrier
	s_and_saveexec_b32 s0, vcc_lo
	s_cbranch_execz .LBB87_28
; %bb.27:
	v_cmp_le_i32_e32 vcc_lo, v7, v5
	s_waitcnt lgkmcnt(1)
	v_cmp_lt_i16_sdwa s1, sext(v10), sext(v9) src0_sel:BYTE_0 src1_sel:BYTE_0
	v_cmp_gt_i32_e64 s0, v3, v6
	s_or_b32 s1, vcc_lo, s1
	s_and_b32 vcc_lo, s0, s1
	v_add_co_u32 v1, s0, s2, v1
	v_cndmask_b32_e32 v4, v5, v6, vcc_lo
	v_cndmask_b32_e32 v3, v9, v10, vcc_lo
	v_add_co_u32 v0, vcc_lo, v1, v0
	v_add_nc_u32_e32 v2, v2, v4
	v_add_co_ci_u32_e64 v4, null, s3, 0, s0
	ds_read_u8 v2, v2
	v_add_co_ci_u32_e64 v1, null, 0, v4, vcc_lo
	s_waitcnt lgkmcnt(0)
	v_add_nc_u16 v2, v2, v3
	global_store_byte v[0:1], v2, off
.LBB87_28:
	s_endpgm
	.section	.rodata,"a",@progbits
	.p2align	6, 0x0
	.amdhsa_kernel _Z20sort_pairs_segmentedILj256ELj64ELj1EaN10test_utils4lessEEvPKT2_PS2_PKjT3_
		.amdhsa_group_segment_fixed_size 260
		.amdhsa_private_segment_fixed_size 0
		.amdhsa_kernarg_size 28
		.amdhsa_user_sgpr_count 6
		.amdhsa_user_sgpr_private_segment_buffer 1
		.amdhsa_user_sgpr_dispatch_ptr 0
		.amdhsa_user_sgpr_queue_ptr 0
		.amdhsa_user_sgpr_kernarg_segment_ptr 1
		.amdhsa_user_sgpr_dispatch_id 0
		.amdhsa_user_sgpr_flat_scratch_init 0
		.amdhsa_user_sgpr_private_segment_size 0
		.amdhsa_wavefront_size32 1
		.amdhsa_uses_dynamic_stack 0
		.amdhsa_system_sgpr_private_segment_wavefront_offset 0
		.amdhsa_system_sgpr_workgroup_id_x 1
		.amdhsa_system_sgpr_workgroup_id_y 0
		.amdhsa_system_sgpr_workgroup_id_z 0
		.amdhsa_system_sgpr_workgroup_info 0
		.amdhsa_system_vgpr_workitem_id 0
		.amdhsa_next_free_vgpr 18
		.amdhsa_next_free_sgpr 7
		.amdhsa_reserve_vcc 1
		.amdhsa_reserve_flat_scratch 0
		.amdhsa_float_round_mode_32 0
		.amdhsa_float_round_mode_16_64 0
		.amdhsa_float_denorm_mode_32 3
		.amdhsa_float_denorm_mode_16_64 3
		.amdhsa_dx10_clamp 1
		.amdhsa_ieee_mode 1
		.amdhsa_fp16_overflow 0
		.amdhsa_workgroup_processor_mode 1
		.amdhsa_memory_ordered 1
		.amdhsa_forward_progress 1
		.amdhsa_shared_vgpr_count 0
		.amdhsa_exception_fp_ieee_invalid_op 0
		.amdhsa_exception_fp_denorm_src 0
		.amdhsa_exception_fp_ieee_div_zero 0
		.amdhsa_exception_fp_ieee_overflow 0
		.amdhsa_exception_fp_ieee_underflow 0
		.amdhsa_exception_fp_ieee_inexact 0
		.amdhsa_exception_int_div_zero 0
	.end_amdhsa_kernel
	.section	.text._Z20sort_pairs_segmentedILj256ELj64ELj1EaN10test_utils4lessEEvPKT2_PS2_PKjT3_,"axG",@progbits,_Z20sort_pairs_segmentedILj256ELj64ELj1EaN10test_utils4lessEEvPKT2_PS2_PKjT3_,comdat
.Lfunc_end87:
	.size	_Z20sort_pairs_segmentedILj256ELj64ELj1EaN10test_utils4lessEEvPKT2_PS2_PKjT3_, .Lfunc_end87-_Z20sort_pairs_segmentedILj256ELj64ELj1EaN10test_utils4lessEEvPKT2_PS2_PKjT3_
                                        ; -- End function
	.set _Z20sort_pairs_segmentedILj256ELj64ELj1EaN10test_utils4lessEEvPKT2_PS2_PKjT3_.num_vgpr, 18
	.set _Z20sort_pairs_segmentedILj256ELj64ELj1EaN10test_utils4lessEEvPKT2_PS2_PKjT3_.num_agpr, 0
	.set _Z20sort_pairs_segmentedILj256ELj64ELj1EaN10test_utils4lessEEvPKT2_PS2_PKjT3_.numbered_sgpr, 7
	.set _Z20sort_pairs_segmentedILj256ELj64ELj1EaN10test_utils4lessEEvPKT2_PS2_PKjT3_.num_named_barrier, 0
	.set _Z20sort_pairs_segmentedILj256ELj64ELj1EaN10test_utils4lessEEvPKT2_PS2_PKjT3_.private_seg_size, 0
	.set _Z20sort_pairs_segmentedILj256ELj64ELj1EaN10test_utils4lessEEvPKT2_PS2_PKjT3_.uses_vcc, 1
	.set _Z20sort_pairs_segmentedILj256ELj64ELj1EaN10test_utils4lessEEvPKT2_PS2_PKjT3_.uses_flat_scratch, 0
	.set _Z20sort_pairs_segmentedILj256ELj64ELj1EaN10test_utils4lessEEvPKT2_PS2_PKjT3_.has_dyn_sized_stack, 0
	.set _Z20sort_pairs_segmentedILj256ELj64ELj1EaN10test_utils4lessEEvPKT2_PS2_PKjT3_.has_recursion, 0
	.set _Z20sort_pairs_segmentedILj256ELj64ELj1EaN10test_utils4lessEEvPKT2_PS2_PKjT3_.has_indirect_call, 0
	.section	.AMDGPU.csdata,"",@progbits
; Kernel info:
; codeLenInByte = 2248
; TotalNumSgprs: 9
; NumVgprs: 18
; ScratchSize: 0
; MemoryBound: 0
; FloatMode: 240
; IeeeMode: 1
; LDSByteSize: 260 bytes/workgroup (compile time only)
; SGPRBlocks: 0
; VGPRBlocks: 2
; NumSGPRsForWavesPerEU: 9
; NumVGPRsForWavesPerEU: 18
; Occupancy: 16
; WaveLimiterHint : 0
; COMPUTE_PGM_RSRC2:SCRATCH_EN: 0
; COMPUTE_PGM_RSRC2:USER_SGPR: 6
; COMPUTE_PGM_RSRC2:TRAP_HANDLER: 0
; COMPUTE_PGM_RSRC2:TGID_X_EN: 1
; COMPUTE_PGM_RSRC2:TGID_Y_EN: 0
; COMPUTE_PGM_RSRC2:TGID_Z_EN: 0
; COMPUTE_PGM_RSRC2:TIDIG_COMP_CNT: 0
	.section	.text._Z9sort_keysILj256ELj64ELj4EaN10test_utils4lessEEvPKT2_PS2_T3_,"axG",@progbits,_Z9sort_keysILj256ELj64ELj4EaN10test_utils4lessEEvPKT2_PS2_T3_,comdat
	.protected	_Z9sort_keysILj256ELj64ELj4EaN10test_utils4lessEEvPKT2_PS2_T3_ ; -- Begin function _Z9sort_keysILj256ELj64ELj4EaN10test_utils4lessEEvPKT2_PS2_T3_
	.globl	_Z9sort_keysILj256ELj64ELj4EaN10test_utils4lessEEvPKT2_PS2_T3_
	.p2align	8
	.type	_Z9sort_keysILj256ELj64ELj4EaN10test_utils4lessEEvPKT2_PS2_T3_,@function
_Z9sort_keysILj256ELj64ELj4EaN10test_utils4lessEEvPKT2_PS2_T3_: ; @_Z9sort_keysILj256ELj64ELj4EaN10test_utils4lessEEvPKT2_PS2_T3_
; %bb.0:
	s_load_dwordx4 s[8:11], s[4:5], 0x0
	s_lshl_b32 s3, s6, 10
	v_lshlrev_b32_e32 v1, 2, v0
	v_lshrrev_b32_e32 v0, 6, v0
	s_waitcnt lgkmcnt(0)
	s_add_u32 s0, s8, s3
	s_addc_u32 s1, s9, 0
	global_load_dword v2, v1, s[0:1]
	s_mov_b32 s1, exec_lo
	; wave barrier
	s_waitcnt vmcnt(0)
	v_lshrrev_b32_e32 v3, 8, v2
	v_bfe_i32 v4, v2, 0, 8
	v_perm_b32 v5, v2, v2, 0x7060405
	v_bfe_i32 v3, v3, 0, 8
	v_cmp_lt_i16_e32 vcc_lo, v3, v4
	v_cndmask_b32_e32 v2, v2, v5, vcc_lo
	v_lshrrev_b32_e32 v5, 16, v2
	v_lshrrev_b32_e32 v6, 24, v2
	v_perm_b32 v7, 0, v5, 0xc0c0001
	v_bfe_i32 v6, v6, 0, 8
	v_bfe_i32 v5, v5, 0, 8
	v_lshlrev_b32_e32 v7, 16, v7
	v_min_i16 v8, v6, v5
	v_cmp_lt_i16_e32 vcc_lo, v6, v5
	v_and_or_b32 v7, 0xffff, v2, v7
	v_lshlrev_b16 v9, 8, v8
	v_cndmask_b32_e32 v2, v2, v7, vcc_lo
	v_min_i16 v7, v3, v4
	v_max_i16 v3, v3, v4
	v_or_b32_sdwa v4, v2, v9 dst_sel:DWORD dst_unused:UNUSED_PAD src0_sel:BYTE_0 src1_sel:DWORD
	v_lshlrev_b16 v9, 8, v7
	v_min_i16 v10, v8, v3
	v_perm_b32 v11, v3, v2, 0xc0c0304
	v_cmp_lt_i16_e32 vcc_lo, v8, v3
	v_and_b32_e32 v4, 0xffff, v4
	v_or_b32_sdwa v9, v10, v9 dst_sel:DWORD dst_unused:UNUSED_PAD src0_sel:BYTE_0 src1_sel:DWORD
	v_lshl_or_b32 v4, v11, 16, v4
	v_max_i16 v11, v8, v3
	v_and_b32_e32 v9, 0xffff, v9
	v_cndmask_b32_e32 v2, v2, v4, vcc_lo
	v_max_i16 v4, v6, v5
	v_cmp_lt_i16_e32 vcc_lo, v8, v7
	v_lshlrev_b16 v5, 8, v11
	v_and_or_b32 v6, 0xffff0000, v2, v9
	v_cmp_gt_i16_e64 s0, v3, v4
	v_cndmask_b32_e32 v10, v10, v7, vcc_lo
	v_or_b32_sdwa v5, v4, v5 dst_sel:WORD_1 dst_unused:UNUSED_PAD src0_sel:BYTE_0 src1_sel:DWORD
	v_cndmask_b32_e32 v6, v2, v6, vcc_lo
	v_mbcnt_lo_u32_b32 v2, -1, 0
	v_cndmask_b32_e64 v11, v11, v4, s0
	v_and_or_b32 v5, 0xffff, v6, v5
	v_lshlrev_b32_e32 v2, 2, v2
	v_cndmask_b32_e64 v9, v6, v5, s0
	v_and_b32_e32 v4, 0x78, v2
	v_lshlrev_b16 v6, 8, v11
	v_mad_u32_u24 v15, 0x101, v0, v2
	v_mul_u32_u24_e32 v0, 0x101, v0
	v_perm_b32 v8, v10, v9, 0xc0c0304
	v_or_b32_e32 v5, 4, v4
	v_add_nc_u32_e32 v3, 8, v4
	v_or_b32_sdwa v7, v9, v6 dst_sel:DWORD dst_unused:UNUSED_PAD src0_sel:BYTE_0 src1_sel:DWORD
	v_and_b32_e32 v6, 4, v2
	s_mov_b32 s0, 0
	v_sub_nc_u32_e32 v13, v5, v4
	v_sub_nc_u32_e32 v12, v3, v5
	v_and_b32_e32 v7, 0xffff, v7
	v_sub_nc_u32_e32 v14, v6, v12
	v_cmp_ge_i32_e32 vcc_lo, v6, v12
	v_lshl_or_b32 v16, v8, 16, v7
	v_min_i32_e32 v8, v6, v13
	v_cndmask_b32_e32 v7, 0, v14, vcc_lo
	v_cmp_lt_i16_e32 vcc_lo, v11, v10
	v_cndmask_b32_e32 v9, v9, v16, vcc_lo
	ds_write_b32 v15, v9
	; wave barrier
	v_cmpx_lt_i32_e64 v7, v8
	s_cbranch_execz .LBB88_4
; %bb.1:
	v_add_nc_u32_e32 v9, v0, v4
	v_add3_u32 v10, v0, v5, v6
	.p2align	6
.LBB88_2:                               ; =>This Inner Loop Header: Depth=1
	v_sub_nc_u32_e32 v11, v8, v7
	v_lshrrev_b32_e32 v11, 1, v11
	v_add_nc_u32_e32 v11, v11, v7
	v_add_nc_u32_e32 v12, v9, v11
	v_xad_u32 v13, v11, -1, v10
	v_add_nc_u32_e32 v14, 1, v11
	ds_read_i8 v12, v12
	ds_read_i8 v13, v13
	s_waitcnt lgkmcnt(0)
	v_cmp_lt_i16_e32 vcc_lo, v13, v12
	v_cndmask_b32_e32 v8, v8, v11, vcc_lo
	v_cndmask_b32_e32 v7, v14, v7, vcc_lo
	v_cmp_ge_i32_e32 vcc_lo, v7, v8
	s_or_b32 s0, vcc_lo, s0
	s_andn2_b32 exec_lo, exec_lo, s0
	s_cbranch_execnz .LBB88_2
; %bb.3:
	s_or_b32 exec_lo, exec_lo, s0
.LBB88_4:
	s_or_b32 exec_lo, exec_lo, s1
	v_add_nc_u32_e32 v6, v5, v6
	v_add_nc_u32_e32 v4, v7, v4
                                        ; implicit-def: $vgpr9
	v_sub_nc_u32_e32 v6, v6, v7
	v_add_nc_u32_e32 v10, v0, v4
	v_cmp_le_i32_e32 vcc_lo, v5, v4
	v_add_nc_u32_e32 v11, v0, v6
	v_cmp_gt_i32_e64 s1, v3, v6
	ds_read_u8 v7, v10
	ds_read_u8 v8, v11
	s_waitcnt lgkmcnt(1)
	v_bfe_i32 v7, v7, 0, 8
	s_waitcnt lgkmcnt(0)
	v_bfe_i32 v8, v8, 0, 8
	v_cmp_lt_i16_e64 s0, v8, v7
	s_or_b32 s0, vcc_lo, s0
	s_and_b32 vcc_lo, s1, s0
	s_xor_b32 s0, vcc_lo, -1
	s_and_saveexec_b32 s1, s0
	s_xor_b32 s0, exec_lo, s1
; %bb.5:
	ds_read_u8 v9, v10 offset:1
                                        ; implicit-def: $vgpr11
; %bb.6:
	s_or_saveexec_b32 s0, s0
	v_mov_b32_e32 v10, v8
	s_xor_b32 exec_lo, exec_lo, s0
	s_cbranch_execz .LBB88_8
; %bb.7:
	ds_read_u8 v10, v11 offset:1
	s_waitcnt lgkmcnt(1)
	v_mov_b32_e32 v9, v7
.LBB88_8:
	s_or_b32 exec_lo, exec_lo, s0
	v_add_nc_u32_e32 v11, 1, v4
	v_add_nc_u32_e32 v13, 1, v6
	s_waitcnt lgkmcnt(0)
	v_cmp_lt_i16_sdwa s2, sext(v10), sext(v9) src0_sel:BYTE_0 src1_sel:BYTE_0
	v_cndmask_b32_e32 v12, v11, v4, vcc_lo
	v_cndmask_b32_e32 v11, v6, v13, vcc_lo
                                        ; implicit-def: $vgpr4
	v_cmp_ge_i32_e64 s0, v12, v5
	v_cmp_lt_i32_e64 s1, v11, v3
	s_or_b32 s0, s0, s2
	s_and_b32 s0, s1, s0
	s_xor_b32 s1, s0, -1
	s_and_saveexec_b32 s2, s1
	s_xor_b32 s1, exec_lo, s2
; %bb.9:
	v_add_nc_u32_e32 v4, v0, v12
	ds_read_u8 v4, v4 offset:1
; %bb.10:
	s_or_saveexec_b32 s1, s1
	v_mov_b32_e32 v6, v10
	s_xor_b32 exec_lo, exec_lo, s1
	s_cbranch_execz .LBB88_12
; %bb.11:
	s_waitcnt lgkmcnt(0)
	v_add_nc_u32_e32 v4, v0, v11
	ds_read_u8 v6, v4 offset:1
	v_mov_b32_e32 v4, v9
.LBB88_12:
	s_or_b32 exec_lo, exec_lo, s1
	v_add_nc_u32_e32 v13, 1, v12
	v_add_nc_u32_e32 v15, 1, v11
	s_waitcnt lgkmcnt(0)
	v_cmp_lt_i16_sdwa s4, sext(v6), sext(v4) src0_sel:BYTE_0 src1_sel:BYTE_0
	v_cndmask_b32_e64 v14, v13, v12, s0
	v_cndmask_b32_e64 v12, v11, v15, s0
                                        ; implicit-def: $vgpr13
	v_cmp_ge_i32_e64 s1, v14, v5
	v_cmp_lt_i32_e64 s2, v12, v3
	s_or_b32 s1, s1, s4
	s_and_b32 s1, s2, s1
	s_xor_b32 s2, s1, -1
	s_and_saveexec_b32 s4, s2
	s_xor_b32 s2, exec_lo, s4
; %bb.13:
	v_add_nc_u32_e32 v11, v0, v14
	ds_read_u8 v13, v11 offset:1
; %bb.14:
	s_or_saveexec_b32 s2, s2
	v_mov_b32_e32 v15, v6
	s_xor_b32 exec_lo, exec_lo, s2
	s_cbranch_execz .LBB88_16
; %bb.15:
	v_add_nc_u32_e32 v11, v0, v12
	s_waitcnt lgkmcnt(0)
	v_mov_b32_e32 v13, v4
	ds_read_u8 v15, v11 offset:1
.LBB88_16:
	s_or_b32 exec_lo, exec_lo, s2
	v_add_nc_u32_e32 v16, 1, v14
	v_add_nc_u32_e32 v17, 1, v12
	v_and_b32_e32 v11, 0x70, v2
	v_cndmask_b32_e64 v18, v4, v6, s1
	s_waitcnt lgkmcnt(0)
	v_cmp_lt_i16_sdwa s2, sext(v15), sext(v13) src0_sel:BYTE_0 src1_sel:BYTE_0
	v_cndmask_b32_e64 v14, v16, v14, s1
	v_cndmask_b32_e64 v12, v12, v17, s1
	v_or_b32_e32 v6, 8, v11
	v_add_nc_u32_e32 v4, 16, v11
	v_cndmask_b32_e64 v9, v9, v10, s0
	v_cmp_ge_i32_e64 s1, v14, v5
	v_cmp_lt_i32_e64 s0, v12, v3
	v_and_b32_e32 v5, 12, v2
	v_sub_nc_u32_e32 v10, v4, v6
	v_cndmask_b32_e32 v12, v7, v8, vcc_lo
	s_or_b32 s1, s1, s2
	v_sub_nc_u32_e32 v8, v6, v11
	s_and_b32 vcc_lo, s0, s1
	v_sub_nc_u32_e32 v7, v5, v10
	v_cndmask_b32_e32 v13, v13, v15, vcc_lo
	v_cmp_ge_i32_e32 vcc_lo, v5, v10
	v_add_nc_u32_e32 v3, v0, v2
	v_min_i32_e32 v8, v5, v8
	s_mov_b32 s1, 0
	s_mov_b32 s0, exec_lo
	v_cndmask_b32_e32 v7, 0, v7, vcc_lo
	; wave barrier
	ds_write_b8 v3, v12
	ds_write_b8 v3, v9 offset:1
	ds_write_b8 v3, v18 offset:2
	;; [unrolled: 1-line block ×3, first 2 shown]
	; wave barrier
	v_cmpx_lt_i32_e64 v7, v8
	s_cbranch_execz .LBB88_20
; %bb.17:
	v_add_nc_u32_e32 v9, v0, v11
	v_add3_u32 v10, v0, v6, v5
	.p2align	6
.LBB88_18:                              ; =>This Inner Loop Header: Depth=1
	v_sub_nc_u32_e32 v12, v8, v7
	v_lshrrev_b32_e32 v12, 1, v12
	v_add_nc_u32_e32 v12, v12, v7
	v_add_nc_u32_e32 v13, v9, v12
	v_xad_u32 v14, v12, -1, v10
	v_add_nc_u32_e32 v15, 1, v12
	ds_read_i8 v13, v13
	ds_read_i8 v14, v14
	s_waitcnt lgkmcnt(0)
	v_cmp_lt_i16_e32 vcc_lo, v14, v13
	v_cndmask_b32_e32 v8, v8, v12, vcc_lo
	v_cndmask_b32_e32 v7, v15, v7, vcc_lo
	v_cmp_ge_i32_e32 vcc_lo, v7, v8
	s_or_b32 s1, vcc_lo, s1
	s_andn2_b32 exec_lo, exec_lo, s1
	s_cbranch_execnz .LBB88_18
; %bb.19:
	s_or_b32 exec_lo, exec_lo, s1
.LBB88_20:
	s_or_b32 exec_lo, exec_lo, s0
	v_add_nc_u32_e32 v5, v6, v5
	v_add_nc_u32_e32 v10, v7, v11
	v_sub_nc_u32_e32 v11, v5, v7
	v_add_nc_u32_e32 v7, v0, v10
	v_cmp_le_i32_e32 vcc_lo, v6, v10
	v_add_nc_u32_e32 v12, v0, v11
	v_cmp_gt_i32_e64 s1, v4, v11
	ds_read_u8 v5, v7
	ds_read_u8 v9, v12
	s_waitcnt lgkmcnt(1)
	v_bfe_i32 v8, v5, 0, 8
	s_waitcnt lgkmcnt(0)
	v_bfe_i32 v9, v9, 0, 8
                                        ; implicit-def: $vgpr5
	v_cmp_lt_i16_e64 s0, v9, v8
	s_or_b32 s0, vcc_lo, s0
	s_and_b32 vcc_lo, s1, s0
	s_xor_b32 s0, vcc_lo, -1
	s_and_saveexec_b32 s1, s0
	s_xor_b32 s0, exec_lo, s1
; %bb.21:
	ds_read_u8 v5, v7 offset:1
                                        ; implicit-def: $vgpr12
; %bb.22:
	s_or_saveexec_b32 s0, s0
	v_mov_b32_e32 v7, v9
	s_xor_b32 exec_lo, exec_lo, s0
	s_cbranch_execz .LBB88_24
; %bb.23:
	ds_read_u8 v7, v12 offset:1
	s_waitcnt lgkmcnt(1)
	v_mov_b32_e32 v5, v8
.LBB88_24:
	s_or_b32 exec_lo, exec_lo, s0
	v_add_nc_u32_e32 v12, 1, v10
	v_add_nc_u32_e32 v14, 1, v11
	s_waitcnt lgkmcnt(0)
	v_cmp_lt_i16_sdwa s2, sext(v7), sext(v5) src0_sel:BYTE_0 src1_sel:BYTE_0
	v_cndmask_b32_e32 v13, v12, v10, vcc_lo
	v_cndmask_b32_e32 v11, v11, v14, vcc_lo
                                        ; implicit-def: $vgpr10
	v_cmp_ge_i32_e64 s0, v13, v6
	v_cmp_lt_i32_e64 s1, v11, v4
	s_or_b32 s0, s0, s2
	s_and_b32 s0, s1, s0
	s_xor_b32 s1, s0, -1
	s_and_saveexec_b32 s2, s1
	s_xor_b32 s1, exec_lo, s2
; %bb.25:
	v_add_nc_u32_e32 v10, v0, v13
	ds_read_u8 v10, v10 offset:1
; %bb.26:
	s_or_saveexec_b32 s1, s1
	v_mov_b32_e32 v12, v7
	s_xor_b32 exec_lo, exec_lo, s1
	s_cbranch_execz .LBB88_28
; %bb.27:
	s_waitcnt lgkmcnt(0)
	v_add_nc_u32_e32 v10, v0, v11
	ds_read_u8 v12, v10 offset:1
	v_mov_b32_e32 v10, v5
.LBB88_28:
	s_or_b32 exec_lo, exec_lo, s1
	v_add_nc_u32_e32 v14, 1, v13
	v_add_nc_u32_e32 v16, 1, v11
	s_waitcnt lgkmcnt(0)
	v_cmp_lt_i16_sdwa s4, sext(v12), sext(v10) src0_sel:BYTE_0 src1_sel:BYTE_0
	v_cndmask_b32_e64 v15, v14, v13, s0
	v_cndmask_b32_e64 v13, v11, v16, s0
                                        ; implicit-def: $vgpr14
	v_cmp_ge_i32_e64 s1, v15, v6
	v_cmp_lt_i32_e64 s2, v13, v4
	s_or_b32 s1, s1, s4
	s_and_b32 s1, s2, s1
	s_xor_b32 s2, s1, -1
	s_and_saveexec_b32 s4, s2
	s_xor_b32 s2, exec_lo, s4
; %bb.29:
	v_add_nc_u32_e32 v11, v0, v15
	ds_read_u8 v14, v11 offset:1
; %bb.30:
	s_or_saveexec_b32 s2, s2
	v_mov_b32_e32 v16, v12
	s_xor_b32 exec_lo, exec_lo, s2
	s_cbranch_execz .LBB88_32
; %bb.31:
	v_add_nc_u32_e32 v11, v0, v13
	s_waitcnt lgkmcnt(0)
	v_mov_b32_e32 v14, v10
	ds_read_u8 v16, v11 offset:1
.LBB88_32:
	s_or_b32 exec_lo, exec_lo, s2
	v_add_nc_u32_e32 v17, 1, v15
	v_cndmask_b32_e64 v10, v10, v12, s1
	v_add_nc_u32_e32 v12, 1, v13
	v_and_b32_e32 v11, 0x60, v2
	v_cndmask_b32_e64 v18, v5, v7, s0
	v_cndmask_b32_e64 v15, v17, v15, s1
	s_waitcnt lgkmcnt(0)
	v_cmp_lt_i16_sdwa s2, sext(v16), sext(v14) src0_sel:BYTE_0 src1_sel:BYTE_0
	v_cndmask_b32_e64 v12, v13, v12, s1
	v_or_b32_e32 v7, 16, v11
	v_add_nc_u32_e32 v5, 32, v11
	v_cmp_ge_i32_e64 s0, v15, v6
	v_and_b32_e32 v6, 28, v2
	v_cmp_lt_i32_e64 s1, v12, v4
	v_cndmask_b32_e32 v9, v8, v9, vcc_lo
	v_sub_nc_u32_e32 v13, v5, v7
	s_or_b32 s0, s0, s2
	v_sub_nc_u32_e32 v8, v7, v11
	s_and_b32 vcc_lo, s1, s0
	s_mov_b32 s1, 0
	v_sub_nc_u32_e32 v4, v6, v13
	v_cndmask_b32_e32 v12, v14, v16, vcc_lo
	v_cmp_ge_i32_e32 vcc_lo, v6, v13
	v_min_i32_e32 v8, v6, v8
	s_mov_b32 s0, exec_lo
	; wave barrier
	v_cndmask_b32_e32 v4, 0, v4, vcc_lo
	ds_write_b8 v3, v9
	ds_write_b8 v3, v18 offset:1
	ds_write_b8 v3, v10 offset:2
	ds_write_b8 v3, v12 offset:3
	; wave barrier
	v_cmpx_lt_i32_e64 v4, v8
	s_cbranch_execz .LBB88_36
; %bb.33:
	v_add_nc_u32_e32 v9, v0, v11
	v_add3_u32 v10, v0, v7, v6
	.p2align	6
.LBB88_34:                              ; =>This Inner Loop Header: Depth=1
	v_sub_nc_u32_e32 v12, v8, v4
	v_lshrrev_b32_e32 v12, 1, v12
	v_add_nc_u32_e32 v12, v12, v4
	v_add_nc_u32_e32 v13, v9, v12
	v_xad_u32 v14, v12, -1, v10
	v_add_nc_u32_e32 v15, 1, v12
	ds_read_i8 v13, v13
	ds_read_i8 v14, v14
	s_waitcnt lgkmcnt(0)
	v_cmp_lt_i16_e32 vcc_lo, v14, v13
	v_cndmask_b32_e32 v8, v8, v12, vcc_lo
	v_cndmask_b32_e32 v4, v15, v4, vcc_lo
	v_cmp_ge_i32_e32 vcc_lo, v4, v8
	s_or_b32 s1, vcc_lo, s1
	s_andn2_b32 exec_lo, exec_lo, s1
	s_cbranch_execnz .LBB88_34
; %bb.35:
	s_or_b32 exec_lo, exec_lo, s1
.LBB88_36:
	s_or_b32 exec_lo, exec_lo, s0
	v_add_nc_u32_e32 v6, v7, v6
	v_add_nc_u32_e32 v10, v4, v11
	v_sub_nc_u32_e32 v11, v6, v4
	v_add_nc_u32_e32 v6, v0, v10
	v_cmp_le_i32_e32 vcc_lo, v7, v10
	v_add_nc_u32_e32 v12, v0, v11
	v_cmp_gt_i32_e64 s1, v5, v11
	ds_read_u8 v4, v6
	ds_read_u8 v9, v12
	s_waitcnt lgkmcnt(1)
	v_bfe_i32 v8, v4, 0, 8
	s_waitcnt lgkmcnt(0)
	v_bfe_i32 v9, v9, 0, 8
                                        ; implicit-def: $vgpr4
	v_cmp_lt_i16_e64 s0, v9, v8
	s_or_b32 s0, vcc_lo, s0
	s_and_b32 vcc_lo, s1, s0
	s_xor_b32 s0, vcc_lo, -1
	s_and_saveexec_b32 s1, s0
	s_xor_b32 s0, exec_lo, s1
; %bb.37:
	ds_read_u8 v4, v6 offset:1
                                        ; implicit-def: $vgpr12
; %bb.38:
	s_or_saveexec_b32 s0, s0
	v_mov_b32_e32 v6, v9
	s_xor_b32 exec_lo, exec_lo, s0
	s_cbranch_execz .LBB88_40
; %bb.39:
	ds_read_u8 v6, v12 offset:1
	s_waitcnt lgkmcnt(1)
	v_mov_b32_e32 v4, v8
.LBB88_40:
	s_or_b32 exec_lo, exec_lo, s0
	v_add_nc_u32_e32 v12, 1, v10
	v_add_nc_u32_e32 v14, 1, v11
	s_waitcnt lgkmcnt(0)
	v_cmp_lt_i16_sdwa s2, sext(v6), sext(v4) src0_sel:BYTE_0 src1_sel:BYTE_0
	v_cndmask_b32_e32 v13, v12, v10, vcc_lo
	v_cndmask_b32_e32 v11, v11, v14, vcc_lo
                                        ; implicit-def: $vgpr10
	v_cmp_ge_i32_e64 s0, v13, v7
	v_cmp_lt_i32_e64 s1, v11, v5
	s_or_b32 s0, s0, s2
	s_and_b32 s0, s1, s0
	s_xor_b32 s1, s0, -1
	s_and_saveexec_b32 s2, s1
	s_xor_b32 s1, exec_lo, s2
; %bb.41:
	v_add_nc_u32_e32 v10, v0, v13
	ds_read_u8 v10, v10 offset:1
; %bb.42:
	s_or_saveexec_b32 s1, s1
	v_mov_b32_e32 v12, v6
	s_xor_b32 exec_lo, exec_lo, s1
	s_cbranch_execz .LBB88_44
; %bb.43:
	s_waitcnt lgkmcnt(0)
	v_add_nc_u32_e32 v10, v0, v11
	ds_read_u8 v12, v10 offset:1
	v_mov_b32_e32 v10, v4
.LBB88_44:
	s_or_b32 exec_lo, exec_lo, s1
	v_add_nc_u32_e32 v14, 1, v13
	v_add_nc_u32_e32 v16, 1, v11
	s_waitcnt lgkmcnt(0)
	v_cmp_lt_i16_sdwa s4, sext(v12), sext(v10) src0_sel:BYTE_0 src1_sel:BYTE_0
	v_cndmask_b32_e64 v15, v14, v13, s0
	v_cndmask_b32_e64 v13, v11, v16, s0
                                        ; implicit-def: $vgpr14
	v_cmp_ge_i32_e64 s1, v15, v7
	v_cmp_lt_i32_e64 s2, v13, v5
	s_or_b32 s1, s1, s4
	s_and_b32 s1, s2, s1
	s_xor_b32 s2, s1, -1
	s_and_saveexec_b32 s4, s2
	s_xor_b32 s2, exec_lo, s4
; %bb.45:
	v_add_nc_u32_e32 v11, v0, v15
	ds_read_u8 v14, v11 offset:1
; %bb.46:
	s_or_saveexec_b32 s2, s2
	v_mov_b32_e32 v16, v12
	s_xor_b32 exec_lo, exec_lo, s2
	s_cbranch_execz .LBB88_48
; %bb.47:
	v_add_nc_u32_e32 v11, v0, v13
	s_waitcnt lgkmcnt(0)
	v_mov_b32_e32 v14, v10
	ds_read_u8 v16, v11 offset:1
.LBB88_48:
	s_or_b32 exec_lo, exec_lo, s2
	v_add_nc_u32_e32 v17, 1, v15
	v_cndmask_b32_e64 v10, v10, v12, s1
	v_add_nc_u32_e32 v12, 1, v13
	v_and_b32_e32 v11, 64, v2
	v_cndmask_b32_e64 v18, v4, v6, s0
	v_cndmask_b32_e64 v15, v17, v15, s1
	s_waitcnt lgkmcnt(0)
	v_cmp_lt_i16_sdwa s2, sext(v16), sext(v14) src0_sel:BYTE_0 src1_sel:BYTE_0
	v_cndmask_b32_e64 v12, v13, v12, s1
	v_or_b32_e32 v6, 32, v11
	v_add_nc_u32_e32 v4, 64, v11
	v_cmp_ge_i32_e64 s0, v15, v7
	v_and_b32_e32 v7, 60, v2
	v_cmp_lt_i32_e64 s1, v12, v5
	v_cndmask_b32_e32 v9, v8, v9, vcc_lo
	v_sub_nc_u32_e32 v13, v4, v6
	s_or_b32 s0, s0, s2
	v_sub_nc_u32_e32 v8, v6, v11
	s_and_b32 vcc_lo, s1, s0
	s_mov_b32 s1, 0
	v_sub_nc_u32_e32 v5, v7, v13
	v_cndmask_b32_e32 v12, v14, v16, vcc_lo
	v_cmp_ge_i32_e32 vcc_lo, v7, v13
	v_min_i32_e32 v8, v7, v8
	s_mov_b32 s0, exec_lo
	; wave barrier
	v_cndmask_b32_e32 v5, 0, v5, vcc_lo
	ds_write_b8 v3, v9
	ds_write_b8 v3, v18 offset:1
	ds_write_b8 v3, v10 offset:2
	;; [unrolled: 1-line block ×3, first 2 shown]
	; wave barrier
	v_cmpx_lt_i32_e64 v5, v8
	s_cbranch_execz .LBB88_52
; %bb.49:
	v_add_nc_u32_e32 v9, v0, v11
	v_add3_u32 v10, v0, v6, v7
	.p2align	6
.LBB88_50:                              ; =>This Inner Loop Header: Depth=1
	v_sub_nc_u32_e32 v12, v8, v5
	v_lshrrev_b32_e32 v12, 1, v12
	v_add_nc_u32_e32 v12, v12, v5
	v_add_nc_u32_e32 v13, v9, v12
	v_xad_u32 v14, v12, -1, v10
	v_add_nc_u32_e32 v15, 1, v12
	ds_read_i8 v13, v13
	ds_read_i8 v14, v14
	s_waitcnt lgkmcnt(0)
	v_cmp_lt_i16_e32 vcc_lo, v14, v13
	v_cndmask_b32_e32 v8, v8, v12, vcc_lo
	v_cndmask_b32_e32 v5, v15, v5, vcc_lo
	v_cmp_ge_i32_e32 vcc_lo, v5, v8
	s_or_b32 s1, vcc_lo, s1
	s_andn2_b32 exec_lo, exec_lo, s1
	s_cbranch_execnz .LBB88_50
; %bb.51:
	s_or_b32 exec_lo, exec_lo, s1
.LBB88_52:
	s_or_b32 exec_lo, exec_lo, s0
	v_add_nc_u32_e32 v7, v6, v7
	v_add_nc_u32_e32 v10, v5, v11
                                        ; implicit-def: $vgpr8
	v_sub_nc_u32_e32 v11, v7, v5
	v_add_nc_u32_e32 v9, v0, v10
	v_cmp_le_i32_e32 vcc_lo, v6, v10
	v_add_nc_u32_e32 v12, v0, v11
	v_cmp_gt_i32_e64 s1, v4, v11
	ds_read_u8 v5, v9
	ds_read_u8 v7, v12
	s_waitcnt lgkmcnt(1)
	v_bfe_i32 v5, v5, 0, 8
	s_waitcnt lgkmcnt(0)
	v_bfe_i32 v7, v7, 0, 8
	v_cmp_lt_i16_e64 s0, v7, v5
	s_or_b32 s0, vcc_lo, s0
	s_and_b32 vcc_lo, s1, s0
	s_xor_b32 s0, vcc_lo, -1
	s_and_saveexec_b32 s1, s0
	s_xor_b32 s0, exec_lo, s1
; %bb.53:
	ds_read_u8 v8, v9 offset:1
                                        ; implicit-def: $vgpr12
; %bb.54:
	s_or_saveexec_b32 s0, s0
	v_mov_b32_e32 v9, v7
	s_xor_b32 exec_lo, exec_lo, s0
	s_cbranch_execz .LBB88_56
; %bb.55:
	ds_read_u8 v9, v12 offset:1
	s_waitcnt lgkmcnt(1)
	v_mov_b32_e32 v8, v5
.LBB88_56:
	s_or_b32 exec_lo, exec_lo, s0
	v_add_nc_u32_e32 v12, 1, v10
	v_add_nc_u32_e32 v13, 1, v11
	s_waitcnt lgkmcnt(0)
	v_cmp_lt_i16_sdwa s2, sext(v9), sext(v8) src0_sel:BYTE_0 src1_sel:BYTE_0
	v_cndmask_b32_e32 v12, v12, v10, vcc_lo
	v_cndmask_b32_e32 v11, v11, v13, vcc_lo
                                        ; implicit-def: $vgpr10
	v_cmp_ge_i32_e64 s0, v12, v6
	v_cmp_lt_i32_e64 s1, v11, v4
	s_or_b32 s0, s0, s2
	s_and_b32 s0, s1, s0
	s_xor_b32 s1, s0, -1
	s_and_saveexec_b32 s2, s1
	s_xor_b32 s1, exec_lo, s2
; %bb.57:
	v_add_nc_u32_e32 v10, v0, v12
	ds_read_u8 v10, v10 offset:1
; %bb.58:
	s_or_saveexec_b32 s1, s1
	v_mov_b32_e32 v13, v9
	s_xor_b32 exec_lo, exec_lo, s1
	s_cbranch_execz .LBB88_60
; %bb.59:
	s_waitcnt lgkmcnt(0)
	v_add_nc_u32_e32 v10, v0, v11
	ds_read_u8 v13, v10 offset:1
	v_mov_b32_e32 v10, v8
.LBB88_60:
	s_or_b32 exec_lo, exec_lo, s1
	v_add_nc_u32_e32 v14, 1, v12
	v_add_nc_u32_e32 v16, 1, v11
	s_waitcnt lgkmcnt(0)
	v_cmp_lt_i16_sdwa s4, sext(v13), sext(v10) src0_sel:BYTE_0 src1_sel:BYTE_0
	v_cndmask_b32_e64 v15, v14, v12, s0
	v_cndmask_b32_e64 v11, v11, v16, s0
                                        ; implicit-def: $vgpr12
	v_cmp_ge_i32_e64 s1, v15, v6
	v_cmp_lt_i32_e64 s2, v11, v4
	s_or_b32 s1, s1, s4
	s_and_b32 s1, s2, s1
	s_xor_b32 s2, s1, -1
	s_and_saveexec_b32 s4, s2
	s_xor_b32 s2, exec_lo, s4
; %bb.61:
	v_add_nc_u32_e32 v12, v0, v15
	ds_read_u8 v12, v12 offset:1
; %bb.62:
	s_or_saveexec_b32 s2, s2
	v_mov_b32_e32 v14, v13
	s_xor_b32 exec_lo, exec_lo, s2
	s_cbranch_execz .LBB88_64
; %bb.63:
	s_waitcnt lgkmcnt(0)
	v_add_nc_u32_e32 v12, v0, v11
	ds_read_u8 v14, v12 offset:1
	v_mov_b32_e32 v12, v10
.LBB88_64:
	s_or_b32 exec_lo, exec_lo, s2
	v_add_nc_u32_e32 v16, 1, v15
	v_add_nc_u32_e32 v17, 1, v11
	v_cndmask_b32_e64 v10, v10, v13, s1
	v_cndmask_b32_e64 v8, v8, v9, s0
	v_and_b32_e32 v2, 0x7c, v2
	v_cndmask_b32_e64 v13, v16, v15, s1
	v_cndmask_b32_e64 v9, v11, v17, s1
	s_waitcnt lgkmcnt(0)
	v_cmp_lt_i16_sdwa s1, sext(v14), sext(v12) src0_sel:BYTE_0 src1_sel:BYTE_0
	v_cndmask_b32_e32 v5, v5, v7, vcc_lo
	v_cmp_ge_i32_e64 s0, v13, v6
	v_subrev_nc_u32_e32 v6, 64, v2
	v_cmp_lt_i32_e32 vcc_lo, v9, v4
	v_min_i32_e32 v4, 64, v2
	; wave barrier
	s_or_b32 s1, s0, s1
	v_cmp_lt_i32_e64 s0, 63, v2
	s_and_b32 vcc_lo, vcc_lo, s1
	v_cndmask_b32_e64 v7, 0, v6, s0
	v_cndmask_b32_e32 v6, v12, v14, vcc_lo
	s_mov_b32 s0, exec_lo
	ds_write_b8 v3, v5
	ds_write_b8 v3, v8 offset:1
	ds_write_b8 v3, v10 offset:2
	;; [unrolled: 1-line block ×3, first 2 shown]
	; wave barrier
	v_cmpx_lt_i32_e64 v7, v4
	s_cbranch_execz .LBB88_68
; %bb.65:
	v_add3_u32 v5, v0, 64, v2
	s_mov_b32 s1, 0
	.p2align	6
.LBB88_66:                              ; =>This Inner Loop Header: Depth=1
	v_sub_nc_u32_e32 v6, v4, v7
	v_lshrrev_b32_e32 v6, 1, v6
	v_add_nc_u32_e32 v6, v6, v7
	v_add_nc_u32_e32 v8, v0, v6
	v_xad_u32 v9, v6, -1, v5
	v_add_nc_u32_e32 v10, 1, v6
	ds_read_i8 v8, v8
	ds_read_i8 v9, v9
	s_waitcnt lgkmcnt(0)
	v_cmp_lt_i16_e32 vcc_lo, v9, v8
	v_cndmask_b32_e32 v4, v4, v6, vcc_lo
	v_cndmask_b32_e32 v7, v10, v7, vcc_lo
	v_cmp_ge_i32_e32 vcc_lo, v7, v4
	s_or_b32 s1, vcc_lo, s1
	s_andn2_b32 exec_lo, exec_lo, s1
	s_cbranch_execnz .LBB88_66
; %bb.67:
	s_or_b32 exec_lo, exec_lo, s1
.LBB88_68:
	s_or_b32 exec_lo, exec_lo, s0
	v_add_nc_u32_e32 v4, 64, v2
	v_add_nc_u32_e32 v8, v0, v7
	v_cmp_le_i32_e32 vcc_lo, 64, v7
                                        ; implicit-def: $vgpr6
	v_sub_nc_u32_e32 v9, v4, v7
	v_add_nc_u32_e32 v10, v0, v9
	v_cmp_gt_i32_e64 s1, 0x80, v9
	ds_read_u8 v4, v8
	ds_read_u8 v5, v10
	s_waitcnt lgkmcnt(1)
	v_bfe_i32 v4, v4, 0, 8
	s_waitcnt lgkmcnt(0)
	v_bfe_i32 v5, v5, 0, 8
	v_cmp_lt_i16_e64 s0, v5, v4
	s_or_b32 s0, vcc_lo, s0
	s_and_b32 vcc_lo, s1, s0
	s_xor_b32 s0, vcc_lo, -1
	s_and_saveexec_b32 s1, s0
	s_xor_b32 s0, exec_lo, s1
; %bb.69:
	ds_read_u8 v6, v8 offset:1
                                        ; implicit-def: $vgpr10
; %bb.70:
	s_or_saveexec_b32 s0, s0
	v_mov_b32_e32 v8, v5
	s_xor_b32 exec_lo, exec_lo, s0
	s_cbranch_execz .LBB88_72
; %bb.71:
	ds_read_u8 v8, v10 offset:1
	s_waitcnt lgkmcnt(1)
	v_mov_b32_e32 v6, v4
.LBB88_72:
	s_or_b32 exec_lo, exec_lo, s0
	v_add_nc_u32_e32 v10, 1, v7
	v_add_nc_u32_e32 v12, 1, v9
	s_waitcnt lgkmcnt(0)
	v_cmp_lt_i16_sdwa s2, sext(v8), sext(v6) src0_sel:BYTE_0 src1_sel:BYTE_0
	v_cndmask_b32_e32 v11, v10, v7, vcc_lo
	v_cndmask_b32_e32 v10, v9, v12, vcc_lo
                                        ; implicit-def: $vgpr7
	v_cmp_le_i32_e64 s0, 64, v11
	v_cmp_gt_i32_e64 s1, 0x80, v10
	s_or_b32 s0, s0, s2
	s_and_b32 s0, s1, s0
	s_xor_b32 s1, s0, -1
	s_and_saveexec_b32 s2, s1
	s_xor_b32 s1, exec_lo, s2
; %bb.73:
	v_add_nc_u32_e32 v7, v0, v11
	ds_read_u8 v7, v7 offset:1
; %bb.74:
	s_or_saveexec_b32 s1, s1
	v_mov_b32_e32 v9, v8
	s_xor_b32 exec_lo, exec_lo, s1
	s_cbranch_execz .LBB88_76
; %bb.75:
	s_waitcnt lgkmcnt(0)
	v_add_nc_u32_e32 v7, v0, v10
	ds_read_u8 v9, v7 offset:1
	v_mov_b32_e32 v7, v6
.LBB88_76:
	s_or_b32 exec_lo, exec_lo, s1
	v_add_nc_u32_e32 v12, 1, v11
	v_add_nc_u32_e32 v14, 1, v10
	s_waitcnt lgkmcnt(0)
	v_cmp_lt_i16_sdwa s4, sext(v9), sext(v7) src0_sel:BYTE_0 src1_sel:BYTE_0
	v_cndmask_b32_e64 v13, v12, v11, s0
	v_cndmask_b32_e64 v11, v10, v14, s0
                                        ; implicit-def: $vgpr10
	v_cmp_le_i32_e64 s1, 64, v13
	v_cmp_gt_i32_e64 s2, 0x80, v11
	s_or_b32 s1, s1, s4
	s_and_b32 s1, s2, s1
	s_xor_b32 s2, s1, -1
	s_and_saveexec_b32 s4, s2
	s_xor_b32 s2, exec_lo, s4
; %bb.77:
	v_add_nc_u32_e32 v10, v0, v13
	ds_read_u8 v10, v10 offset:1
; %bb.78:
	s_or_saveexec_b32 s2, s2
	v_mov_b32_e32 v12, v9
	s_xor_b32 exec_lo, exec_lo, s2
	s_cbranch_execz .LBB88_80
; %bb.79:
	s_waitcnt lgkmcnt(0)
	v_add_nc_u32_e32 v10, v0, v11
	ds_read_u8 v12, v10 offset:1
	v_mov_b32_e32 v10, v7
.LBB88_80:
	s_or_b32 exec_lo, exec_lo, s2
	v_add_nc_u32_e32 v14, 1, v13
	v_add_nc_u32_e32 v15, 1, v11
	v_cndmask_b32_e64 v7, v7, v9, s1
	v_cndmask_b32_e32 v4, v4, v5, vcc_lo
	v_cndmask_b32_e64 v8, v6, v8, s0
	v_cndmask_b32_e64 v9, v14, v13, s1
	v_cndmask_b32_e64 v5, v11, v15, s1
	s_waitcnt lgkmcnt(0)
	v_cmp_lt_i16_sdwa s1, sext(v12), sext(v10) src0_sel:BYTE_0 src1_sel:BYTE_0
	v_or_b32_e32 v6, 0xffffff80, v2
	v_cmp_le_i32_e32 vcc_lo, 64, v9
	v_cmp_gt_i32_e64 s0, 0x80, v5
	; wave barrier
	s_or_b32 s1, vcc_lo, s1
	v_cmp_lt_i32_e32 vcc_lo, 0x7f, v2
	v_cndmask_b32_e32 v6, 0, v6, vcc_lo
	s_and_b32 vcc_lo, s0, s1
	s_mov_b32 s0, exec_lo
	v_cndmask_b32_e32 v5, v10, v12, vcc_lo
	ds_write_b8 v3, v4
	ds_write_b8 v3, v8 offset:1
	ds_write_b8 v3, v7 offset:2
	;; [unrolled: 1-line block ×3, first 2 shown]
	; wave barrier
	v_cmpx_lt_i32_e64 v6, v2
	s_cbranch_execz .LBB88_84
; %bb.81:
	v_add3_u32 v3, 0x80, v0, v2
	v_mov_b32_e32 v4, v2
	s_mov_b32 s1, 0
	.p2align	6
.LBB88_82:                              ; =>This Inner Loop Header: Depth=1
	v_sub_nc_u32_e32 v5, v4, v6
	v_lshrrev_b32_e32 v5, 1, v5
	v_add_nc_u32_e32 v5, v5, v6
	v_add_nc_u32_e32 v7, v0, v5
	v_xad_u32 v8, v5, -1, v3
	v_add_nc_u32_e32 v9, 1, v5
	ds_read_i8 v7, v7
	ds_read_i8 v8, v8
	s_waitcnt lgkmcnt(0)
	v_cmp_lt_i16_e32 vcc_lo, v8, v7
	v_cndmask_b32_e32 v4, v4, v5, vcc_lo
	v_cndmask_b32_e32 v6, v9, v6, vcc_lo
	v_cmp_ge_i32_e32 vcc_lo, v6, v4
	s_or_b32 s1, vcc_lo, s1
	s_andn2_b32 exec_lo, exec_lo, s1
	s_cbranch_execnz .LBB88_82
; %bb.83:
	s_or_b32 exec_lo, exec_lo, s1
.LBB88_84:
	s_or_b32 exec_lo, exec_lo, s0
	v_add_nc_u32_e32 v2, 0x80, v2
	v_add_nc_u32_e32 v5, v0, v6
	v_cmp_le_i32_e32 vcc_lo, 0x80, v6
                                        ; implicit-def: $vgpr4
	v_sub_nc_u32_e32 v7, v2, v6
	v_add_nc_u32_e32 v8, v0, v7
	v_cmp_gt_i32_e64 s1, 0x100, v7
	ds_read_u8 v2, v5
	ds_read_u8 v3, v8
	s_waitcnt lgkmcnt(1)
	v_bfe_i32 v2, v2, 0, 8
	s_waitcnt lgkmcnt(0)
	v_bfe_i32 v3, v3, 0, 8
	v_cmp_lt_i16_e64 s0, v3, v2
	s_or_b32 s0, vcc_lo, s0
	s_and_b32 s0, s1, s0
	s_xor_b32 s1, s0, -1
	s_and_saveexec_b32 s2, s1
	s_xor_b32 s1, exec_lo, s2
; %bb.85:
	ds_read_u8 v4, v5 offset:1
                                        ; implicit-def: $vgpr8
; %bb.86:
	s_or_saveexec_b32 s1, s1
	v_mov_b32_e32 v5, v3
	s_xor_b32 exec_lo, exec_lo, s1
	s_cbranch_execz .LBB88_88
; %bb.87:
	ds_read_u8 v5, v8 offset:1
	s_waitcnt lgkmcnt(1)
	v_mov_b32_e32 v4, v2
.LBB88_88:
	s_or_b32 exec_lo, exec_lo, s1
	v_add_nc_u32_e32 v8, 1, v6
	v_add_nc_u32_e32 v10, 1, v7
	s_waitcnt lgkmcnt(0)
	v_cmp_lt_i16_sdwa s2, sext(v5), sext(v4) src0_sel:BYTE_0 src1_sel:BYTE_0
	v_cndmask_b32_e64 v9, v8, v6, s0
	v_cndmask_b32_e64 v8, v7, v10, s0
                                        ; implicit-def: $vgpr7
	v_cmp_le_i32_e32 vcc_lo, 0x80, v9
	v_cmp_gt_i32_e64 s1, 0x100, v8
	s_or_b32 s2, vcc_lo, s2
	s_and_b32 vcc_lo, s1, s2
	s_xor_b32 s1, vcc_lo, -1
	s_and_saveexec_b32 s2, s1
	s_xor_b32 s1, exec_lo, s2
; %bb.89:
	v_add_nc_u32_e32 v6, v0, v9
	ds_read_u8 v7, v6 offset:1
; %bb.90:
	s_or_saveexec_b32 s1, s1
	v_mov_b32_e32 v6, v5
	s_xor_b32 exec_lo, exec_lo, s1
	s_cbranch_execz .LBB88_92
; %bb.91:
	v_add_nc_u32_e32 v6, v0, v8
	s_waitcnt lgkmcnt(0)
	v_mov_b32_e32 v7, v4
	ds_read_u8 v6, v6 offset:1
.LBB88_92:
	s_or_b32 exec_lo, exec_lo, s1
	v_add_nc_u32_e32 v10, 1, v9
	v_add_nc_u32_e32 v11, 1, v8
	s_waitcnt lgkmcnt(0)
	v_cmp_ge_i16_sdwa s4, sext(v6), sext(v7) src0_sel:BYTE_0 src1_sel:BYTE_0
                                        ; implicit-def: $vgpr12
	v_cndmask_b32_e32 v10, v10, v9, vcc_lo
	v_cndmask_b32_e32 v8, v8, v11, vcc_lo
                                        ; implicit-def: $vgpr9
	v_cmp_gt_i32_e64 s1, 0x80, v10
	v_cmp_le_i32_e64 s2, 0x100, v8
	s_and_b32 s1, s1, s4
	s_or_b32 s1, s2, s1
	s_and_saveexec_b32 s2, s1
	s_xor_b32 s1, exec_lo, s2
; %bb.93:
	v_add_nc_u32_e32 v0, v0, v10
	v_add_nc_u32_e32 v12, 1, v10
                                        ; implicit-def: $vgpr10
	ds_read_u8 v9, v0 offset:1
                                        ; implicit-def: $vgpr0
; %bb.94:
	s_or_saveexec_b32 s1, s1
	v_mov_b32_e32 v11, v7
	s_xor_b32 exec_lo, exec_lo, s1
	s_cbranch_execz .LBB88_96
; %bb.95:
	v_add_nc_u32_e32 v0, v0, v8
	v_add_nc_u32_e32 v8, 1, v8
	v_mov_b32_e32 v11, v6
	v_mov_b32_e32 v12, v10
	s_waitcnt lgkmcnt(0)
	v_mov_b32_e32 v9, v7
	ds_read_u8 v0, v0 offset:1
	s_waitcnt lgkmcnt(0)
	v_mov_b32_e32 v6, v0
.LBB88_96:
	s_or_b32 exec_lo, exec_lo, s1
	v_cmp_le_i32_e64 s1, 0x80, v12
	s_waitcnt lgkmcnt(0)
	v_cmp_lt_i16_sdwa s4, sext(v6), sext(v9) src0_sel:BYTE_0 src1_sel:BYTE_0
	v_cmp_gt_i32_e64 s2, 0x100, v8
	v_cndmask_b32_sdwa v4, v4, v5, vcc_lo dst_sel:BYTE_1 dst_unused:UNUSED_PAD src0_sel:DWORD src1_sel:DWORD
	v_cndmask_b32_e64 v2, v2, v3, s0
	s_or_b32 s1, s1, s4
	s_and_b32 s1, s2, s1
	v_or_b32_sdwa v2, v2, v4 dst_sel:DWORD dst_unused:UNUSED_PAD src0_sel:BYTE_0 src1_sel:DWORD
	v_cndmask_b32_e64 v0, v9, v6, s1
	s_add_u32 s0, s10, s3
	s_addc_u32 s1, s11, 0
	v_lshlrev_b16 v0, 8, v0
	v_or_b32_sdwa v3, v11, v0 dst_sel:WORD_1 dst_unused:UNUSED_PAD src0_sel:BYTE_0 src1_sel:DWORD
	v_add_co_u32 v0, s0, s0, v1
	v_add_co_ci_u32_e64 v1, null, s1, 0, s0
	v_or_b32_sdwa v2, v2, v3 dst_sel:DWORD dst_unused:UNUSED_PAD src0_sel:WORD_0 src1_sel:DWORD
	global_store_dword v[0:1], v2, off
	s_endpgm
	.section	.rodata,"a",@progbits
	.p2align	6, 0x0
	.amdhsa_kernel _Z9sort_keysILj256ELj64ELj4EaN10test_utils4lessEEvPKT2_PS2_T3_
		.amdhsa_group_segment_fixed_size 1028
		.amdhsa_private_segment_fixed_size 0
		.amdhsa_kernarg_size 20
		.amdhsa_user_sgpr_count 6
		.amdhsa_user_sgpr_private_segment_buffer 1
		.amdhsa_user_sgpr_dispatch_ptr 0
		.amdhsa_user_sgpr_queue_ptr 0
		.amdhsa_user_sgpr_kernarg_segment_ptr 1
		.amdhsa_user_sgpr_dispatch_id 0
		.amdhsa_user_sgpr_flat_scratch_init 0
		.amdhsa_user_sgpr_private_segment_size 0
		.amdhsa_wavefront_size32 1
		.amdhsa_uses_dynamic_stack 0
		.amdhsa_system_sgpr_private_segment_wavefront_offset 0
		.amdhsa_system_sgpr_workgroup_id_x 1
		.amdhsa_system_sgpr_workgroup_id_y 0
		.amdhsa_system_sgpr_workgroup_id_z 0
		.amdhsa_system_sgpr_workgroup_info 0
		.amdhsa_system_vgpr_workitem_id 0
		.amdhsa_next_free_vgpr 19
		.amdhsa_next_free_sgpr 12
		.amdhsa_reserve_vcc 1
		.amdhsa_reserve_flat_scratch 0
		.amdhsa_float_round_mode_32 0
		.amdhsa_float_round_mode_16_64 0
		.amdhsa_float_denorm_mode_32 3
		.amdhsa_float_denorm_mode_16_64 3
		.amdhsa_dx10_clamp 1
		.amdhsa_ieee_mode 1
		.amdhsa_fp16_overflow 0
		.amdhsa_workgroup_processor_mode 1
		.amdhsa_memory_ordered 1
		.amdhsa_forward_progress 1
		.amdhsa_shared_vgpr_count 0
		.amdhsa_exception_fp_ieee_invalid_op 0
		.amdhsa_exception_fp_denorm_src 0
		.amdhsa_exception_fp_ieee_div_zero 0
		.amdhsa_exception_fp_ieee_overflow 0
		.amdhsa_exception_fp_ieee_underflow 0
		.amdhsa_exception_fp_ieee_inexact 0
		.amdhsa_exception_int_div_zero 0
	.end_amdhsa_kernel
	.section	.text._Z9sort_keysILj256ELj64ELj4EaN10test_utils4lessEEvPKT2_PS2_T3_,"axG",@progbits,_Z9sort_keysILj256ELj64ELj4EaN10test_utils4lessEEvPKT2_PS2_T3_,comdat
.Lfunc_end88:
	.size	_Z9sort_keysILj256ELj64ELj4EaN10test_utils4lessEEvPKT2_PS2_T3_, .Lfunc_end88-_Z9sort_keysILj256ELj64ELj4EaN10test_utils4lessEEvPKT2_PS2_T3_
                                        ; -- End function
	.set _Z9sort_keysILj256ELj64ELj4EaN10test_utils4lessEEvPKT2_PS2_T3_.num_vgpr, 19
	.set _Z9sort_keysILj256ELj64ELj4EaN10test_utils4lessEEvPKT2_PS2_T3_.num_agpr, 0
	.set _Z9sort_keysILj256ELj64ELj4EaN10test_utils4lessEEvPKT2_PS2_T3_.numbered_sgpr, 12
	.set _Z9sort_keysILj256ELj64ELj4EaN10test_utils4lessEEvPKT2_PS2_T3_.num_named_barrier, 0
	.set _Z9sort_keysILj256ELj64ELj4EaN10test_utils4lessEEvPKT2_PS2_T3_.private_seg_size, 0
	.set _Z9sort_keysILj256ELj64ELj4EaN10test_utils4lessEEvPKT2_PS2_T3_.uses_vcc, 1
	.set _Z9sort_keysILj256ELj64ELj4EaN10test_utils4lessEEvPKT2_PS2_T3_.uses_flat_scratch, 0
	.set _Z9sort_keysILj256ELj64ELj4EaN10test_utils4lessEEvPKT2_PS2_T3_.has_dyn_sized_stack, 0
	.set _Z9sort_keysILj256ELj64ELj4EaN10test_utils4lessEEvPKT2_PS2_T3_.has_recursion, 0
	.set _Z9sort_keysILj256ELj64ELj4EaN10test_utils4lessEEvPKT2_PS2_T3_.has_indirect_call, 0
	.section	.AMDGPU.csdata,"",@progbits
; Kernel info:
; codeLenInByte = 4612
; TotalNumSgprs: 14
; NumVgprs: 19
; ScratchSize: 0
; MemoryBound: 0
; FloatMode: 240
; IeeeMode: 1
; LDSByteSize: 1028 bytes/workgroup (compile time only)
; SGPRBlocks: 0
; VGPRBlocks: 2
; NumSGPRsForWavesPerEU: 14
; NumVGPRsForWavesPerEU: 19
; Occupancy: 16
; WaveLimiterHint : 0
; COMPUTE_PGM_RSRC2:SCRATCH_EN: 0
; COMPUTE_PGM_RSRC2:USER_SGPR: 6
; COMPUTE_PGM_RSRC2:TRAP_HANDLER: 0
; COMPUTE_PGM_RSRC2:TGID_X_EN: 1
; COMPUTE_PGM_RSRC2:TGID_Y_EN: 0
; COMPUTE_PGM_RSRC2:TGID_Z_EN: 0
; COMPUTE_PGM_RSRC2:TIDIG_COMP_CNT: 0
	.section	.text._Z10sort_pairsILj256ELj64ELj4EaN10test_utils4lessEEvPKT2_PS2_T3_,"axG",@progbits,_Z10sort_pairsILj256ELj64ELj4EaN10test_utils4lessEEvPKT2_PS2_T3_,comdat
	.protected	_Z10sort_pairsILj256ELj64ELj4EaN10test_utils4lessEEvPKT2_PS2_T3_ ; -- Begin function _Z10sort_pairsILj256ELj64ELj4EaN10test_utils4lessEEvPKT2_PS2_T3_
	.globl	_Z10sort_pairsILj256ELj64ELj4EaN10test_utils4lessEEvPKT2_PS2_T3_
	.p2align	8
	.type	_Z10sort_pairsILj256ELj64ELj4EaN10test_utils4lessEEvPKT2_PS2_T3_,@function
_Z10sort_pairsILj256ELj64ELj4EaN10test_utils4lessEEvPKT2_PS2_T3_: ; @_Z10sort_pairsILj256ELj64ELj4EaN10test_utils4lessEEvPKT2_PS2_T3_
; %bb.0:
	s_load_dwordx4 s[8:11], s[4:5], 0x0
	s_lshl_b32 s12, s6, 10
	v_lshlrev_b32_e32 v1, 2, v0
	v_mov_b32_e32 v8, 0xffffff00
	v_lshrrev_b32_e32 v0, 6, v0
	s_mov_b32 s6, 0
	s_mov_b32 s7, exec_lo
	s_waitcnt lgkmcnt(0)
	s_add_u32 s0, s8, s12
	s_addc_u32 s1, s9, 0
	global_load_dword v2, v1, s[0:1]
	; wave barrier
	s_waitcnt vmcnt(0)
	v_lshrrev_b32_e32 v4, 8, v2
	v_perm_b32 v3, v2, v2, 0x7060405
	v_cmp_lt_i16_sdwa vcc_lo, sext(v4), sext(v2) src0_sel:BYTE_0 src1_sel:BYTE_0
	v_cndmask_b32_e32 v3, v2, v3, vcc_lo
	v_lshrrev_b32_e32 v5, 16, v3
	v_lshrrev_b32_e32 v7, 24, v3
	v_perm_b32 v6, 0, v5, 0xc0c0001
	v_bfe_i32 v7, v7, 0, 8
	v_bfe_i32 v5, v5, 0, 8
	v_lshlrev_b32_e32 v6, 16, v6
	v_cmp_lt_i16_e64 s1, v7, v5
	v_min_i16 v9, v7, v5
	v_and_or_b32 v6, 0xffff, v3, v6
	v_lshlrev_b16 v5, 8, v9
	v_cndmask_b32_e64 v3, v3, v6, s1
	v_and_b32_sdwa v6, v3, v8 dst_sel:DWORD dst_unused:UNUSED_PAD src0_sel:WORD_1 src1_sel:DWORD
	v_lshrrev_b32_e32 v7, 8, v3
	v_or_b32_sdwa v5, v3, v5 dst_sel:DWORD dst_unused:UNUSED_PAD src0_sel:BYTE_0 src1_sel:DWORD
	v_or_b32_sdwa v6, v3, v6 dst_sel:WORD_1 dst_unused:UNUSED_PAD src0_sel:BYTE_1 src1_sel:DWORD
	v_bfe_i32 v7, v7, 0, 8
	v_or_b32_sdwa v5, v5, v6 dst_sel:DWORD dst_unused:UNUSED_PAD src0_sel:WORD_0 src1_sel:DWORD
	v_cmp_lt_i16_e64 s2, v9, v7
	v_cndmask_b32_e64 v3, v3, v5, s2
	v_min_i16 v5, v9, v7
	v_mbcnt_lo_u32_b32 v7, -1, 0
	v_lshlrev_b16 v6, 8, v3
	v_cmp_lt_i16_sdwa s4, v5, sext(v3) src0_sel:DWORD src1_sel:BYTE_0
	v_or_b32_sdwa v6, v5, v6 dst_sel:DWORD dst_unused:UNUSED_PAD src0_sel:BYTE_0 src1_sel:DWORD
	v_and_b32_e32 v6, 0xffff, v6
	v_and_or_b32 v6, 0xffff0000, v3, v6
	v_cndmask_b32_e64 v5, v3, v6, s4
	v_lshrrev_b32_e32 v6, 16, v5
	v_lshrrev_b32_e32 v9, 24, v5
	v_perm_b32 v3, 0, v6, 0xc0c0001
	v_bfe_i32 v9, v9, 0, 8
	v_bfe_i32 v6, v6, 0, 8
	v_lshlrev_b32_e32 v10, 16, v3
	v_lshlrev_b32_e32 v3, 2, v7
	v_cmp_lt_i16_e64 s0, v9, v6
	v_min_i16 v11, v9, v6
	v_and_or_b32 v10, 0xffff, v5, v10
	v_and_b32_e32 v7, 0x78, v3
	v_mad_u32_u24 v15, 0x101, v0, v3
	v_lshlrev_b16 v9, 8, v11
	v_mul_u32_u24_e32 v0, 0x101, v0
	v_cndmask_b32_e64 v12, v5, v10, s0
	v_or_b32_e32 v6, 4, v7
	v_add_nc_u32_e32 v5, 8, v7
	v_and_b32_sdwa v10, v12, v8 dst_sel:DWORD dst_unused:UNUSED_PAD src0_sel:WORD_1 src1_sel:DWORD
	v_and_b32_e32 v8, 4, v3
	v_sub_nc_u32_e32 v13, v5, v6
	v_or_b32_sdwa v9, v12, v9 dst_sel:DWORD dst_unused:UNUSED_PAD src0_sel:BYTE_0 src1_sel:DWORD
	v_lshrrev_b32_e32 v17, 8, v12
	v_or_b32_sdwa v10, v12, v10 dst_sel:WORD_1 dst_unused:UNUSED_PAD src0_sel:BYTE_1 src1_sel:DWORD
	v_sub_nc_u32_e32 v14, v6, v7
	v_sub_nc_u32_e32 v16, v8, v13
	v_cmp_ge_i32_e64 s3, v8, v13
	v_or_b32_sdwa v18, v9, v10 dst_sel:DWORD dst_unused:UNUSED_PAD src0_sel:WORD_0 src1_sel:DWORD
	v_min_i32_e32 v10, v8, v14
	v_cndmask_b32_e64 v9, 0, v16, s3
	v_cmp_lt_i16_sdwa s3, v11, sext(v17) src0_sel:DWORD src1_sel:BYTE_0
	v_cndmask_b32_e64 v11, v12, v18, s3
	ds_write_b32 v15, v11
	; wave barrier
	v_cmpx_lt_i32_e64 v9, v10
	s_cbranch_execz .LBB89_4
; %bb.1:
	v_add_nc_u32_e32 v11, v0, v7
	v_add3_u32 v12, v0, v6, v8
	.p2align	6
.LBB89_2:                               ; =>This Inner Loop Header: Depth=1
	v_sub_nc_u32_e32 v13, v10, v9
	v_lshrrev_b32_e32 v13, 1, v13
	v_add_nc_u32_e32 v13, v13, v9
	v_add_nc_u32_e32 v14, v11, v13
	v_xad_u32 v15, v13, -1, v12
	v_add_nc_u32_e32 v16, 1, v13
	ds_read_i8 v14, v14
	ds_read_i8 v15, v15
	s_waitcnt lgkmcnt(0)
	v_cmp_lt_i16_e64 s5, v15, v14
	v_cndmask_b32_e64 v10, v10, v13, s5
	v_cndmask_b32_e64 v9, v16, v9, s5
	v_cmp_ge_i32_e64 s5, v9, v10
	s_or_b32 s6, s5, s6
	s_andn2_b32 exec_lo, exec_lo, s6
	s_cbranch_execnz .LBB89_2
; %bb.3:
	s_or_b32 exec_lo, exec_lo, s6
.LBB89_4:
	s_or_b32 exec_lo, exec_lo, s7
	v_mov_b32_e32 v10, 24
	v_add_nc_u32_e32 v8, v6, v8
	v_lshrrev_b32_e32 v16, 16, v2
	v_lshrrev_b32_sdwa v12, v10, v2 dst_sel:BYTE_1 dst_unused:UNUSED_PAD src0_sel:DWORD src1_sel:DWORD
	v_add_nc_u32_e32 v10, v9, v7
	v_sub_nc_u32_e32 v11, v8, v9
                                        ; implicit-def: $vgpr9
	v_add_nc_u32_e32 v13, v0, v10
	v_add_nc_u32_e32 v14, v0, v11
	v_cmp_le_i32_e64 s5, v6, v10
	v_cmp_gt_i32_e64 s7, v5, v11
	ds_read_u8 v7, v13
	ds_read_u8 v8, v14
	s_waitcnt lgkmcnt(1)
	v_bfe_i32 v7, v7, 0, 8
	s_waitcnt lgkmcnt(0)
	v_bfe_i32 v8, v8, 0, 8
	v_cmp_lt_i16_e64 s6, v8, v7
	s_or_b32 s5, s5, s6
	s_and_b32 s5, s7, s5
	s_xor_b32 s6, s5, -1
	s_and_saveexec_b32 s7, s6
	s_xor_b32 s6, exec_lo, s7
; %bb.5:
	ds_read_u8 v9, v13 offset:1
                                        ; implicit-def: $vgpr14
; %bb.6:
	s_or_saveexec_b32 s6, s6
	v_mov_b32_e32 v13, v8
	s_xor_b32 exec_lo, exec_lo, s6
	s_cbranch_execz .LBB89_8
; %bb.7:
	ds_read_u8 v13, v14 offset:1
	s_waitcnt lgkmcnt(1)
	v_mov_b32_e32 v9, v7
.LBB89_8:
	s_or_b32 exec_lo, exec_lo, s6
	v_add_nc_u32_e32 v14, 1, v10
	v_add_nc_u32_e32 v15, 1, v11
	s_waitcnt lgkmcnt(0)
	v_cmp_lt_i16_sdwa s8, sext(v13), sext(v9) src0_sel:BYTE_0 src1_sel:BYTE_0
	v_cndmask_b32_e64 v18, v14, v10, s5
	v_cndmask_b32_e64 v19, v11, v15, s5
                                        ; implicit-def: $vgpr14
	v_cmp_ge_i32_e64 s6, v18, v6
	v_cmp_lt_i32_e64 s7, v19, v5
	s_or_b32 s6, s6, s8
	s_and_b32 s6, s7, s6
	s_xor_b32 s7, s6, -1
	s_and_saveexec_b32 s8, s7
	s_xor_b32 s7, exec_lo, s8
; %bb.9:
	v_add_nc_u32_e32 v14, v0, v18
	ds_read_u8 v14, v14 offset:1
; %bb.10:
	s_or_saveexec_b32 s7, s7
	v_mov_b32_e32 v15, v13
	s_xor_b32 exec_lo, exec_lo, s7
	s_cbranch_execz .LBB89_12
; %bb.11:
	s_waitcnt lgkmcnt(0)
	v_add_nc_u32_e32 v14, v0, v19
	ds_read_u8 v15, v14 offset:1
	v_mov_b32_e32 v14, v9
.LBB89_12:
	s_or_b32 exec_lo, exec_lo, s7
	v_add_nc_u32_e32 v17, 1, v18
	v_add_nc_u32_e32 v20, 1, v19
	s_waitcnt lgkmcnt(0)
	v_cmp_lt_i16_sdwa s9, sext(v15), sext(v14) src0_sel:BYTE_0 src1_sel:BYTE_0
	v_cndmask_b32_e64 v22, v17, v18, s6
	v_cndmask_b32_e64 v17, v19, v20, s6
                                        ; implicit-def: $vgpr20
	v_cmp_ge_i32_e64 s7, v22, v6
	v_cmp_lt_i32_e64 s8, v17, v5
	s_or_b32 s7, s7, s9
	s_and_b32 s7, s8, s7
	s_xor_b32 s8, s7, -1
	s_and_saveexec_b32 s9, s8
	s_xor_b32 s8, exec_lo, s9
; %bb.13:
	v_add_nc_u32_e32 v20, v0, v22
	ds_read_u8 v20, v20 offset:1
; %bb.14:
	s_or_saveexec_b32 s8, s8
	v_mov_b32_e32 v21, v15
	s_xor_b32 exec_lo, exec_lo, s8
	s_cbranch_execz .LBB89_16
; %bb.15:
	s_waitcnt lgkmcnt(0)
	v_add_nc_u32_e32 v20, v0, v17
	ds_read_u8 v21, v20 offset:1
	v_mov_b32_e32 v20, v14
.LBB89_16:
	s_or_b32 exec_lo, exec_lo, s8
	v_add_nc_u16 v4, v4, 1
	v_add_nc_u16 v2, v2, 1
	;; [unrolled: 1-line block ×3, first 2 shown]
	v_cndmask_b32_e64 v10, v10, v11, s5
	v_cndmask_b32_e64 v18, v18, v19, s6
	v_lshlrev_b16 v23, 8, v4
	v_lshlrev_b16 v24, 8, v2
	v_or_b32_sdwa v12, v12, v16 dst_sel:DWORD dst_unused:UNUSED_PAD src0_sel:DWORD src1_sel:BYTE_0
	v_add_nc_u32_e32 v10, v0, v10
	v_or_b32_sdwa v2, v2, v23 dst_sel:DWORD dst_unused:UNUSED_PAD src0_sel:BYTE_0 src1_sel:DWORD
	v_or_b32_sdwa v4, v4, v24 dst_sel:DWORD dst_unused:UNUSED_PAD src0_sel:BYTE_0 src1_sel:DWORD
	v_add_nc_u16 v12, 0x100, v12
	v_cndmask_b32_e64 v23, v22, v17, s7
	; wave barrier
	v_and_b32_e32 v2, 0xffff, v2
	v_and_b32_e32 v4, 0xffff, v4
	v_lshlrev_b32_e32 v16, 16, v12
	v_perm_b32 v12, 0, v12, 0xc0c0001
	v_cndmask_b32_e64 v14, v14, v15, s7
	v_cndmask_b32_e64 v9, v9, v13, s6
	v_cndmask_b32_e32 v2, v2, v4, vcc_lo
	v_lshlrev_b32_e32 v4, 16, v12
	v_add_nc_u32_e32 v12, 1, v17
	v_or_b32_e32 v2, v2, v16
	v_add_nc_u32_e32 v16, 1, v22
	v_cndmask_b32_e64 v12, v17, v12, s7
	v_and_b32_e32 v17, 12, v3
	v_and_or_b32 v4, 0xffff, v2, v4
	v_cndmask_b32_e64 v19, v16, v22, s7
	v_and_b32_e32 v16, 0x70, v3
	v_cndmask_b32_e64 v2, v2, v4, s1
	s_waitcnt lgkmcnt(0)
	v_cmp_lt_i16_sdwa s1, sext(v21), sext(v20) src0_sel:BYTE_0 src1_sel:BYTE_0
	v_cmp_ge_i32_e32 vcc_lo, v19, v6
	v_add_nc_u32_e32 v6, 16, v16
	v_perm_b32 v4, v2, v2, 0x7050604
	s_or_b32 s1, vcc_lo, s1
	v_cndmask_b32_e64 v2, v2, v4, s2
	v_perm_b32 v4, 0, v2, 0xc0c0001
	v_and_or_b32 v4, 0xffff0000, v2, v4
	v_cndmask_b32_e64 v4, v2, v4, s4
	v_lshrrev_b32_e32 v2, 16, v4
	v_perm_b32 v2, 0, v2, 0xc0c0001
	v_lshlrev_b32_e32 v11, 16, v2
	v_add_nc_u32_e32 v2, v0, v3
	v_and_or_b32 v11, 0xffff, v4, v11
	v_cndmask_b32_e64 v4, v4, v11, s0
	v_cmp_lt_i32_e64 s0, v12, v5
	v_or_b32_e32 v5, 8, v16
	v_perm_b32 v11, v4, v4, 0x7050604
	s_and_b32 vcc_lo, s0, s1
	v_sub_nc_u32_e32 v15, v5, v16
	v_cndmask_b32_e32 v12, v19, v12, vcc_lo
	v_cndmask_b32_e32 v20, v20, v21, vcc_lo
	v_cndmask_b32_e64 v4, v4, v11, s3
	v_add_nc_u32_e32 v11, v0, v18
	v_add_nc_u32_e32 v18, v0, v23
	;; [unrolled: 1-line block ×3, first 2 shown]
	v_sub_nc_u32_e32 v19, v6, v5
	ds_write_b32 v2, v4
	; wave barrier
	ds_read_u8 v12, v10
	ds_read_u8 v10, v11
	;; [unrolled: 1-line block ×4, first 2 shown]
	v_sub_nc_u32_e32 v13, v17, v19
	v_cmp_ge_i32_e32 vcc_lo, v17, v19
	v_cndmask_b32_e64 v18, v7, v8, s5
	v_min_i32_e32 v7, v17, v15
	s_mov_b32 s1, 0
	s_mov_b32 s0, exec_lo
	v_cndmask_b32_e32 v8, 0, v13, vcc_lo
	; wave barrier
	ds_write_b8 v2, v18
	ds_write_b8 v2, v9 offset:1
	ds_write_b8 v2, v14 offset:2
	;; [unrolled: 1-line block ×3, first 2 shown]
	; wave barrier
	v_cmpx_lt_i32_e64 v8, v7
	s_cbranch_execz .LBB89_20
; %bb.17:
	v_add_nc_u32_e32 v9, v0, v16
	v_add3_u32 v13, v0, v5, v17
	.p2align	6
.LBB89_18:                              ; =>This Inner Loop Header: Depth=1
	v_sub_nc_u32_e32 v14, v7, v8
	v_lshrrev_b32_e32 v14, 1, v14
	v_add_nc_u32_e32 v14, v14, v8
	v_add_nc_u32_e32 v15, v9, v14
	v_xad_u32 v18, v14, -1, v13
	v_add_nc_u32_e32 v19, 1, v14
	ds_read_i8 v15, v15
	ds_read_i8 v18, v18
	s_waitcnt lgkmcnt(0)
	v_cmp_lt_i16_e32 vcc_lo, v18, v15
	v_cndmask_b32_e32 v7, v7, v14, vcc_lo
	v_cndmask_b32_e32 v8, v19, v8, vcc_lo
	v_cmp_ge_i32_e32 vcc_lo, v8, v7
	s_or_b32 s1, vcc_lo, s1
	s_andn2_b32 exec_lo, exec_lo, s1
	s_cbranch_execnz .LBB89_18
; %bb.19:
	s_or_b32 exec_lo, exec_lo, s1
.LBB89_20:
	s_or_b32 exec_lo, exec_lo, s0
	v_add_nc_u32_e32 v9, v5, v17
	v_add_nc_u32_e32 v7, v8, v16
                                        ; implicit-def: $vgpr15
	v_sub_nc_u32_e32 v8, v9, v8
	v_add_nc_u32_e32 v16, v0, v7
	v_cmp_le_i32_e32 vcc_lo, v5, v7
	v_add_nc_u32_e32 v9, v0, v8
	v_cmp_gt_i32_e64 s1, v6, v8
	ds_read_u8 v13, v16
	ds_read_u8 v14, v9
	s_waitcnt lgkmcnt(1)
	v_bfe_i32 v13, v13, 0, 8
	s_waitcnt lgkmcnt(0)
	v_bfe_i32 v14, v14, 0, 8
	v_cmp_lt_i16_e64 s0, v14, v13
	s_or_b32 s0, vcc_lo, s0
	s_and_b32 vcc_lo, s1, s0
	s_xor_b32 s0, vcc_lo, -1
	s_and_saveexec_b32 s1, s0
	s_xor_b32 s0, exec_lo, s1
; %bb.21:
	ds_read_u8 v15, v16 offset:1
                                        ; implicit-def: $vgpr9
; %bb.22:
	s_or_saveexec_b32 s0, s0
	v_mov_b32_e32 v16, v14
	s_xor_b32 exec_lo, exec_lo, s0
	s_cbranch_execz .LBB89_24
; %bb.23:
	ds_read_u8 v16, v9 offset:1
	s_waitcnt lgkmcnt(1)
	v_mov_b32_e32 v15, v13
.LBB89_24:
	s_or_b32 exec_lo, exec_lo, s0
	v_add_nc_u32_e32 v9, 1, v7
	v_add_nc_u32_e32 v17, 1, v8
	s_waitcnt lgkmcnt(0)
	v_cmp_lt_i16_sdwa s2, sext(v16), sext(v15) src0_sel:BYTE_0 src1_sel:BYTE_0
	v_cndmask_b32_e32 v9, v9, v7, vcc_lo
	v_cndmask_b32_e32 v19, v8, v17, vcc_lo
                                        ; implicit-def: $vgpr17
	v_cmp_ge_i32_e64 s0, v9, v5
	v_cmp_lt_i32_e64 s1, v19, v6
	s_or_b32 s0, s0, s2
	s_and_b32 s0, s1, s0
	s_xor_b32 s1, s0, -1
	s_and_saveexec_b32 s2, s1
	s_xor_b32 s1, exec_lo, s2
; %bb.25:
	v_add_nc_u32_e32 v17, v0, v9
	ds_read_u8 v17, v17 offset:1
; %bb.26:
	s_or_saveexec_b32 s1, s1
	v_mov_b32_e32 v18, v16
	s_xor_b32 exec_lo, exec_lo, s1
	s_cbranch_execz .LBB89_28
; %bb.27:
	s_waitcnt lgkmcnt(0)
	v_add_nc_u32_e32 v17, v0, v19
	ds_read_u8 v18, v17 offset:1
	v_mov_b32_e32 v17, v15
.LBB89_28:
	s_or_b32 exec_lo, exec_lo, s1
	v_add_nc_u32_e32 v20, 1, v9
	v_add_nc_u32_e32 v21, 1, v19
	s_waitcnt lgkmcnt(0)
	v_cmp_lt_i16_sdwa s3, sext(v18), sext(v17) src0_sel:BYTE_0 src1_sel:BYTE_0
	v_cndmask_b32_e64 v23, v20, v9, s0
	v_cndmask_b32_e64 v22, v19, v21, s0
                                        ; implicit-def: $vgpr20
	v_cmp_ge_i32_e64 s1, v23, v5
	v_cmp_lt_i32_e64 s2, v22, v6
	s_or_b32 s1, s1, s3
	s_and_b32 s1, s2, s1
	s_xor_b32 s2, s1, -1
	s_and_saveexec_b32 s3, s2
	s_xor_b32 s2, exec_lo, s3
; %bb.29:
	v_add_nc_u32_e32 v20, v0, v23
	ds_read_u8 v20, v20 offset:1
; %bb.30:
	s_or_saveexec_b32 s2, s2
	v_mov_b32_e32 v21, v18
	s_xor_b32 exec_lo, exec_lo, s2
	s_cbranch_execz .LBB89_32
; %bb.31:
	s_waitcnt lgkmcnt(0)
	v_add_nc_u32_e32 v20, v0, v22
	ds_read_u8 v21, v20 offset:1
	v_mov_b32_e32 v20, v17
.LBB89_32:
	s_or_b32 exec_lo, exec_lo, s2
	v_add_nc_u32_e32 v24, 1, v23
	v_add_nc_u32_e32 v25, 1, v22
	v_cndmask_b32_e32 v7, v7, v8, vcc_lo
	v_cndmask_b32_e64 v9, v9, v19, s0
	s_waitcnt lgkmcnt(0)
	v_cmp_lt_i16_sdwa s4, sext(v21), sext(v20) src0_sel:BYTE_0 src1_sel:BYTE_0
	v_cndmask_b32_e64 v8, v24, v23, s1
	v_cndmask_b32_e64 v19, v22, v25, s1
	;; [unrolled: 1-line block ×3, first 2 shown]
	; wave barrier
	v_cmp_ge_i32_e64 s2, v8, v5
	v_cmp_lt_i32_e64 s3, v19, v6
	ds_write_b8 v2, v12
	ds_write_b8 v2, v10 offset:1
	ds_write_b8 v2, v11 offset:2
	;; [unrolled: 1-line block ×3, first 2 shown]
	s_or_b32 s2, s2, s4
	v_add_nc_u32_e32 v4, v0, v7
	s_and_b32 s2, s3, s2
	v_add_nc_u32_e32 v7, v0, v9
	v_cndmask_b32_e64 v8, v8, v19, s2
	v_and_b32_e32 v10, 0x60, v3
	v_add_nc_u32_e32 v12, v0, v26
	; wave barrier
	v_add_nc_u32_e32 v19, v0, v8
	v_or_b32_e32 v6, 16, v10
	ds_read_u8 v9, v4
	ds_read_u8 v7, v7
	;; [unrolled: 1-line block ×4, first 2 shown]
	v_add_nc_u32_e32 v5, 32, v10
	v_cndmask_b32_e64 v20, v20, v21, s2
	v_and_b32_e32 v11, 28, v3
	v_cndmask_b32_e64 v15, v15, v16, s0
	v_sub_nc_u32_e32 v16, v6, v10
	v_sub_nc_u32_e32 v21, v5, v6
	v_cndmask_b32_e32 v14, v13, v14, vcc_lo
	v_cndmask_b32_e64 v17, v17, v18, s1
	s_mov_b32 s1, 0
	v_min_i32_e32 v13, v11, v16
	v_sub_nc_u32_e32 v12, v11, v21
	v_cmp_ge_i32_e32 vcc_lo, v11, v21
	s_mov_b32 s0, exec_lo
	; wave barrier
	ds_write_b8 v2, v14
	ds_write_b8 v2, v15 offset:1
	ds_write_b8 v2, v17 offset:2
	;; [unrolled: 1-line block ×3, first 2 shown]
	v_cndmask_b32_e32 v12, 0, v12, vcc_lo
	; wave barrier
	v_cmpx_lt_i32_e64 v12, v13
	s_cbranch_execz .LBB89_36
; %bb.33:
	v_add_nc_u32_e32 v14, v0, v10
	v_add3_u32 v15, v0, v6, v11
	.p2align	6
.LBB89_34:                              ; =>This Inner Loop Header: Depth=1
	v_sub_nc_u32_e32 v16, v13, v12
	v_lshrrev_b32_e32 v16, 1, v16
	v_add_nc_u32_e32 v16, v16, v12
	v_add_nc_u32_e32 v17, v14, v16
	v_xad_u32 v18, v16, -1, v15
	v_add_nc_u32_e32 v19, 1, v16
	ds_read_i8 v17, v17
	ds_read_i8 v18, v18
	s_waitcnt lgkmcnt(0)
	v_cmp_lt_i16_e32 vcc_lo, v18, v17
	v_cndmask_b32_e32 v13, v13, v16, vcc_lo
	v_cndmask_b32_e32 v12, v19, v12, vcc_lo
	v_cmp_ge_i32_e32 vcc_lo, v12, v13
	s_or_b32 s1, vcc_lo, s1
	s_andn2_b32 exec_lo, exec_lo, s1
	s_cbranch_execnz .LBB89_34
; %bb.35:
	s_or_b32 exec_lo, exec_lo, s1
.LBB89_36:
	s_or_b32 exec_lo, exec_lo, s0
	v_add_nc_u32_e32 v11, v6, v11
	v_add_nc_u32_e32 v14, v12, v10
	v_sub_nc_u32_e32 v15, v11, v12
	v_add_nc_u32_e32 v13, v0, v14
	v_cmp_le_i32_e32 vcc_lo, v6, v14
                                        ; implicit-def: $vgpr12
	v_add_nc_u32_e32 v16, v0, v15
	v_cmp_gt_i32_e64 s1, v5, v15
	ds_read_u8 v10, v13
	ds_read_u8 v11, v16
	s_waitcnt lgkmcnt(1)
	v_bfe_i32 v10, v10, 0, 8
	s_waitcnt lgkmcnt(0)
	v_bfe_i32 v11, v11, 0, 8
	v_cmp_lt_i16_e64 s0, v11, v10
	s_or_b32 s0, vcc_lo, s0
	s_and_b32 vcc_lo, s1, s0
	s_xor_b32 s0, vcc_lo, -1
	s_and_saveexec_b32 s1, s0
	s_xor_b32 s0, exec_lo, s1
; %bb.37:
	ds_read_u8 v12, v13 offset:1
                                        ; implicit-def: $vgpr16
; %bb.38:
	s_or_saveexec_b32 s0, s0
	v_mov_b32_e32 v13, v11
	s_xor_b32 exec_lo, exec_lo, s0
	s_cbranch_execz .LBB89_40
; %bb.39:
	ds_read_u8 v13, v16 offset:1
	s_waitcnt lgkmcnt(1)
	v_mov_b32_e32 v12, v10
.LBB89_40:
	s_or_b32 exec_lo, exec_lo, s0
	v_add_nc_u32_e32 v16, 1, v14
	v_add_nc_u32_e32 v17, 1, v15
	s_waitcnt lgkmcnt(0)
	v_cmp_lt_i16_sdwa s2, sext(v13), sext(v12) src0_sel:BYTE_0 src1_sel:BYTE_0
	v_cndmask_b32_e32 v18, v16, v14, vcc_lo
	v_cndmask_b32_e32 v19, v15, v17, vcc_lo
                                        ; implicit-def: $vgpr16
	v_cmp_ge_i32_e64 s0, v18, v6
	v_cmp_lt_i32_e64 s1, v19, v5
	s_or_b32 s0, s0, s2
	s_and_b32 s0, s1, s0
	s_xor_b32 s1, s0, -1
	s_and_saveexec_b32 s2, s1
	s_xor_b32 s1, exec_lo, s2
; %bb.41:
	v_add_nc_u32_e32 v16, v0, v18
	ds_read_u8 v16, v16 offset:1
; %bb.42:
	s_or_saveexec_b32 s1, s1
	v_mov_b32_e32 v17, v13
	s_xor_b32 exec_lo, exec_lo, s1
	s_cbranch_execz .LBB89_44
; %bb.43:
	s_waitcnt lgkmcnt(0)
	v_add_nc_u32_e32 v16, v0, v19
	ds_read_u8 v17, v16 offset:1
	v_mov_b32_e32 v16, v12
.LBB89_44:
	s_or_b32 exec_lo, exec_lo, s1
	v_add_nc_u32_e32 v20, 1, v18
	v_add_nc_u32_e32 v21, 1, v19
	s_waitcnt lgkmcnt(0)
	v_cmp_lt_i16_sdwa s3, sext(v17), sext(v16) src0_sel:BYTE_0 src1_sel:BYTE_0
	v_cndmask_b32_e64 v23, v20, v18, s0
	v_cndmask_b32_e64 v22, v19, v21, s0
                                        ; implicit-def: $vgpr20
	v_cmp_ge_i32_e64 s1, v23, v6
	v_cmp_lt_i32_e64 s2, v22, v5
	s_or_b32 s1, s1, s3
	s_and_b32 s1, s2, s1
	s_xor_b32 s2, s1, -1
	s_and_saveexec_b32 s3, s2
	s_xor_b32 s2, exec_lo, s3
; %bb.45:
	v_add_nc_u32_e32 v20, v0, v23
	ds_read_u8 v20, v20 offset:1
; %bb.46:
	s_or_saveexec_b32 s2, s2
	v_mov_b32_e32 v21, v17
	s_xor_b32 exec_lo, exec_lo, s2
	s_cbranch_execz .LBB89_48
; %bb.47:
	s_waitcnt lgkmcnt(0)
	v_add_nc_u32_e32 v20, v0, v22
	ds_read_u8 v21, v20 offset:1
	v_mov_b32_e32 v20, v16
.LBB89_48:
	s_or_b32 exec_lo, exec_lo, s2
	v_add_nc_u32_e32 v24, 1, v23
	v_add_nc_u32_e32 v25, 1, v22
	v_cndmask_b32_e64 v18, v18, v19, s0
	v_cndmask_b32_e64 v26, v23, v22, s1
	s_waitcnt lgkmcnt(0)
	v_cmp_lt_i16_sdwa s4, sext(v21), sext(v20) src0_sel:BYTE_0 src1_sel:BYTE_0
	v_cndmask_b32_e64 v19, v24, v23, s1
	v_cndmask_b32_e64 v22, v22, v25, s1
	v_cndmask_b32_e32 v15, v14, v15, vcc_lo
	; wave barrier
	v_cmp_ge_i32_e64 s2, v19, v6
	v_cmp_lt_i32_e64 s3, v22, v5
	ds_write_b8 v2, v9
	ds_write_b8 v2, v7 offset:1
	ds_write_b8 v2, v8 offset:2
	v_add_nc_u32_e32 v7, v0, v15
	s_or_b32 s2, s2, s4
	v_add_nc_u32_e32 v8, v0, v18
	s_and_b32 s2, s3, s2
	v_and_b32_e32 v14, 64, v3
	v_cndmask_b32_e64 v6, v19, v22, s2
	v_add_nc_u32_e32 v18, v0, v26
	ds_write_b8 v2, v4 offset:3
	; wave barrier
	v_add_nc_u32_e32 v6, v0, v6
	v_or_b32_e32 v5, 32, v14
	ds_read_u8 v9, v7
	ds_read_u8 v7, v8
	;; [unrolled: 1-line block ×4, first 2 shown]
	v_add_nc_u32_e32 v4, 64, v14
	v_and_b32_e32 v15, 60, v3
	v_cndmask_b32_e64 v16, v16, v17, s1
	v_cndmask_b32_e64 v12, v12, v13, s0
	v_sub_nc_u32_e32 v17, v5, v14
	v_sub_nc_u32_e32 v19, v4, v5
	v_cndmask_b32_e32 v18, v10, v11, vcc_lo
	v_cndmask_b32_e64 v20, v20, v21, s2
	s_mov_b32 s1, 0
	v_min_i32_e32 v11, v15, v17
	v_sub_nc_u32_e32 v13, v15, v19
	v_cmp_ge_i32_e32 vcc_lo, v15, v19
	s_mov_b32 s0, exec_lo
	; wave barrier
	ds_write_b8 v2, v18
	ds_write_b8 v2, v12 offset:1
	ds_write_b8 v2, v16 offset:2
	;; [unrolled: 1-line block ×3, first 2 shown]
	v_cndmask_b32_e32 v10, 0, v13, vcc_lo
	; wave barrier
	v_cmpx_lt_i32_e64 v10, v11
	s_cbranch_execz .LBB89_52
; %bb.49:
	v_add_nc_u32_e32 v12, v0, v14
	v_add3_u32 v13, v0, v5, v15
	.p2align	6
.LBB89_50:                              ; =>This Inner Loop Header: Depth=1
	v_sub_nc_u32_e32 v16, v11, v10
	v_lshrrev_b32_e32 v16, 1, v16
	v_add_nc_u32_e32 v16, v16, v10
	v_add_nc_u32_e32 v17, v12, v16
	v_xad_u32 v18, v16, -1, v13
	v_add_nc_u32_e32 v19, 1, v16
	ds_read_i8 v17, v17
	ds_read_i8 v18, v18
	s_waitcnt lgkmcnt(0)
	v_cmp_lt_i16_e32 vcc_lo, v18, v17
	v_cndmask_b32_e32 v11, v11, v16, vcc_lo
	v_cndmask_b32_e32 v10, v19, v10, vcc_lo
	v_cmp_ge_i32_e32 vcc_lo, v10, v11
	s_or_b32 s1, vcc_lo, s1
	s_andn2_b32 exec_lo, exec_lo, s1
	s_cbranch_execnz .LBB89_50
; %bb.51:
	s_or_b32 exec_lo, exec_lo, s1
.LBB89_52:
	s_or_b32 exec_lo, exec_lo, s0
	v_add_nc_u32_e32 v11, v5, v15
	v_add_nc_u32_e32 v14, v10, v14
                                        ; implicit-def: $vgpr12
	v_sub_nc_u32_e32 v15, v11, v10
	v_add_nc_u32_e32 v13, v0, v14
	v_cmp_le_i32_e32 vcc_lo, v5, v14
	v_add_nc_u32_e32 v16, v0, v15
	v_cmp_gt_i32_e64 s1, v4, v15
	ds_read_u8 v10, v13
	ds_read_u8 v11, v16
	s_waitcnt lgkmcnt(1)
	v_bfe_i32 v10, v10, 0, 8
	s_waitcnt lgkmcnt(0)
	v_bfe_i32 v11, v11, 0, 8
	v_cmp_lt_i16_e64 s0, v11, v10
	s_or_b32 s0, vcc_lo, s0
	s_and_b32 vcc_lo, s1, s0
	s_xor_b32 s0, vcc_lo, -1
	s_and_saveexec_b32 s1, s0
	s_xor_b32 s0, exec_lo, s1
; %bb.53:
	ds_read_u8 v12, v13 offset:1
                                        ; implicit-def: $vgpr16
; %bb.54:
	s_or_saveexec_b32 s0, s0
	v_mov_b32_e32 v13, v11
	s_xor_b32 exec_lo, exec_lo, s0
	s_cbranch_execz .LBB89_56
; %bb.55:
	ds_read_u8 v13, v16 offset:1
	s_waitcnt lgkmcnt(1)
	v_mov_b32_e32 v12, v10
.LBB89_56:
	s_or_b32 exec_lo, exec_lo, s0
	v_add_nc_u32_e32 v16, 1, v14
	v_add_nc_u32_e32 v17, 1, v15
	s_waitcnt lgkmcnt(0)
	v_cmp_lt_i16_sdwa s2, sext(v13), sext(v12) src0_sel:BYTE_0 src1_sel:BYTE_0
	v_cndmask_b32_e32 v18, v16, v14, vcc_lo
	v_cndmask_b32_e32 v19, v15, v17, vcc_lo
                                        ; implicit-def: $vgpr16
	v_cmp_ge_i32_e64 s0, v18, v5
	v_cmp_lt_i32_e64 s1, v19, v4
	s_or_b32 s0, s0, s2
	s_and_b32 s0, s1, s0
	s_xor_b32 s1, s0, -1
	s_and_saveexec_b32 s2, s1
	s_xor_b32 s1, exec_lo, s2
; %bb.57:
	v_add_nc_u32_e32 v16, v0, v18
	ds_read_u8 v16, v16 offset:1
; %bb.58:
	s_or_saveexec_b32 s1, s1
	v_mov_b32_e32 v17, v13
	s_xor_b32 exec_lo, exec_lo, s1
	s_cbranch_execz .LBB89_60
; %bb.59:
	s_waitcnt lgkmcnt(0)
	v_add_nc_u32_e32 v16, v0, v19
	ds_read_u8 v17, v16 offset:1
	v_mov_b32_e32 v16, v12
.LBB89_60:
	s_or_b32 exec_lo, exec_lo, s1
	v_add_nc_u32_e32 v20, 1, v18
	v_add_nc_u32_e32 v21, 1, v19
	s_waitcnt lgkmcnt(0)
	v_cmp_lt_i16_sdwa s3, sext(v17), sext(v16) src0_sel:BYTE_0 src1_sel:BYTE_0
	v_cndmask_b32_e64 v22, v20, v18, s0
	v_cndmask_b32_e64 v21, v19, v21, s0
                                        ; implicit-def: $vgpr20
	v_cmp_ge_i32_e64 s1, v22, v5
	v_cmp_lt_i32_e64 s2, v21, v4
	s_or_b32 s1, s1, s3
	s_and_b32 s1, s2, s1
	s_xor_b32 s2, s1, -1
	s_and_saveexec_b32 s3, s2
	s_xor_b32 s2, exec_lo, s3
; %bb.61:
	v_add_nc_u32_e32 v20, v0, v22
	ds_read_u8 v20, v20 offset:1
; %bb.62:
	s_or_saveexec_b32 s2, s2
	v_mov_b32_e32 v23, v17
	s_xor_b32 exec_lo, exec_lo, s2
	s_cbranch_execz .LBB89_64
; %bb.63:
	s_waitcnt lgkmcnt(0)
	v_add_nc_u32_e32 v20, v0, v21
	ds_read_u8 v23, v20 offset:1
	v_mov_b32_e32 v20, v16
.LBB89_64:
	s_or_b32 exec_lo, exec_lo, s2
	v_add_nc_u32_e32 v24, 1, v22
	v_add_nc_u32_e32 v25, 1, v21
	v_cndmask_b32_e32 v14, v14, v15, vcc_lo
	v_cndmask_b32_e64 v18, v18, v19, s0
	s_waitcnt lgkmcnt(0)
	v_cmp_lt_i16_sdwa s4, sext(v23), sext(v20) src0_sel:BYTE_0 src1_sel:BYTE_0
	v_cndmask_b32_e64 v15, v24, v22, s1
	v_cndmask_b32_e64 v19, v21, v25, s1
	v_cndmask_b32_e64 v26, v22, v21, s1
	; wave barrier
	v_cmp_ge_i32_e64 s2, v15, v5
	v_cmp_lt_i32_e64 s3, v19, v4
	v_add_nc_u32_e32 v5, v0, v14
	ds_write_b8 v2, v9
	ds_write_b8 v2, v7 offset:1
	ds_write_b8 v2, v8 offset:2
	s_or_b32 s2, s2, s4
	v_add_nc_u32_e32 v7, v0, v18
	s_and_b32 s2, s3, s2
	v_add_nc_u32_e32 v8, v0, v26
	v_cndmask_b32_e64 v4, v15, v19, s2
	ds_write_b8 v2, v6 offset:3
	; wave barrier
	v_and_b32_e32 v3, 0x7c, v3
	v_add_nc_u32_e32 v4, v0, v4
	v_cndmask_b32_e32 v10, v10, v11, vcc_lo
	ds_read_u8 v6, v5
	ds_read_u8 v7, v7
	;; [unrolled: 1-line block ×4, first 2 shown]
	v_cndmask_b32_e64 v12, v12, v13, s0
	v_subrev_nc_u32_e32 v8, 64, v3
	v_cmp_lt_i32_e32 vcc_lo, 63, v3
	v_min_i32_e32 v9, 64, v3
	v_cndmask_b32_e64 v14, v16, v17, s1
	v_cndmask_b32_e64 v20, v20, v23, s2
	s_mov_b32 s0, exec_lo
	v_cndmask_b32_e32 v8, 0, v8, vcc_lo
	; wave barrier
	ds_write_b8 v2, v10
	ds_write_b8 v2, v12 offset:1
	ds_write_b8 v2, v14 offset:2
	;; [unrolled: 1-line block ×3, first 2 shown]
	; wave barrier
	v_cmpx_lt_i32_e64 v8, v9
	s_cbranch_execz .LBB89_68
; %bb.65:
	v_add3_u32 v10, v0, 64, v3
	s_mov_b32 s1, 0
	.p2align	6
.LBB89_66:                              ; =>This Inner Loop Header: Depth=1
	v_sub_nc_u32_e32 v11, v9, v8
	v_lshrrev_b32_e32 v11, 1, v11
	v_add_nc_u32_e32 v11, v11, v8
	v_add_nc_u32_e32 v12, v0, v11
	v_xad_u32 v13, v11, -1, v10
	v_add_nc_u32_e32 v14, 1, v11
	ds_read_i8 v12, v12
	ds_read_i8 v13, v13
	s_waitcnt lgkmcnt(0)
	v_cmp_lt_i16_e32 vcc_lo, v13, v12
	v_cndmask_b32_e32 v9, v9, v11, vcc_lo
	v_cndmask_b32_e32 v8, v14, v8, vcc_lo
	v_cmp_ge_i32_e32 vcc_lo, v8, v9
	s_or_b32 s1, vcc_lo, s1
	s_andn2_b32 exec_lo, exec_lo, s1
	s_cbranch_execnz .LBB89_66
; %bb.67:
	s_or_b32 exec_lo, exec_lo, s1
.LBB89_68:
	s_or_b32 exec_lo, exec_lo, s0
	v_add_nc_u32_e32 v9, 64, v3
	v_add_nc_u32_e32 v12, v0, v8
	v_cmp_le_i32_e32 vcc_lo, 64, v8
                                        ; implicit-def: $vgpr11
	v_sub_nc_u32_e32 v13, v9, v8
	v_add_nc_u32_e32 v14, v0, v13
	v_cmp_gt_i32_e64 s1, 0x80, v13
	ds_read_u8 v9, v12
	ds_read_u8 v10, v14
	s_waitcnt lgkmcnt(1)
	v_bfe_i32 v9, v9, 0, 8
	s_waitcnt lgkmcnt(0)
	v_bfe_i32 v10, v10, 0, 8
	v_cmp_lt_i16_e64 s0, v10, v9
	s_or_b32 s0, vcc_lo, s0
	s_and_b32 vcc_lo, s1, s0
	s_xor_b32 s0, vcc_lo, -1
	s_and_saveexec_b32 s1, s0
	s_xor_b32 s0, exec_lo, s1
; %bb.69:
	ds_read_u8 v11, v12 offset:1
                                        ; implicit-def: $vgpr14
; %bb.70:
	s_or_saveexec_b32 s0, s0
	v_mov_b32_e32 v12, v10
	s_xor_b32 exec_lo, exec_lo, s0
	s_cbranch_execz .LBB89_72
; %bb.71:
	ds_read_u8 v12, v14 offset:1
	s_waitcnt lgkmcnt(1)
	v_mov_b32_e32 v11, v9
.LBB89_72:
	s_or_b32 exec_lo, exec_lo, s0
	v_add_nc_u32_e32 v14, 1, v8
	v_add_nc_u32_e32 v15, 1, v13
	s_waitcnt lgkmcnt(0)
	v_cmp_lt_i16_sdwa s2, sext(v12), sext(v11) src0_sel:BYTE_0 src1_sel:BYTE_0
	v_cndmask_b32_e32 v16, v14, v8, vcc_lo
	v_cndmask_b32_e32 v17, v13, v15, vcc_lo
                                        ; implicit-def: $vgpr14
	v_cmp_le_i32_e64 s0, 64, v16
	v_cmp_gt_i32_e64 s1, 0x80, v17
	s_or_b32 s0, s0, s2
	s_and_b32 s0, s1, s0
	s_xor_b32 s1, s0, -1
	s_and_saveexec_b32 s2, s1
	s_xor_b32 s1, exec_lo, s2
; %bb.73:
	v_add_nc_u32_e32 v14, v0, v16
	ds_read_u8 v14, v14 offset:1
; %bb.74:
	s_or_saveexec_b32 s1, s1
	v_mov_b32_e32 v15, v12
	s_xor_b32 exec_lo, exec_lo, s1
	s_cbranch_execz .LBB89_76
; %bb.75:
	s_waitcnt lgkmcnt(0)
	v_add_nc_u32_e32 v14, v0, v17
	ds_read_u8 v15, v14 offset:1
	v_mov_b32_e32 v14, v11
.LBB89_76:
	s_or_b32 exec_lo, exec_lo, s1
	v_add_nc_u32_e32 v18, 1, v16
	v_add_nc_u32_e32 v19, 1, v17
	s_waitcnt lgkmcnt(0)
	v_cmp_lt_i16_sdwa s3, sext(v15), sext(v14) src0_sel:BYTE_0 src1_sel:BYTE_0
	v_cndmask_b32_e64 v20, v18, v16, s0
	v_cndmask_b32_e64 v19, v17, v19, s0
                                        ; implicit-def: $vgpr18
	v_cmp_le_i32_e64 s1, 64, v20
	v_cmp_gt_i32_e64 s2, 0x80, v19
	s_or_b32 s1, s1, s3
	s_and_b32 s1, s2, s1
	s_xor_b32 s2, s1, -1
	s_and_saveexec_b32 s3, s2
	s_xor_b32 s2, exec_lo, s3
; %bb.77:
	v_add_nc_u32_e32 v18, v0, v20
	ds_read_u8 v18, v18 offset:1
; %bb.78:
	s_or_saveexec_b32 s2, s2
	v_mov_b32_e32 v21, v15
	s_xor_b32 exec_lo, exec_lo, s2
	s_cbranch_execz .LBB89_80
; %bb.79:
	s_waitcnt lgkmcnt(0)
	v_add_nc_u32_e32 v18, v0, v19
	ds_read_u8 v21, v18 offset:1
	v_mov_b32_e32 v18, v14
.LBB89_80:
	s_or_b32 exec_lo, exec_lo, s2
	v_add_nc_u32_e32 v22, 1, v20
	v_add_nc_u32_e32 v23, 1, v19
	v_cndmask_b32_e64 v16, v16, v17, s0
	v_cndmask_b32_e32 v8, v8, v13, vcc_lo
	s_waitcnt lgkmcnt(0)
	v_cmp_lt_i16_sdwa s4, sext(v21), sext(v18) src0_sel:BYTE_0 src1_sel:BYTE_0
	v_cndmask_b32_e64 v17, v22, v20, s1
	v_cndmask_b32_e64 v13, v19, v23, s1
	;; [unrolled: 1-line block ×3, first 2 shown]
	; wave barrier
	v_cmp_le_i32_e64 s2, 64, v17
	v_cmp_gt_i32_e64 s3, 0x80, v13
	ds_write_b8 v2, v6
	ds_write_b8 v2, v7 offset:1
	ds_write_b8 v2, v5 offset:2
	;; [unrolled: 1-line block ×3, first 2 shown]
	s_or_b32 s2, s2, s4
	v_add_nc_u32_e32 v4, v0, v8
	s_and_b32 s2, s3, s2
	v_add_nc_u32_e32 v6, v0, v16
	v_cndmask_b32_e64 v5, v17, v13, s2
	v_add_nc_u32_e32 v7, v0, v24
	; wave barrier
	v_cndmask_b32_e32 v9, v9, v10, vcc_lo
	v_add_nc_u32_e32 v8, v0, v5
	v_cmp_lt_i32_e32 vcc_lo, 0x7f, v3
	ds_read_u8 v4, v4
	ds_read_u8 v5, v6
	;; [unrolled: 1-line block ×4, first 2 shown]
	v_or_b32_e32 v8, 0xffffff80, v3
	v_cndmask_b32_e64 v11, v11, v12, s0
	v_cndmask_b32_e64 v13, v14, v15, s1
	;; [unrolled: 1-line block ×3, first 2 shown]
	s_mov_b32 s0, exec_lo
	v_cndmask_b32_e32 v8, 0, v8, vcc_lo
	; wave barrier
	ds_write_b8 v2, v9
	ds_write_b8 v2, v11 offset:1
	ds_write_b8 v2, v13 offset:2
	;; [unrolled: 1-line block ×3, first 2 shown]
	; wave barrier
	v_cmpx_lt_i32_e64 v8, v3
	s_cbranch_execz .LBB89_84
; %bb.81:
	v_add3_u32 v9, 0x80, v0, v3
	v_mov_b32_e32 v10, v3
	s_mov_b32 s1, 0
	.p2align	6
.LBB89_82:                              ; =>This Inner Loop Header: Depth=1
	v_sub_nc_u32_e32 v11, v10, v8
	v_lshrrev_b32_e32 v11, 1, v11
	v_add_nc_u32_e32 v11, v11, v8
	v_add_nc_u32_e32 v12, v0, v11
	v_xad_u32 v13, v11, -1, v9
	v_add_nc_u32_e32 v14, 1, v11
	ds_read_i8 v12, v12
	ds_read_i8 v13, v13
	s_waitcnt lgkmcnt(0)
	v_cmp_lt_i16_e32 vcc_lo, v13, v12
	v_cndmask_b32_e32 v10, v10, v11, vcc_lo
	v_cndmask_b32_e32 v8, v14, v8, vcc_lo
	v_cmp_ge_i32_e32 vcc_lo, v8, v10
	s_or_b32 s1, vcc_lo, s1
	s_andn2_b32 exec_lo, exec_lo, s1
	s_cbranch_execnz .LBB89_82
; %bb.83:
	s_or_b32 exec_lo, exec_lo, s1
.LBB89_84:
	s_or_b32 exec_lo, exec_lo, s0
	v_add_nc_u32_e32 v3, 0x80, v3
	v_add_nc_u32_e32 v12, v0, v8
	v_cmp_le_i32_e32 vcc_lo, 0x80, v8
                                        ; implicit-def: $vgpr10
	v_sub_nc_u32_e32 v11, v3, v8
	v_add_nc_u32_e32 v13, v0, v11
	v_cmp_gt_i32_e64 s1, 0x100, v11
	ds_read_u8 v3, v12
	ds_read_u8 v9, v13
	s_waitcnt lgkmcnt(1)
	v_bfe_i32 v3, v3, 0, 8
	s_waitcnt lgkmcnt(0)
	v_bfe_i32 v9, v9, 0, 8
	v_cmp_lt_i16_e64 s0, v9, v3
	s_or_b32 s0, vcc_lo, s0
	s_and_b32 vcc_lo, s1, s0
	s_xor_b32 s0, vcc_lo, -1
	s_and_saveexec_b32 s1, s0
	s_xor_b32 s0, exec_lo, s1
; %bb.85:
	ds_read_u8 v10, v12 offset:1
                                        ; implicit-def: $vgpr13
; %bb.86:
	s_or_saveexec_b32 s0, s0
	v_mov_b32_e32 v12, v9
	s_xor_b32 exec_lo, exec_lo, s0
	s_cbranch_execz .LBB89_88
; %bb.87:
	ds_read_u8 v12, v13 offset:1
	s_waitcnt lgkmcnt(1)
	v_mov_b32_e32 v10, v3
.LBB89_88:
	s_or_b32 exec_lo, exec_lo, s0
	v_add_nc_u32_e32 v13, 1, v8
	v_add_nc_u32_e32 v14, 1, v11
	s_waitcnt lgkmcnt(0)
	v_cmp_lt_i16_sdwa s2, sext(v12), sext(v10) src0_sel:BYTE_0 src1_sel:BYTE_0
                                        ; implicit-def: $vgpr16
	v_cndmask_b32_e32 v13, v13, v8, vcc_lo
	v_cndmask_b32_e32 v14, v11, v14, vcc_lo
	v_cmp_le_i32_e64 s0, 0x80, v13
	v_cmp_gt_i32_e64 s1, 0x100, v14
	s_or_b32 s0, s0, s2
	s_and_b32 s0, s1, s0
	s_xor_b32 s1, s0, -1
	s_and_saveexec_b32 s2, s1
	s_xor_b32 s1, exec_lo, s2
; %bb.89:
	v_add_nc_u32_e32 v15, v0, v13
	ds_read_u8 v16, v15 offset:1
; %bb.90:
	s_or_saveexec_b32 s1, s1
	v_mov_b32_e32 v15, v12
	s_xor_b32 exec_lo, exec_lo, s1
	s_cbranch_execz .LBB89_92
; %bb.91:
	v_add_nc_u32_e32 v15, v0, v14
	s_waitcnt lgkmcnt(0)
	v_mov_b32_e32 v16, v10
	ds_read_u8 v15, v15 offset:1
.LBB89_92:
	s_or_b32 exec_lo, exec_lo, s1
	v_add_nc_u32_e32 v17, 1, v13
	v_add_nc_u32_e32 v18, 1, v14
	s_waitcnt lgkmcnt(0)
	v_cmp_ge_i16_sdwa s3, sext(v15), sext(v16) src0_sel:BYTE_0 src1_sel:BYTE_0
                                        ; implicit-def: $vgpr21
                                        ; implicit-def: $vgpr20
	v_cndmask_b32_e64 v22, v17, v13, s0
	v_cndmask_b32_e64 v18, v14, v18, s0
	v_cmp_gt_i32_e64 s1, 0x80, v22
	v_cmp_le_i32_e64 s2, 0x100, v18
	s_and_b32 s1, s1, s3
	s_or_b32 s1, s2, s1
	s_and_saveexec_b32 s2, s1
	s_xor_b32 s1, exec_lo, s2
; %bb.93:
	v_add_nc_u32_e32 v17, v0, v22
	v_add_nc_u32_e32 v20, 1, v22
	ds_read_u8 v21, v17 offset:1
; %bb.94:
	s_or_saveexec_b32 s1, s1
	v_mov_b32_e32 v17, v16
	v_mov_b32_e32 v19, v22
	s_xor_b32 exec_lo, exec_lo, s1
	s_cbranch_execz .LBB89_96
; %bb.95:
	v_add_nc_u32_e32 v17, v0, v18
	s_waitcnt lgkmcnt(0)
	v_add_nc_u32_e32 v21, 1, v18
	v_mov_b32_e32 v19, v18
	v_mov_b32_e32 v20, v22
	ds_read_u8 v23, v17 offset:1
	v_mov_b32_e32 v17, v15
	v_mov_b32_e32 v18, v21
	v_mov_b32_e32 v21, v16
	s_waitcnt lgkmcnt(0)
	v_mov_b32_e32 v15, v23
.LBB89_96:
	s_or_b32 exec_lo, exec_lo, s1
	v_cmp_le_i32_e64 s1, 0x80, v20
	s_waitcnt lgkmcnt(0)
	v_cmp_lt_i16_sdwa s3, sext(v15), sext(v21) src0_sel:BYTE_0 src1_sel:BYTE_0
	v_cmp_gt_i32_e64 s2, 0x100, v18
	v_cndmask_b32_e64 v13, v13, v14, s0
	v_cndmask_b32_e32 v8, v8, v11, vcc_lo
	s_or_b32 s1, s1, s3
	; wave barrier
	s_and_b32 s1, s2, s1
	ds_write_b8 v2, v4
	ds_write_b8 v2, v5 offset:1
	ds_write_b8 v2, v6 offset:2
	;; [unrolled: 1-line block ×3, first 2 shown]
	v_cndmask_b32_e64 v14, v20, v18, s1
	v_add_nc_u32_e32 v2, v0, v13
	v_add_nc_u32_e32 v5, v0, v8
	; wave barrier
	v_add_nc_u32_e32 v4, v0, v14
	v_add_nc_u32_e32 v0, v0, v19
	v_cndmask_b32_e64 v11, v21, v15, s1
	ds_read_u8 v2, v2
	ds_read_u8 v4, v4
	;; [unrolled: 1-line block ×4, first 2 shown]
	v_cndmask_b32_e64 v6, v10, v12, s0
	v_cndmask_b32_e32 v3, v3, v9, vcc_lo
	s_add_u32 s0, s10, s12
	s_addc_u32 s1, s11, 0
	s_waitcnt lgkmcnt(3)
	v_add_nc_u16 v2, v2, v6
	s_waitcnt lgkmcnt(2)
	v_add_nc_u16 v4, v4, v11
	;; [unrolled: 2-line block ×4, first 2 shown]
	v_lshlrev_b16 v2, 8, v2
	v_lshlrev_b16 v4, 8, v4
	v_or_b32_sdwa v2, v3, v2 dst_sel:DWORD dst_unused:UNUSED_PAD src0_sel:BYTE_0 src1_sel:DWORD
	v_or_b32_sdwa v3, v0, v4 dst_sel:WORD_1 dst_unused:UNUSED_PAD src0_sel:BYTE_0 src1_sel:DWORD
	v_add_co_u32 v0, s0, s0, v1
	v_add_co_ci_u32_e64 v1, null, s1, 0, s0
	v_or_b32_sdwa v2, v2, v3 dst_sel:DWORD dst_unused:UNUSED_PAD src0_sel:WORD_0 src1_sel:DWORD
	global_store_dword v[0:1], v2, off
	s_endpgm
	.section	.rodata,"a",@progbits
	.p2align	6, 0x0
	.amdhsa_kernel _Z10sort_pairsILj256ELj64ELj4EaN10test_utils4lessEEvPKT2_PS2_T3_
		.amdhsa_group_segment_fixed_size 1028
		.amdhsa_private_segment_fixed_size 0
		.amdhsa_kernarg_size 20
		.amdhsa_user_sgpr_count 6
		.amdhsa_user_sgpr_private_segment_buffer 1
		.amdhsa_user_sgpr_dispatch_ptr 0
		.amdhsa_user_sgpr_queue_ptr 0
		.amdhsa_user_sgpr_kernarg_segment_ptr 1
		.amdhsa_user_sgpr_dispatch_id 0
		.amdhsa_user_sgpr_flat_scratch_init 0
		.amdhsa_user_sgpr_private_segment_size 0
		.amdhsa_wavefront_size32 1
		.amdhsa_uses_dynamic_stack 0
		.amdhsa_system_sgpr_private_segment_wavefront_offset 0
		.amdhsa_system_sgpr_workgroup_id_x 1
		.amdhsa_system_sgpr_workgroup_id_y 0
		.amdhsa_system_sgpr_workgroup_id_z 0
		.amdhsa_system_sgpr_workgroup_info 0
		.amdhsa_system_vgpr_workitem_id 0
		.amdhsa_next_free_vgpr 27
		.amdhsa_next_free_sgpr 13
		.amdhsa_reserve_vcc 1
		.amdhsa_reserve_flat_scratch 0
		.amdhsa_float_round_mode_32 0
		.amdhsa_float_round_mode_16_64 0
		.amdhsa_float_denorm_mode_32 3
		.amdhsa_float_denorm_mode_16_64 3
		.amdhsa_dx10_clamp 1
		.amdhsa_ieee_mode 1
		.amdhsa_fp16_overflow 0
		.amdhsa_workgroup_processor_mode 1
		.amdhsa_memory_ordered 1
		.amdhsa_forward_progress 1
		.amdhsa_shared_vgpr_count 0
		.amdhsa_exception_fp_ieee_invalid_op 0
		.amdhsa_exception_fp_denorm_src 0
		.amdhsa_exception_fp_ieee_div_zero 0
		.amdhsa_exception_fp_ieee_overflow 0
		.amdhsa_exception_fp_ieee_underflow 0
		.amdhsa_exception_fp_ieee_inexact 0
		.amdhsa_exception_int_div_zero 0
	.end_amdhsa_kernel
	.section	.text._Z10sort_pairsILj256ELj64ELj4EaN10test_utils4lessEEvPKT2_PS2_T3_,"axG",@progbits,_Z10sort_pairsILj256ELj64ELj4EaN10test_utils4lessEEvPKT2_PS2_T3_,comdat
.Lfunc_end89:
	.size	_Z10sort_pairsILj256ELj64ELj4EaN10test_utils4lessEEvPKT2_PS2_T3_, .Lfunc_end89-_Z10sort_pairsILj256ELj64ELj4EaN10test_utils4lessEEvPKT2_PS2_T3_
                                        ; -- End function
	.set _Z10sort_pairsILj256ELj64ELj4EaN10test_utils4lessEEvPKT2_PS2_T3_.num_vgpr, 27
	.set _Z10sort_pairsILj256ELj64ELj4EaN10test_utils4lessEEvPKT2_PS2_T3_.num_agpr, 0
	.set _Z10sort_pairsILj256ELj64ELj4EaN10test_utils4lessEEvPKT2_PS2_T3_.numbered_sgpr, 13
	.set _Z10sort_pairsILj256ELj64ELj4EaN10test_utils4lessEEvPKT2_PS2_T3_.num_named_barrier, 0
	.set _Z10sort_pairsILj256ELj64ELj4EaN10test_utils4lessEEvPKT2_PS2_T3_.private_seg_size, 0
	.set _Z10sort_pairsILj256ELj64ELj4EaN10test_utils4lessEEvPKT2_PS2_T3_.uses_vcc, 1
	.set _Z10sort_pairsILj256ELj64ELj4EaN10test_utils4lessEEvPKT2_PS2_T3_.uses_flat_scratch, 0
	.set _Z10sort_pairsILj256ELj64ELj4EaN10test_utils4lessEEvPKT2_PS2_T3_.has_dyn_sized_stack, 0
	.set _Z10sort_pairsILj256ELj64ELj4EaN10test_utils4lessEEvPKT2_PS2_T3_.has_recursion, 0
	.set _Z10sort_pairsILj256ELj64ELj4EaN10test_utils4lessEEvPKT2_PS2_T3_.has_indirect_call, 0
	.section	.AMDGPU.csdata,"",@progbits
; Kernel info:
; codeLenInByte = 5612
; TotalNumSgprs: 15
; NumVgprs: 27
; ScratchSize: 0
; MemoryBound: 0
; FloatMode: 240
; IeeeMode: 1
; LDSByteSize: 1028 bytes/workgroup (compile time only)
; SGPRBlocks: 0
; VGPRBlocks: 3
; NumSGPRsForWavesPerEU: 15
; NumVGPRsForWavesPerEU: 27
; Occupancy: 16
; WaveLimiterHint : 0
; COMPUTE_PGM_RSRC2:SCRATCH_EN: 0
; COMPUTE_PGM_RSRC2:USER_SGPR: 6
; COMPUTE_PGM_RSRC2:TRAP_HANDLER: 0
; COMPUTE_PGM_RSRC2:TGID_X_EN: 1
; COMPUTE_PGM_RSRC2:TGID_Y_EN: 0
; COMPUTE_PGM_RSRC2:TGID_Z_EN: 0
; COMPUTE_PGM_RSRC2:TIDIG_COMP_CNT: 0
	.section	.text._Z19sort_keys_segmentedILj256ELj64ELj4EaN10test_utils4lessEEvPKT2_PS2_PKjT3_,"axG",@progbits,_Z19sort_keys_segmentedILj256ELj64ELj4EaN10test_utils4lessEEvPKT2_PS2_PKjT3_,comdat
	.protected	_Z19sort_keys_segmentedILj256ELj64ELj4EaN10test_utils4lessEEvPKT2_PS2_PKjT3_ ; -- Begin function _Z19sort_keys_segmentedILj256ELj64ELj4EaN10test_utils4lessEEvPKT2_PS2_PKjT3_
	.globl	_Z19sort_keys_segmentedILj256ELj64ELj4EaN10test_utils4lessEEvPKT2_PS2_PKjT3_
	.p2align	8
	.type	_Z19sort_keys_segmentedILj256ELj64ELj4EaN10test_utils4lessEEvPKT2_PS2_PKjT3_,@function
_Z19sort_keys_segmentedILj256ELj64ELj4EaN10test_utils4lessEEvPKT2_PS2_PKjT3_: ; @_Z19sort_keys_segmentedILj256ELj64ELj4EaN10test_utils4lessEEvPKT2_PS2_PKjT3_
; %bb.0:
	s_clause 0x1
	s_load_dwordx2 s[0:1], s[4:5], 0x10
	s_load_dwordx4 s[8:11], s[4:5], 0x0
	v_lshrrev_b32_e32 v6, 6, v0
	v_mov_b32_e32 v1, 0
	v_mov_b32_e32 v7, 0
	;; [unrolled: 1-line block ×3, first 2 shown]
	v_lshl_or_b32 v0, s6, 2, v6
	v_lshlrev_b64 v[2:3], 2, v[0:1]
	v_lshlrev_b32_e32 v0, 8, v0
	s_waitcnt lgkmcnt(0)
	v_add_co_u32 v2, vcc_lo, s0, v2
	v_add_co_ci_u32_e64 v3, null, s1, v3, vcc_lo
	global_load_dword v5, v[2:3], off
	v_mbcnt_lo_u32_b32 v2, -1, 0
	v_lshlrev_b32_e32 v4, 2, v2
	v_add_co_u32 v2, s0, s8, v0
	v_add_co_ci_u32_e64 v3, null, s9, 0, s0
	v_add_co_u32 v2, vcc_lo, v2, v4
	v_add_co_ci_u32_e64 v3, null, 0, v3, vcc_lo
	s_waitcnt vmcnt(0)
	v_cmp_lt_u32_e32 vcc_lo, v4, v5
	s_and_saveexec_b32 s0, vcc_lo
	s_cbranch_execz .LBB90_2
; %bb.1:
	global_load_ubyte v7, v[2:3], off
	v_mov_b32_e32 v8, 0
.LBB90_2:
	s_or_b32 exec_lo, exec_lo, s0
	v_or_b32_e32 v9, 1, v4
	v_mov_b32_e32 v10, v1
	v_cmp_lt_u32_e64 s0, v9, v5
	s_and_saveexec_b32 s1, s0
	s_cbranch_execz .LBB90_4
; %bb.3:
	global_load_ubyte v10, v[2:3], off offset:1
.LBB90_4:
	s_or_b32 exec_lo, exec_lo, s1
	v_or_b32_e32 v11, 2, v4
	v_cmp_lt_u32_e64 s1, v11, v5
	s_and_saveexec_b32 s2, s1
	s_cbranch_execz .LBB90_6
; %bb.5:
	global_load_ubyte v1, v[2:3], off offset:2
.LBB90_6:
	s_or_b32 exec_lo, exec_lo, s2
	v_or_b32_e32 v12, 3, v4
	v_cmp_lt_u32_e64 s2, v12, v5
	s_and_saveexec_b32 s3, s2
	s_cbranch_execz .LBB90_8
; %bb.7:
	global_load_ubyte v8, v[2:3], off offset:3
.LBB90_8:
	s_or_b32 exec_lo, exec_lo, s3
	s_waitcnt vmcnt(0)
	v_perm_b32 v2, v1, v8, 0xc0c0004
	v_mov_b32_e32 v1, 0x7f00
	v_perm_b32 v3, v7, v10, 0xc0c0004
	v_cmp_lt_i32_e64 s3, v9, v5
	v_mov_b32_e32 v8, 0x7f
	v_lshlrev_b32_e32 v2, 16, v2
	v_or_b32_sdwa v7, v7, v1 dst_sel:DWORD dst_unused:UNUSED_PAD src0_sel:BYTE_0 src1_sel:DWORD
	v_cmp_lt_i32_e64 s4, v12, v5
	s_mov_b32 s5, exec_lo
	v_or_b32_e32 v3, v3, v2
	v_or_b32_sdwa v2, v7, v2 dst_sel:DWORD dst_unused:UNUSED_PAD src0_sel:WORD_0 src1_sel:DWORD
	v_mov_b32_e32 v7, 0xffffff00
	v_cndmask_b32_e64 v2, v2, v3, s3
	v_cmp_lt_i32_e64 s3, v11, v5
	v_and_b32_sdwa v7, v2, v7 dst_sel:DWORD dst_unused:UNUSED_PAD src0_sel:WORD_1 src1_sel:DWORD
	v_or_b32_sdwa v7, v7, v8 dst_sel:WORD_1 dst_unused:UNUSED_PAD src0_sel:DWORD src1_sel:DWORD
	v_and_or_b32 v2, 0xffff, v2, v7
	v_cndmask_b32_e64 v3, v2, v3, s3
	v_cmpx_ge_i32_e64 v12, v5
; %bb.9:
	v_mov_b32_e32 v2, 0xff
	v_cmp_lt_i32_e64 s3, v4, v5
	s_andn2_b32 s4, s4, exec_lo
	v_and_b32_sdwa v2, v3, v2 dst_sel:DWORD dst_unused:UNUSED_PAD src0_sel:WORD_1 src1_sel:DWORD
	s_and_b32 s3, s3, exec_lo
	s_or_b32 s4, s4, s3
	v_or_b32_sdwa v1, v2, v1 dst_sel:WORD_1 dst_unused:UNUSED_PAD src0_sel:DWORD src1_sel:DWORD
	v_and_or_b32 v3, 0xffff, v3, v1
; %bb.10:
	s_or_b32 exec_lo, exec_lo, s5
	s_and_saveexec_b32 s5, s4
	s_cbranch_execz .LBB90_14
; %bb.11:
	v_lshrrev_b32_e32 v1, 8, v3
	v_bfe_i32 v2, v3, 0, 8
	v_perm_b32 v7, v3, v3, 0x7060405
	v_bfe_i32 v1, v1, 0, 8
	v_cmp_lt_i16_e64 s3, v1, v2
	v_cndmask_b32_e64 v3, v3, v7, s3
	v_lshrrev_b32_e32 v7, 16, v3
	v_lshrrev_b32_e32 v8, 24, v3
	v_perm_b32 v9, 0, v7, 0xc0c0001
	v_bfe_i32 v8, v8, 0, 8
	v_bfe_i32 v7, v7, 0, 8
	v_lshlrev_b32_e32 v9, 16, v9
	v_min_i16 v10, v8, v7
	v_cmp_lt_i16_e64 s3, v8, v7
	v_max_i16 v7, v8, v7
	v_and_or_b32 v9, 0xffff, v3, v9
	v_lshlrev_b16 v11, 8, v10
	v_cndmask_b32_e64 v3, v3, v9, s3
	v_min_i16 v9, v1, v2
	v_max_i16 v1, v1, v2
	v_or_b32_sdwa v2, v3, v11 dst_sel:DWORD dst_unused:UNUSED_PAD src0_sel:BYTE_0 src1_sel:DWORD
	v_lshlrev_b16 v11, 8, v9
	v_min_i16 v12, v10, v1
	v_perm_b32 v13, v1, v3, 0xc0c0304
	v_cmp_lt_i16_e64 s3, v10, v1
	v_and_b32_e32 v2, 0xffff, v2
	v_cmp_gt_i16_e64 s4, v1, v7
	v_or_b32_sdwa v11, v12, v11 dst_sel:DWORD dst_unused:UNUSED_PAD src0_sel:BYTE_0 src1_sel:DWORD
	v_lshl_or_b32 v2, v13, 16, v2
	v_max_i16 v13, v10, v1
	v_and_b32_e32 v11, 0xffff, v11
	v_cndmask_b32_e64 v2, v3, v2, s3
	v_lshlrev_b16 v3, 8, v13
	v_cmp_lt_i16_e64 s3, v10, v9
	v_and_or_b32 v8, 0xffff0000, v2, v11
	v_or_b32_sdwa v3, v7, v3 dst_sel:WORD_1 dst_unused:UNUSED_PAD src0_sel:BYTE_0 src1_sel:DWORD
	v_cndmask_b32_e64 v1, v12, v9, s3
	v_cndmask_b32_e64 v2, v2, v8, s3
	v_and_or_b32 v3, 0xffff, v2, v3
	v_cndmask_b32_e64 v3, v2, v3, s4
	v_cndmask_b32_e64 v2, v13, v7, s4
	s_mov_b32 s4, exec_lo
	v_cmpx_lt_i16_e64 v2, v1
; %bb.12:
	v_perm_b32 v2, v3, v2, 0xc0c0004
	v_perm_b32 v1, v1, v3, 0xc0c0304
	v_lshl_or_b32 v3, v1, 16, v2
; %bb.13:
	s_or_b32 exec_lo, exec_lo, s4
.LBB90_14:
	s_or_b32 exec_lo, exec_lo, s5
	v_and_b32_e32 v1, 0x78, v4
	v_and_b32_e32 v9, 4, v4
	v_mad_u32_u24 v12, 0x101, v6, v4
	s_mov_b32 s5, 0
	s_mov_b32 s4, exec_lo
	v_min_i32_e32 v7, v5, v1
	v_min_i32_e32 v9, v5, v9
	; wave barrier
	ds_write_b32 v12, v3
	v_add_nc_u32_e32 v1, 4, v7
	; wave barrier
	v_min_i32_e32 v8, v5, v1
	v_add_nc_u32_e32 v1, 4, v8
	v_sub_nc_u32_e32 v11, v8, v7
	v_min_i32_e32 v2, v5, v1
	v_min_i32_e32 v11, v9, v11
	v_sub_nc_u32_e32 v1, v2, v8
	v_sub_nc_u32_e32 v10, v9, v1
	v_cmp_ge_i32_e64 s3, v9, v1
	v_mul_u32_u24_e32 v1, 0x101, v6
	v_cndmask_b32_e64 v10, 0, v10, s3
	v_cmpx_lt_i32_e64 v10, v11
	s_cbranch_execz .LBB90_18
; %bb.15:
	v_add_nc_u32_e32 v3, v1, v7
	v_add3_u32 v6, v1, v8, v9
	.p2align	6
.LBB90_16:                              ; =>This Inner Loop Header: Depth=1
	v_sub_nc_u32_e32 v12, v11, v10
	v_lshrrev_b32_e32 v12, 1, v12
	v_add_nc_u32_e32 v12, v12, v10
	v_add_nc_u32_e32 v13, v3, v12
	v_xad_u32 v14, v12, -1, v6
	v_add_nc_u32_e32 v15, 1, v12
	ds_read_i8 v13, v13
	ds_read_i8 v14, v14
	s_waitcnt lgkmcnt(0)
	v_cmp_lt_i16_e64 s3, v14, v13
	v_cndmask_b32_e64 v11, v11, v12, s3
	v_cndmask_b32_e64 v10, v15, v10, s3
	v_cmp_ge_i32_e64 s3, v10, v11
	s_or_b32 s5, s3, s5
	s_andn2_b32 exec_lo, exec_lo, s5
	s_cbranch_execnz .LBB90_16
; %bb.17:
	s_or_b32 exec_lo, exec_lo, s5
.LBB90_18:
	s_or_b32 exec_lo, exec_lo, s4
	v_add_nc_u32_e32 v6, v8, v9
	v_add_nc_u32_e32 v3, v10, v7
                                        ; implicit-def: $vgpr9
	v_sub_nc_u32_e32 v11, v6, v10
	v_add_nc_u32_e32 v10, v1, v3
	v_cmp_le_i32_e64 s3, v8, v3
	v_add_nc_u32_e32 v12, v1, v11
	v_cmp_gt_i32_e64 s5, v2, v11
	ds_read_u8 v6, v10
	ds_read_u8 v7, v12
	s_waitcnt lgkmcnt(1)
	v_bfe_i32 v6, v6, 0, 8
	s_waitcnt lgkmcnt(0)
	v_bfe_i32 v7, v7, 0, 8
	v_cmp_lt_i16_e64 s4, v7, v6
	s_or_b32 s3, s3, s4
	s_and_b32 s3, s5, s3
	s_xor_b32 s4, s3, -1
	s_and_saveexec_b32 s5, s4
	s_xor_b32 s4, exec_lo, s5
; %bb.19:
	ds_read_u8 v9, v10 offset:1
                                        ; implicit-def: $vgpr12
; %bb.20:
	s_or_saveexec_b32 s4, s4
	v_mov_b32_e32 v10, v7
	s_xor_b32 exec_lo, exec_lo, s4
	s_cbranch_execz .LBB90_22
; %bb.21:
	ds_read_u8 v10, v12 offset:1
	s_waitcnt lgkmcnt(1)
	v_mov_b32_e32 v9, v6
.LBB90_22:
	s_or_b32 exec_lo, exec_lo, s4
	v_add_nc_u32_e32 v12, 1, v3
	v_add_nc_u32_e32 v13, 1, v11
	s_waitcnt lgkmcnt(0)
	v_cmp_lt_i16_sdwa s6, sext(v10), sext(v9) src0_sel:BYTE_0 src1_sel:BYTE_0
	v_cndmask_b32_e64 v12, v12, v3, s3
	v_cndmask_b32_e64 v3, v11, v13, s3
                                        ; implicit-def: $vgpr11
	v_cmp_ge_i32_e64 s4, v12, v8
	v_cmp_lt_i32_e64 s5, v3, v2
	s_or_b32 s4, s4, s6
	s_and_b32 s4, s5, s4
	s_xor_b32 s5, s4, -1
	s_and_saveexec_b32 s6, s5
	s_xor_b32 s5, exec_lo, s6
; %bb.23:
	v_add_nc_u32_e32 v11, v1, v12
	ds_read_u8 v11, v11 offset:1
; %bb.24:
	s_or_saveexec_b32 s5, s5
	v_mov_b32_e32 v13, v10
	s_xor_b32 exec_lo, exec_lo, s5
	s_cbranch_execz .LBB90_26
; %bb.25:
	s_waitcnt lgkmcnt(0)
	v_add_nc_u32_e32 v11, v1, v3
	ds_read_u8 v13, v11 offset:1
	v_mov_b32_e32 v11, v9
.LBB90_26:
	s_or_b32 exec_lo, exec_lo, s5
	v_add_nc_u32_e32 v14, 1, v12
	v_add_nc_u32_e32 v15, 1, v3
	s_waitcnt lgkmcnt(0)
	v_cmp_lt_i16_sdwa s7, sext(v13), sext(v11) src0_sel:BYTE_0 src1_sel:BYTE_0
	v_cndmask_b32_e64 v16, v14, v12, s4
	v_cndmask_b32_e64 v14, v3, v15, s4
                                        ; implicit-def: $vgpr15
	v_cmp_ge_i32_e64 s5, v16, v8
	v_cmp_lt_i32_e64 s6, v14, v2
	s_or_b32 s5, s5, s7
	s_and_b32 s5, s6, s5
	s_xor_b32 s6, s5, -1
	s_and_saveexec_b32 s7, s6
	s_xor_b32 s6, exec_lo, s7
; %bb.27:
	v_add_nc_u32_e32 v3, v1, v16
	ds_read_u8 v15, v3 offset:1
; %bb.28:
	s_or_saveexec_b32 s6, s6
	v_mov_b32_e32 v17, v13
	s_xor_b32 exec_lo, exec_lo, s6
	s_cbranch_execz .LBB90_30
; %bb.29:
	v_add_nc_u32_e32 v3, v1, v14
	s_waitcnt lgkmcnt(0)
	v_mov_b32_e32 v15, v11
	ds_read_u8 v17, v3 offset:1
.LBB90_30:
	s_or_b32 exec_lo, exec_lo, s6
	v_and_b32_e32 v3, 0x70, v4
	v_add_nc_u32_e32 v18, 1, v16
	v_cndmask_b32_e64 v11, v11, v13, s5
	v_add_nc_u32_e32 v13, 1, v14
	v_cndmask_b32_e64 v10, v9, v10, s4
	v_min_i32_e32 v12, v5, v3
	v_cndmask_b32_e64 v9, v18, v16, s5
	v_cndmask_b32_e64 v20, v6, v7, s3
	;; [unrolled: 1-line block ×3, first 2 shown]
	v_and_b32_e32 v6, 12, v4
	v_add_nc_u32_e32 v3, 8, v12
	s_waitcnt lgkmcnt(0)
	v_cmp_lt_i16_sdwa s6, sext(v17), sext(v15) src0_sel:BYTE_0 src1_sel:BYTE_0
	v_cmp_ge_i32_e64 s3, v9, v8
	v_cmp_lt_i32_e64 s4, v13, v2
	v_min_i32_e32 v6, v5, v6
	v_min_i32_e32 v3, v5, v3
	v_add_nc_u32_e32 v2, v1, v4
	s_or_b32 s3, s3, s6
	s_mov_b32 s5, 0
	s_and_b32 s3, s4, s3
	v_add_nc_u32_e32 v19, 8, v3
	v_sub_nc_u32_e32 v13, v3, v12
	v_cndmask_b32_e64 v14, v15, v17, s3
	s_mov_b32 s4, exec_lo
	v_min_i32_e32 v7, v5, v19
	; wave barrier
	ds_write_b8 v2, v20
	ds_write_b8 v2, v10 offset:1
	ds_write_b8 v2, v11 offset:2
	;; [unrolled: 1-line block ×3, first 2 shown]
	; wave barrier
	v_sub_nc_u32_e32 v8, v7, v3
	v_sub_nc_u32_e32 v9, v6, v8
	v_cmp_ge_i32_e64 s3, v6, v8
	v_cndmask_b32_e64 v8, 0, v9, s3
	v_min_i32_e32 v9, v6, v13
	v_cmpx_lt_i32_e64 v8, v9
	s_cbranch_execz .LBB90_34
; %bb.31:
	v_add_nc_u32_e32 v10, v1, v12
	v_add3_u32 v11, v1, v3, v6
	.p2align	6
.LBB90_32:                              ; =>This Inner Loop Header: Depth=1
	v_sub_nc_u32_e32 v13, v9, v8
	v_lshrrev_b32_e32 v13, 1, v13
	v_add_nc_u32_e32 v13, v13, v8
	v_add_nc_u32_e32 v14, v10, v13
	v_xad_u32 v15, v13, -1, v11
	v_add_nc_u32_e32 v16, 1, v13
	ds_read_i8 v14, v14
	ds_read_i8 v15, v15
	s_waitcnt lgkmcnt(0)
	v_cmp_lt_i16_e64 s3, v15, v14
	v_cndmask_b32_e64 v9, v9, v13, s3
	v_cndmask_b32_e64 v8, v16, v8, s3
	v_cmp_ge_i32_e64 s3, v8, v9
	s_or_b32 s5, s3, s5
	s_andn2_b32 exec_lo, exec_lo, s5
	s_cbranch_execnz .LBB90_32
; %bb.33:
	s_or_b32 exec_lo, exec_lo, s5
.LBB90_34:
	s_or_b32 exec_lo, exec_lo, s4
	v_add_nc_u32_e32 v9, v3, v6
	v_add_nc_u32_e32 v6, v8, v12
	v_sub_nc_u32_e32 v12, v9, v8
	v_add_nc_u32_e32 v11, v1, v6
	v_cmp_le_i32_e64 s3, v3, v6
	v_add_nc_u32_e32 v13, v1, v12
	v_cmp_gt_i32_e64 s5, v7, v12
	ds_read_u8 v8, v11
	ds_read_u8 v10, v13
	s_waitcnt lgkmcnt(1)
	v_bfe_i32 v9, v8, 0, 8
	s_waitcnt lgkmcnt(0)
	v_bfe_i32 v10, v10, 0, 8
                                        ; implicit-def: $vgpr8
	v_cmp_lt_i16_e64 s4, v10, v9
	s_or_b32 s3, s3, s4
	s_and_b32 s3, s5, s3
	s_xor_b32 s4, s3, -1
	s_and_saveexec_b32 s5, s4
	s_xor_b32 s4, exec_lo, s5
; %bb.35:
	ds_read_u8 v8, v11 offset:1
                                        ; implicit-def: $vgpr13
; %bb.36:
	s_or_saveexec_b32 s4, s4
	v_mov_b32_e32 v11, v10
	s_xor_b32 exec_lo, exec_lo, s4
	s_cbranch_execz .LBB90_38
; %bb.37:
	ds_read_u8 v11, v13 offset:1
	s_waitcnt lgkmcnt(1)
	v_mov_b32_e32 v8, v9
.LBB90_38:
	s_or_b32 exec_lo, exec_lo, s4
	v_add_nc_u32_e32 v13, 1, v6
	v_add_nc_u32_e32 v14, 1, v12
	s_waitcnt lgkmcnt(0)
	v_cmp_lt_i16_sdwa s6, sext(v11), sext(v8) src0_sel:BYTE_0 src1_sel:BYTE_0
	v_cndmask_b32_e64 v13, v13, v6, s3
	v_cndmask_b32_e64 v6, v12, v14, s3
                                        ; implicit-def: $vgpr12
	v_cmp_ge_i32_e64 s4, v13, v3
	v_cmp_lt_i32_e64 s5, v6, v7
	s_or_b32 s4, s4, s6
	s_and_b32 s4, s5, s4
	s_xor_b32 s5, s4, -1
	s_and_saveexec_b32 s6, s5
	s_xor_b32 s5, exec_lo, s6
; %bb.39:
	v_add_nc_u32_e32 v12, v1, v13
	ds_read_u8 v12, v12 offset:1
; %bb.40:
	s_or_saveexec_b32 s5, s5
	v_mov_b32_e32 v14, v11
	s_xor_b32 exec_lo, exec_lo, s5
	s_cbranch_execz .LBB90_42
; %bb.41:
	s_waitcnt lgkmcnt(0)
	v_add_nc_u32_e32 v12, v1, v6
	ds_read_u8 v14, v12 offset:1
	v_mov_b32_e32 v12, v8
.LBB90_42:
	s_or_b32 exec_lo, exec_lo, s5
	v_add_nc_u32_e32 v15, 1, v13
	v_add_nc_u32_e32 v16, 1, v6
	s_waitcnt lgkmcnt(0)
	v_cmp_lt_i16_sdwa s7, sext(v14), sext(v12) src0_sel:BYTE_0 src1_sel:BYTE_0
	v_cndmask_b32_e64 v17, v15, v13, s4
	v_cndmask_b32_e64 v15, v6, v16, s4
                                        ; implicit-def: $vgpr16
	v_cmp_ge_i32_e64 s5, v17, v3
	v_cmp_lt_i32_e64 s6, v15, v7
	s_or_b32 s5, s5, s7
	s_and_b32 s5, s6, s5
	s_xor_b32 s6, s5, -1
	s_and_saveexec_b32 s7, s6
	s_xor_b32 s6, exec_lo, s7
; %bb.43:
	v_add_nc_u32_e32 v6, v1, v17
	ds_read_u8 v16, v6 offset:1
; %bb.44:
	s_or_saveexec_b32 s6, s6
	v_mov_b32_e32 v18, v14
	s_xor_b32 exec_lo, exec_lo, s6
	s_cbranch_execz .LBB90_46
; %bb.45:
	v_add_nc_u32_e32 v6, v1, v15
	s_waitcnt lgkmcnt(0)
	v_mov_b32_e32 v16, v12
	ds_read_u8 v18, v6 offset:1
.LBB90_46:
	s_or_b32 exec_lo, exec_lo, s6
	v_and_b32_e32 v6, 0x60, v4
	v_cndmask_b32_e64 v12, v12, v14, s5
	v_add_nc_u32_e32 v14, 1, v17
	v_add_nc_u32_e32 v20, 1, v15
	v_cndmask_b32_e64 v21, v8, v11, s4
	v_min_i32_e32 v13, v5, v6
	v_and_b32_e32 v11, 28, v4
	v_cndmask_b32_e64 v14, v14, v17, s5
	v_cndmask_b32_e64 v15, v15, v20, s5
	s_waitcnt lgkmcnt(0)
	v_cmp_lt_i16_sdwa s6, sext(v18), sext(v16) src0_sel:BYTE_0 src1_sel:BYTE_0
	v_add_nc_u32_e32 v6, 16, v13
	v_cndmask_b32_e64 v9, v9, v10, s3
	v_cmp_ge_i32_e64 s4, v14, v3
	v_cmp_lt_i32_e64 s3, v15, v7
	v_min_i32_e32 v11, v5, v11
	v_min_i32_e32 v6, v5, v6
	s_mov_b32 s5, 0
	s_or_b32 s4, s4, s6
	s_and_b32 s3, s3, s4
	v_add_nc_u32_e32 v19, 16, v6
	v_sub_nc_u32_e32 v10, v6, v13
	v_cndmask_b32_e64 v14, v16, v18, s3
	s_mov_b32 s4, exec_lo
	; wave barrier
	v_min_i32_e32 v8, v5, v19
	ds_write_b8 v2, v9
	ds_write_b8 v2, v21 offset:1
	ds_write_b8 v2, v12 offset:2
	;; [unrolled: 1-line block ×3, first 2 shown]
	; wave barrier
	v_sub_nc_u32_e32 v3, v8, v6
	v_sub_nc_u32_e32 v7, v11, v3
	v_cmp_ge_i32_e64 s3, v11, v3
	v_cndmask_b32_e64 v3, 0, v7, s3
	v_min_i32_e32 v7, v11, v10
	v_cmpx_lt_i32_e64 v3, v7
	s_cbranch_execz .LBB90_50
; %bb.47:
	v_add_nc_u32_e32 v9, v1, v13
	v_add3_u32 v10, v1, v6, v11
	.p2align	6
.LBB90_48:                              ; =>This Inner Loop Header: Depth=1
	v_sub_nc_u32_e32 v12, v7, v3
	v_lshrrev_b32_e32 v12, 1, v12
	v_add_nc_u32_e32 v12, v12, v3
	v_add_nc_u32_e32 v14, v9, v12
	v_xad_u32 v15, v12, -1, v10
	v_add_nc_u32_e32 v16, 1, v12
	ds_read_i8 v14, v14
	ds_read_i8 v15, v15
	s_waitcnt lgkmcnt(0)
	v_cmp_lt_i16_e64 s3, v15, v14
	v_cndmask_b32_e64 v7, v7, v12, s3
	v_cndmask_b32_e64 v3, v16, v3, s3
	v_cmp_ge_i32_e64 s3, v3, v7
	s_or_b32 s5, s3, s5
	s_andn2_b32 exec_lo, exec_lo, s5
	s_cbranch_execnz .LBB90_48
; %bb.49:
	s_or_b32 exec_lo, exec_lo, s5
.LBB90_50:
	s_or_b32 exec_lo, exec_lo, s4
	v_add_nc_u32_e32 v9, v6, v11
	v_add_nc_u32_e32 v7, v3, v13
	v_sub_nc_u32_e32 v12, v9, v3
	v_add_nc_u32_e32 v11, v1, v7
	v_cmp_le_i32_e64 s3, v6, v7
	v_add_nc_u32_e32 v13, v1, v12
	v_cmp_gt_i32_e64 s5, v8, v12
	ds_read_u8 v3, v11
	ds_read_u8 v9, v13
	s_waitcnt lgkmcnt(1)
	v_bfe_i32 v3, v3, 0, 8
	s_waitcnt lgkmcnt(0)
	v_bfe_i32 v10, v9, 0, 8
                                        ; implicit-def: $vgpr9
	v_cmp_lt_i16_e64 s4, v10, v3
	s_or_b32 s3, s3, s4
	s_and_b32 s3, s5, s3
	s_xor_b32 s4, s3, -1
	s_and_saveexec_b32 s5, s4
	s_xor_b32 s4, exec_lo, s5
; %bb.51:
	ds_read_u8 v9, v11 offset:1
                                        ; implicit-def: $vgpr13
; %bb.52:
	s_or_saveexec_b32 s4, s4
	v_mov_b32_e32 v11, v10
	s_xor_b32 exec_lo, exec_lo, s4
	s_cbranch_execz .LBB90_54
; %bb.53:
	ds_read_u8 v11, v13 offset:1
	s_waitcnt lgkmcnt(1)
	v_mov_b32_e32 v9, v3
.LBB90_54:
	s_or_b32 exec_lo, exec_lo, s4
	v_add_nc_u32_e32 v13, 1, v7
	v_add_nc_u32_e32 v14, 1, v12
	s_waitcnt lgkmcnt(0)
	v_cmp_lt_i16_sdwa s6, sext(v11), sext(v9) src0_sel:BYTE_0 src1_sel:BYTE_0
	v_cndmask_b32_e64 v13, v13, v7, s3
	v_cndmask_b32_e64 v7, v12, v14, s3
                                        ; implicit-def: $vgpr12
	v_cmp_ge_i32_e64 s4, v13, v6
	v_cmp_lt_i32_e64 s5, v7, v8
	s_or_b32 s4, s4, s6
	s_and_b32 s4, s5, s4
	s_xor_b32 s5, s4, -1
	s_and_saveexec_b32 s6, s5
	s_xor_b32 s5, exec_lo, s6
; %bb.55:
	v_add_nc_u32_e32 v12, v1, v13
	ds_read_u8 v12, v12 offset:1
; %bb.56:
	s_or_saveexec_b32 s5, s5
	v_mov_b32_e32 v14, v11
	s_xor_b32 exec_lo, exec_lo, s5
	s_cbranch_execz .LBB90_58
; %bb.57:
	s_waitcnt lgkmcnt(0)
	v_add_nc_u32_e32 v12, v1, v7
	ds_read_u8 v14, v12 offset:1
	v_mov_b32_e32 v12, v9
.LBB90_58:
	s_or_b32 exec_lo, exec_lo, s5
	v_add_nc_u32_e32 v15, 1, v13
	v_add_nc_u32_e32 v16, 1, v7
	s_waitcnt lgkmcnt(0)
	v_cmp_lt_i16_sdwa s7, sext(v14), sext(v12) src0_sel:BYTE_0 src1_sel:BYTE_0
	v_cndmask_b32_e64 v17, v15, v13, s4
	v_cndmask_b32_e64 v15, v7, v16, s4
                                        ; implicit-def: $vgpr16
	v_cmp_ge_i32_e64 s5, v17, v6
	v_cmp_lt_i32_e64 s6, v15, v8
	s_or_b32 s5, s5, s7
	s_and_b32 s5, s6, s5
	s_xor_b32 s6, s5, -1
	s_and_saveexec_b32 s7, s6
	s_xor_b32 s6, exec_lo, s7
; %bb.59:
	v_add_nc_u32_e32 v7, v1, v17
	ds_read_u8 v16, v7 offset:1
; %bb.60:
	s_or_saveexec_b32 s6, s6
	v_mov_b32_e32 v18, v14
	s_xor_b32 exec_lo, exec_lo, s6
	s_cbranch_execz .LBB90_62
; %bb.61:
	v_add_nc_u32_e32 v7, v1, v15
	s_waitcnt lgkmcnt(0)
	v_mov_b32_e32 v16, v12
	ds_read_u8 v18, v7 offset:1
.LBB90_62:
	s_or_b32 exec_lo, exec_lo, s6
	v_and_b32_e32 v7, 64, v4
	v_cndmask_b32_e64 v12, v12, v14, s5
	v_add_nc_u32_e32 v14, 1, v17
	v_add_nc_u32_e32 v20, 1, v15
	v_cndmask_b32_e64 v21, v9, v11, s4
	v_min_i32_e32 v13, v5, v7
	v_and_b32_e32 v11, 60, v4
	v_cndmask_b32_e64 v14, v14, v17, s5
	v_cndmask_b32_e64 v15, v15, v20, s5
	s_waitcnt lgkmcnt(0)
	v_cmp_lt_i16_sdwa s6, sext(v18), sext(v16) src0_sel:BYTE_0 src1_sel:BYTE_0
	v_add_nc_u32_e32 v7, 32, v13
	v_cndmask_b32_e64 v10, v3, v10, s3
	v_cmp_ge_i32_e64 s4, v14, v6
	v_cmp_lt_i32_e64 s3, v15, v8
	v_min_i32_e32 v11, v5, v11
	v_min_i32_e32 v7, v5, v7
	s_mov_b32 s5, 0
	s_or_b32 s4, s4, s6
	s_and_b32 s3, s3, s4
	v_add_nc_u32_e32 v19, 32, v7
	v_sub_nc_u32_e32 v8, v7, v13
	v_cndmask_b32_e64 v14, v16, v18, s3
	s_mov_b32 s4, exec_lo
	; wave barrier
	v_min_i32_e32 v9, v5, v19
	ds_write_b8 v2, v10
	ds_write_b8 v2, v21 offset:1
	ds_write_b8 v2, v12 offset:2
	ds_write_b8 v2, v14 offset:3
	; wave barrier
	v_sub_nc_u32_e32 v6, v9, v7
	v_sub_nc_u32_e32 v3, v11, v6
	v_cmp_ge_i32_e64 s3, v11, v6
	v_min_i32_e32 v6, v11, v8
	v_cndmask_b32_e64 v3, 0, v3, s3
	v_cmpx_lt_i32_e64 v3, v6
	s_cbranch_execz .LBB90_66
; %bb.63:
	v_add_nc_u32_e32 v8, v1, v13
	v_add3_u32 v10, v1, v7, v11
	.p2align	6
.LBB90_64:                              ; =>This Inner Loop Header: Depth=1
	v_sub_nc_u32_e32 v12, v6, v3
	v_lshrrev_b32_e32 v12, 1, v12
	v_add_nc_u32_e32 v12, v12, v3
	v_add_nc_u32_e32 v14, v8, v12
	v_xad_u32 v15, v12, -1, v10
	v_add_nc_u32_e32 v16, 1, v12
	ds_read_i8 v14, v14
	ds_read_i8 v15, v15
	s_waitcnt lgkmcnt(0)
	v_cmp_lt_i16_e64 s3, v15, v14
	v_cndmask_b32_e64 v6, v6, v12, s3
	v_cndmask_b32_e64 v3, v16, v3, s3
	v_cmp_ge_i32_e64 s3, v3, v6
	s_or_b32 s5, s3, s5
	s_andn2_b32 exec_lo, exec_lo, s5
	s_cbranch_execnz .LBB90_64
; %bb.65:
	s_or_b32 exec_lo, exec_lo, s5
.LBB90_66:
	s_or_b32 exec_lo, exec_lo, s4
	v_add_nc_u32_e32 v6, v7, v11
	v_add_nc_u32_e32 v8, v3, v13
	v_sub_nc_u32_e32 v3, v6, v3
	v_add_nc_u32_e32 v10, v1, v8
	v_cmp_le_i32_e64 s3, v7, v8
	v_add_nc_u32_e32 v13, v1, v3
	v_cmp_gt_i32_e64 s5, v9, v3
	ds_read_u8 v6, v10
	ds_read_u8 v12, v13
	s_waitcnt lgkmcnt(1)
	v_bfe_i32 v11, v6, 0, 8
	s_waitcnt lgkmcnt(0)
	v_bfe_i32 v12, v12, 0, 8
                                        ; implicit-def: $vgpr6
	v_cmp_lt_i16_e64 s4, v12, v11
	s_or_b32 s3, s3, s4
	s_and_b32 s3, s5, s3
	s_xor_b32 s4, s3, -1
	s_and_saveexec_b32 s5, s4
	s_xor_b32 s4, exec_lo, s5
; %bb.67:
	ds_read_u8 v6, v10 offset:1
                                        ; implicit-def: $vgpr13
; %bb.68:
	s_or_saveexec_b32 s4, s4
	v_mov_b32_e32 v10, v12
	s_xor_b32 exec_lo, exec_lo, s4
	s_cbranch_execz .LBB90_70
; %bb.69:
	ds_read_u8 v10, v13 offset:1
	s_waitcnt lgkmcnt(1)
	v_mov_b32_e32 v6, v11
.LBB90_70:
	s_or_b32 exec_lo, exec_lo, s4
	v_add_nc_u32_e32 v13, 1, v8
	v_add_nc_u32_e32 v14, 1, v3
	s_waitcnt lgkmcnt(0)
	v_cmp_lt_i16_sdwa s6, sext(v10), sext(v6) src0_sel:BYTE_0 src1_sel:BYTE_0
	v_cndmask_b32_e64 v8, v13, v8, s3
	v_cndmask_b32_e64 v3, v3, v14, s3
                                        ; implicit-def: $vgpr13
	v_cmp_ge_i32_e64 s4, v8, v7
	v_cmp_lt_i32_e64 s5, v3, v9
	s_or_b32 s4, s4, s6
	s_and_b32 s4, s5, s4
	s_xor_b32 s5, s4, -1
	s_and_saveexec_b32 s6, s5
	s_xor_b32 s5, exec_lo, s6
; %bb.71:
	v_add_nc_u32_e32 v13, v1, v8
	ds_read_u8 v13, v13 offset:1
; %bb.72:
	s_or_saveexec_b32 s5, s5
	v_mov_b32_e32 v14, v10
	s_xor_b32 exec_lo, exec_lo, s5
	s_cbranch_execz .LBB90_74
; %bb.73:
	s_waitcnt lgkmcnt(0)
	v_add_nc_u32_e32 v13, v1, v3
	ds_read_u8 v14, v13 offset:1
	v_mov_b32_e32 v13, v6
.LBB90_74:
	s_or_b32 exec_lo, exec_lo, s5
	v_add_nc_u32_e32 v15, 1, v8
	v_add_nc_u32_e32 v16, 1, v3
	s_waitcnt lgkmcnt(0)
	v_cmp_lt_i16_sdwa s7, sext(v14), sext(v13) src0_sel:BYTE_0 src1_sel:BYTE_0
	v_cndmask_b32_e64 v17, v15, v8, s4
	v_cndmask_b32_e64 v15, v3, v16, s4
                                        ; implicit-def: $vgpr16
	v_cmp_ge_i32_e64 s5, v17, v7
	v_cmp_lt_i32_e64 s6, v15, v9
	s_or_b32 s5, s5, s7
	s_and_b32 s5, s6, s5
	s_xor_b32 s6, s5, -1
	s_and_saveexec_b32 s7, s6
	s_xor_b32 s6, exec_lo, s7
; %bb.75:
	v_add_nc_u32_e32 v3, v1, v17
	ds_read_u8 v16, v3 offset:1
; %bb.76:
	s_or_saveexec_b32 s6, s6
	v_mov_b32_e32 v18, v14
	s_xor_b32 exec_lo, exec_lo, s6
	s_cbranch_execz .LBB90_78
; %bb.77:
	v_add_nc_u32_e32 v3, v1, v15
	s_waitcnt lgkmcnt(0)
	v_mov_b32_e32 v16, v13
	ds_read_u8 v18, v3 offset:1
.LBB90_78:
	s_or_b32 exec_lo, exec_lo, s6
	v_min_i32_e32 v3, 0, v5
	v_cndmask_b32_e64 v13, v13, v14, s5
	v_add_nc_u32_e32 v14, 1, v17
	v_add_nc_u32_e32 v20, 1, v15
	v_cndmask_b32_e64 v21, v6, v10, s4
	v_add_nc_u32_e32 v8, 64, v3
	v_and_b32_e32 v6, 0x7c, v4
	v_cndmask_b32_e64 v14, v14, v17, s5
	v_cndmask_b32_e64 v15, v15, v20, s5
	s_waitcnt lgkmcnt(0)
	v_cmp_lt_i16_sdwa s6, sext(v18), sext(v16) src0_sel:BYTE_0 src1_sel:BYTE_0
	v_min_i32_e32 v8, v5, v8
	v_cndmask_b32_e64 v11, v11, v12, s3
	v_cmp_ge_i32_e64 s4, v14, v7
	v_cmp_lt_i32_e64 s3, v15, v9
	v_min_i32_e32 v6, v5, v6
	v_add_nc_u32_e32 v19, 64, v8
	v_sub_nc_u32_e32 v12, v8, v3
	s_or_b32 s4, s4, s6
	s_mov_b32 s5, 0
	s_and_b32 s3, s3, s4
	v_min_i32_e32 v10, v5, v19
	v_cndmask_b32_e64 v14, v16, v18, s3
	s_mov_b32 s4, exec_lo
	; wave barrier
	v_sub_nc_u32_e32 v7, v10, v8
	ds_write_b8 v2, v11
	ds_write_b8 v2, v21 offset:1
	ds_write_b8 v2, v13 offset:2
	;; [unrolled: 1-line block ×3, first 2 shown]
	; wave barrier
	v_sub_nc_u32_e32 v9, v6, v7
	v_cmp_ge_i32_e64 s3, v6, v7
	v_cndmask_b32_e64 v7, 0, v9, s3
	v_min_i32_e32 v9, v6, v12
	v_cmpx_lt_i32_e64 v7, v9
	s_cbranch_execz .LBB90_82
; %bb.79:
	v_add_nc_u32_e32 v11, v1, v3
	v_add3_u32 v12, v1, v8, v6
	.p2align	6
.LBB90_80:                              ; =>This Inner Loop Header: Depth=1
	v_sub_nc_u32_e32 v13, v9, v7
	v_lshrrev_b32_e32 v13, 1, v13
	v_add_nc_u32_e32 v13, v13, v7
	v_add_nc_u32_e32 v14, v11, v13
	v_xad_u32 v15, v13, -1, v12
	v_add_nc_u32_e32 v16, 1, v13
	ds_read_i8 v14, v14
	ds_read_i8 v15, v15
	s_waitcnt lgkmcnt(0)
	v_cmp_lt_i16_e64 s3, v15, v14
	v_cndmask_b32_e64 v9, v9, v13, s3
	v_cndmask_b32_e64 v7, v16, v7, s3
	v_cmp_ge_i32_e64 s3, v7, v9
	s_or_b32 s5, s3, s5
	s_andn2_b32 exec_lo, exec_lo, s5
	s_cbranch_execnz .LBB90_80
; %bb.81:
	s_or_b32 exec_lo, exec_lo, s5
.LBB90_82:
	s_or_b32 exec_lo, exec_lo, s4
	v_add_nc_u32_e32 v9, v8, v6
	v_add_nc_u32_e32 v14, v7, v3
                                        ; implicit-def: $vgpr12
	v_sub_nc_u32_e32 v7, v9, v7
	v_add_nc_u32_e32 v13, v1, v14
	v_cmp_le_i32_e64 s3, v8, v14
	v_add_nc_u32_e32 v15, v1, v7
	v_cmp_gt_i32_e64 s5, v10, v7
	ds_read_u8 v9, v13
	ds_read_u8 v11, v15
	s_waitcnt lgkmcnt(1)
	v_bfe_i32 v9, v9, 0, 8
	s_waitcnt lgkmcnt(0)
	v_bfe_i32 v11, v11, 0, 8
	v_cmp_lt_i16_e64 s4, v11, v9
	s_or_b32 s3, s3, s4
	s_and_b32 s3, s5, s3
	s_xor_b32 s4, s3, -1
	s_and_saveexec_b32 s5, s4
	s_xor_b32 s4, exec_lo, s5
; %bb.83:
	ds_read_u8 v12, v13 offset:1
                                        ; implicit-def: $vgpr15
; %bb.84:
	s_or_saveexec_b32 s4, s4
	v_mov_b32_e32 v13, v11
	s_xor_b32 exec_lo, exec_lo, s4
	s_cbranch_execz .LBB90_86
; %bb.85:
	ds_read_u8 v13, v15 offset:1
	s_waitcnt lgkmcnt(1)
	v_mov_b32_e32 v12, v9
.LBB90_86:
	s_or_b32 exec_lo, exec_lo, s4
	v_add_nc_u32_e32 v15, 1, v14
	v_add_nc_u32_e32 v17, 1, v7
	s_waitcnt lgkmcnt(0)
	v_cmp_lt_i16_sdwa s6, sext(v13), sext(v12) src0_sel:BYTE_0 src1_sel:BYTE_0
	v_cndmask_b32_e64 v16, v15, v14, s3
	v_cndmask_b32_e64 v7, v7, v17, s3
                                        ; implicit-def: $vgpr14
	v_cmp_ge_i32_e64 s4, v16, v8
	v_cmp_lt_i32_e64 s5, v7, v10
	s_or_b32 s4, s4, s6
	s_and_b32 s4, s5, s4
	s_xor_b32 s5, s4, -1
	s_and_saveexec_b32 s6, s5
	s_xor_b32 s5, exec_lo, s6
; %bb.87:
	v_add_nc_u32_e32 v14, v1, v16
	ds_read_u8 v14, v14 offset:1
; %bb.88:
	s_or_saveexec_b32 s5, s5
	v_mov_b32_e32 v15, v13
	s_xor_b32 exec_lo, exec_lo, s5
	s_cbranch_execz .LBB90_90
; %bb.89:
	s_waitcnt lgkmcnt(0)
	v_add_nc_u32_e32 v14, v1, v7
	ds_read_u8 v15, v14 offset:1
	v_mov_b32_e32 v14, v12
.LBB90_90:
	s_or_b32 exec_lo, exec_lo, s5
	v_add_nc_u32_e32 v17, 1, v16
	v_add_nc_u32_e32 v19, 1, v7
	s_waitcnt lgkmcnt(0)
	v_cmp_lt_i16_sdwa s7, sext(v15), sext(v14) src0_sel:BYTE_0 src1_sel:BYTE_0
	v_cndmask_b32_e64 v18, v17, v16, s4
	v_cndmask_b32_e64 v16, v7, v19, s4
                                        ; implicit-def: $vgpr17
	v_cmp_ge_i32_e64 s5, v18, v8
	v_cmp_lt_i32_e64 s6, v16, v10
	s_or_b32 s5, s5, s7
	s_and_b32 s5, s6, s5
	s_xor_b32 s6, s5, -1
	s_and_saveexec_b32 s7, s6
	s_xor_b32 s6, exec_lo, s7
; %bb.91:
	v_add_nc_u32_e32 v7, v1, v18
	ds_read_u8 v17, v7 offset:1
; %bb.92:
	s_or_saveexec_b32 s6, s6
	v_mov_b32_e32 v19, v15
	s_xor_b32 exec_lo, exec_lo, s6
	s_cbranch_execz .LBB90_94
; %bb.93:
	v_add_nc_u32_e32 v7, v1, v16
	s_waitcnt lgkmcnt(0)
	v_mov_b32_e32 v17, v14
	ds_read_u8 v19, v7 offset:1
.LBB90_94:
	s_or_b32 exec_lo, exec_lo, s6
	v_add_nc_u32_e32 v7, 0x80, v3
	v_add_nc_u32_e32 v20, 1, v18
	;; [unrolled: 1-line block ×3, first 2 shown]
	v_cndmask_b32_e64 v14, v14, v15, s5
	v_cndmask_b32_e64 v12, v12, v13, s4
	v_min_i32_e32 v7, v5, v7
	v_cndmask_b32_e64 v15, v20, v18, s5
	v_cndmask_b32_e64 v13, v16, v22, s5
	s_waitcnt lgkmcnt(0)
	v_cmp_lt_i16_sdwa s5, sext(v19), sext(v17) src0_sel:BYTE_0 src1_sel:BYTE_0
	v_cndmask_b32_e64 v11, v9, v11, s3
	v_add_nc_u32_e32 v21, 0x80, v7
	v_cmp_ge_i32_e64 s4, v15, v8
	v_cmp_lt_i32_e64 s3, v13, v10
	v_sub_nc_u32_e32 v10, v7, v3
	v_min_i32_e32 v5, v5, v21
	s_or_b32 s4, s4, s5
	s_mov_b32 s5, 0
	s_and_b32 s3, s3, s4
	s_mov_b32 s4, exec_lo
	v_sub_nc_u32_e32 v8, v5, v7
	v_cndmask_b32_e64 v13, v17, v19, s3
	; wave barrier
	ds_write_b8 v2, v11
	ds_write_b8 v2, v12 offset:1
	ds_write_b8 v2, v14 offset:2
	;; [unrolled: 1-line block ×3, first 2 shown]
	v_sub_nc_u32_e32 v9, v6, v8
	v_cmp_ge_i32_e64 s3, v6, v8
	; wave barrier
	v_cndmask_b32_e64 v8, 0, v9, s3
	v_min_i32_e32 v9, v6, v10
	v_cmpx_lt_i32_e64 v8, v9
	s_cbranch_execz .LBB90_98
; %bb.95:
	v_add_nc_u32_e32 v2, v1, v3
	v_add3_u32 v10, v1, v7, v6
	.p2align	6
.LBB90_96:                              ; =>This Inner Loop Header: Depth=1
	v_sub_nc_u32_e32 v11, v9, v8
	v_lshrrev_b32_e32 v11, 1, v11
	v_add_nc_u32_e32 v11, v11, v8
	v_add_nc_u32_e32 v12, v2, v11
	v_xad_u32 v13, v11, -1, v10
	v_add_nc_u32_e32 v14, 1, v11
	ds_read_i8 v12, v12
	ds_read_i8 v13, v13
	s_waitcnt lgkmcnt(0)
	v_cmp_lt_i16_e64 s3, v13, v12
	v_cndmask_b32_e64 v9, v9, v11, s3
	v_cndmask_b32_e64 v8, v14, v8, s3
	v_cmp_ge_i32_e64 s3, v8, v9
	s_or_b32 s5, s3, s5
	s_andn2_b32 exec_lo, exec_lo, s5
	s_cbranch_execnz .LBB90_96
; %bb.97:
	s_or_b32 exec_lo, exec_lo, s5
.LBB90_98:
	s_or_b32 exec_lo, exec_lo, s4
	v_add_nc_u32_e32 v2, v7, v6
	v_add_nc_u32_e32 v9, v8, v3
                                        ; implicit-def: $vgpr6
	v_sub_nc_u32_e32 v10, v2, v8
	v_add_nc_u32_e32 v8, v1, v9
	v_cmp_le_i32_e64 s3, v7, v9
	v_add_nc_u32_e32 v11, v1, v10
	v_cmp_gt_i32_e64 s5, v5, v10
	ds_read_u8 v2, v8
	ds_read_u8 v3, v11
	s_waitcnt lgkmcnt(1)
	v_bfe_i32 v2, v2, 0, 8
	s_waitcnt lgkmcnt(0)
	v_bfe_i32 v3, v3, 0, 8
	v_cmp_lt_i16_e64 s4, v3, v2
	s_or_b32 s3, s3, s4
	s_and_b32 s3, s5, s3
	s_xor_b32 s4, s3, -1
	s_and_saveexec_b32 s5, s4
	s_xor_b32 s4, exec_lo, s5
; %bb.99:
	ds_read_u8 v6, v8 offset:1
                                        ; implicit-def: $vgpr11
; %bb.100:
	s_or_saveexec_b32 s4, s4
	v_mov_b32_e32 v8, v3
	s_xor_b32 exec_lo, exec_lo, s4
	s_cbranch_execz .LBB90_102
; %bb.101:
	ds_read_u8 v8, v11 offset:1
	s_waitcnt lgkmcnt(1)
	v_mov_b32_e32 v6, v2
.LBB90_102:
	s_or_b32 exec_lo, exec_lo, s4
	v_add_nc_u32_e32 v11, 1, v9
	v_add_nc_u32_e32 v13, 1, v10
	s_waitcnt lgkmcnt(0)
	v_cmp_lt_i16_sdwa s6, sext(v8), sext(v6) src0_sel:BYTE_0 src1_sel:BYTE_0
	v_cndmask_b32_e64 v12, v11, v9, s3
	v_cndmask_b32_e64 v11, v10, v13, s3
                                        ; implicit-def: $vgpr9
	v_cmp_ge_i32_e64 s4, v12, v7
	v_cmp_lt_i32_e64 s5, v11, v5
	s_or_b32 s4, s4, s6
	s_and_b32 s4, s5, s4
	s_xor_b32 s5, s4, -1
	s_and_saveexec_b32 s6, s5
	s_xor_b32 s5, exec_lo, s6
; %bb.103:
	v_add_nc_u32_e32 v9, v1, v12
	ds_read_u8 v9, v9 offset:1
; %bb.104:
	s_or_saveexec_b32 s5, s5
	v_mov_b32_e32 v10, v8
	s_xor_b32 exec_lo, exec_lo, s5
	s_cbranch_execz .LBB90_106
; %bb.105:
	s_waitcnt lgkmcnt(0)
	v_add_nc_u32_e32 v9, v1, v11
	ds_read_u8 v10, v9 offset:1
	v_mov_b32_e32 v9, v6
.LBB90_106:
	s_or_b32 exec_lo, exec_lo, s5
	v_add_nc_u32_e32 v13, 1, v12
	v_add_nc_u32_e32 v14, 1, v11
	s_waitcnt lgkmcnt(0)
	v_cmp_lt_i16_sdwa s7, sext(v10), sext(v9) src0_sel:BYTE_0 src1_sel:BYTE_0
	v_cndmask_b32_e64 v15, v13, v12, s4
	v_cndmask_b32_e64 v11, v11, v14, s4
                                        ; implicit-def: $vgpr12
                                        ; implicit-def: $vgpr13
	v_cmp_ge_i32_e64 s5, v15, v7
	v_cmp_lt_i32_e64 s6, v11, v5
	s_or_b32 s5, s5, s7
	s_and_b32 s5, s6, s5
	s_xor_b32 s6, s5, -1
	s_and_saveexec_b32 s7, s6
	s_xor_b32 s6, exec_lo, s7
; %bb.107:
	v_add_nc_u32_e32 v1, v1, v15
	v_add_nc_u32_e32 v13, 1, v15
                                        ; implicit-def: $vgpr15
	ds_read_u8 v12, v1 offset:1
                                        ; implicit-def: $vgpr1
; %bb.108:
	s_or_saveexec_b32 s6, s6
	v_mov_b32_e32 v14, v10
	s_xor_b32 exec_lo, exec_lo, s6
	s_cbranch_execz .LBB90_110
; %bb.109:
	v_add_nc_u32_e32 v1, v1, v11
	v_add_nc_u32_e32 v11, 1, v11
	v_mov_b32_e32 v13, v15
	s_waitcnt lgkmcnt(0)
	v_mov_b32_e32 v12, v9
	ds_read_u8 v14, v1 offset:1
.LBB90_110:
	s_or_b32 exec_lo, exec_lo, s6
	v_add_co_u32 v0, s6, s10, v0
	v_add_co_ci_u32_e64 v1, null, s11, 0, s6
	v_add_co_u32 v0, s6, v0, v4
	v_add_co_ci_u32_e64 v1, null, 0, v1, s6
	s_and_saveexec_b32 s6, vcc_lo
	s_cbranch_execnz .LBB90_115
; %bb.111:
	s_or_b32 exec_lo, exec_lo, s6
	s_and_saveexec_b32 s3, s0
	s_cbranch_execnz .LBB90_116
.LBB90_112:
	s_or_b32 exec_lo, exec_lo, s3
	s_and_saveexec_b32 s0, s1
	s_cbranch_execnz .LBB90_117
.LBB90_113:
	s_or_b32 exec_lo, exec_lo, s0
	s_and_saveexec_b32 s0, s2
	s_cbranch_execnz .LBB90_118
.LBB90_114:
	s_endpgm
.LBB90_115:
	v_cndmask_b32_e64 v2, v2, v3, s3
	global_store_byte v[0:1], v2, off
	s_or_b32 exec_lo, exec_lo, s6
	s_and_saveexec_b32 s3, s0
	s_cbranch_execz .LBB90_112
.LBB90_116:
	v_cndmask_b32_e64 v2, v6, v8, s4
	global_store_byte v[0:1], v2, off offset:1
	s_or_b32 exec_lo, exec_lo, s3
	s_and_saveexec_b32 s0, s1
	s_cbranch_execz .LBB90_113
.LBB90_117:
	v_cndmask_b32_e64 v2, v9, v10, s5
	global_store_byte v[0:1], v2, off offset:2
	s_or_b32 exec_lo, exec_lo, s0
	s_and_saveexec_b32 s0, s2
	s_cbranch_execz .LBB90_114
.LBB90_118:
	v_cmp_ge_i32_e32 vcc_lo, v13, v7
	s_waitcnt lgkmcnt(0)
	v_cmp_lt_i16_sdwa s1, sext(v14), sext(v12) src0_sel:BYTE_0 src1_sel:BYTE_0
	v_cmp_lt_i32_e64 s0, v11, v5
	s_or_b32 s1, vcc_lo, s1
	s_and_b32 vcc_lo, s0, s1
	v_cndmask_b32_e32 v2, v12, v14, vcc_lo
	global_store_byte v[0:1], v2, off offset:3
	s_endpgm
	.section	.rodata,"a",@progbits
	.p2align	6, 0x0
	.amdhsa_kernel _Z19sort_keys_segmentedILj256ELj64ELj4EaN10test_utils4lessEEvPKT2_PS2_PKjT3_
		.amdhsa_group_segment_fixed_size 1028
		.amdhsa_private_segment_fixed_size 0
		.amdhsa_kernarg_size 28
		.amdhsa_user_sgpr_count 6
		.amdhsa_user_sgpr_private_segment_buffer 1
		.amdhsa_user_sgpr_dispatch_ptr 0
		.amdhsa_user_sgpr_queue_ptr 0
		.amdhsa_user_sgpr_kernarg_segment_ptr 1
		.amdhsa_user_sgpr_dispatch_id 0
		.amdhsa_user_sgpr_flat_scratch_init 0
		.amdhsa_user_sgpr_private_segment_size 0
		.amdhsa_wavefront_size32 1
		.amdhsa_uses_dynamic_stack 0
		.amdhsa_system_sgpr_private_segment_wavefront_offset 0
		.amdhsa_system_sgpr_workgroup_id_x 1
		.amdhsa_system_sgpr_workgroup_id_y 0
		.amdhsa_system_sgpr_workgroup_id_z 0
		.amdhsa_system_sgpr_workgroup_info 0
		.amdhsa_system_vgpr_workitem_id 0
		.amdhsa_next_free_vgpr 23
		.amdhsa_next_free_sgpr 12
		.amdhsa_reserve_vcc 1
		.amdhsa_reserve_flat_scratch 0
		.amdhsa_float_round_mode_32 0
		.amdhsa_float_round_mode_16_64 0
		.amdhsa_float_denorm_mode_32 3
		.amdhsa_float_denorm_mode_16_64 3
		.amdhsa_dx10_clamp 1
		.amdhsa_ieee_mode 1
		.amdhsa_fp16_overflow 0
		.amdhsa_workgroup_processor_mode 1
		.amdhsa_memory_ordered 1
		.amdhsa_forward_progress 1
		.amdhsa_shared_vgpr_count 0
		.amdhsa_exception_fp_ieee_invalid_op 0
		.amdhsa_exception_fp_denorm_src 0
		.amdhsa_exception_fp_ieee_div_zero 0
		.amdhsa_exception_fp_ieee_overflow 0
		.amdhsa_exception_fp_ieee_underflow 0
		.amdhsa_exception_fp_ieee_inexact 0
		.amdhsa_exception_int_div_zero 0
	.end_amdhsa_kernel
	.section	.text._Z19sort_keys_segmentedILj256ELj64ELj4EaN10test_utils4lessEEvPKT2_PS2_PKjT3_,"axG",@progbits,_Z19sort_keys_segmentedILj256ELj64ELj4EaN10test_utils4lessEEvPKT2_PS2_PKjT3_,comdat
.Lfunc_end90:
	.size	_Z19sort_keys_segmentedILj256ELj64ELj4EaN10test_utils4lessEEvPKT2_PS2_PKjT3_, .Lfunc_end90-_Z19sort_keys_segmentedILj256ELj64ELj4EaN10test_utils4lessEEvPKT2_PS2_PKjT3_
                                        ; -- End function
	.set _Z19sort_keys_segmentedILj256ELj64ELj4EaN10test_utils4lessEEvPKT2_PS2_PKjT3_.num_vgpr, 23
	.set _Z19sort_keys_segmentedILj256ELj64ELj4EaN10test_utils4lessEEvPKT2_PS2_PKjT3_.num_agpr, 0
	.set _Z19sort_keys_segmentedILj256ELj64ELj4EaN10test_utils4lessEEvPKT2_PS2_PKjT3_.numbered_sgpr, 12
	.set _Z19sort_keys_segmentedILj256ELj64ELj4EaN10test_utils4lessEEvPKT2_PS2_PKjT3_.num_named_barrier, 0
	.set _Z19sort_keys_segmentedILj256ELj64ELj4EaN10test_utils4lessEEvPKT2_PS2_PKjT3_.private_seg_size, 0
	.set _Z19sort_keys_segmentedILj256ELj64ELj4EaN10test_utils4lessEEvPKT2_PS2_PKjT3_.uses_vcc, 1
	.set _Z19sort_keys_segmentedILj256ELj64ELj4EaN10test_utils4lessEEvPKT2_PS2_PKjT3_.uses_flat_scratch, 0
	.set _Z19sort_keys_segmentedILj256ELj64ELj4EaN10test_utils4lessEEvPKT2_PS2_PKjT3_.has_dyn_sized_stack, 0
	.set _Z19sort_keys_segmentedILj256ELj64ELj4EaN10test_utils4lessEEvPKT2_PS2_PKjT3_.has_recursion, 0
	.set _Z19sort_keys_segmentedILj256ELj64ELj4EaN10test_utils4lessEEvPKT2_PS2_PKjT3_.has_indirect_call, 0
	.section	.AMDGPU.csdata,"",@progbits
; Kernel info:
; codeLenInByte = 5584
; TotalNumSgprs: 14
; NumVgprs: 23
; ScratchSize: 0
; MemoryBound: 0
; FloatMode: 240
; IeeeMode: 1
; LDSByteSize: 1028 bytes/workgroup (compile time only)
; SGPRBlocks: 0
; VGPRBlocks: 2
; NumSGPRsForWavesPerEU: 14
; NumVGPRsForWavesPerEU: 23
; Occupancy: 16
; WaveLimiterHint : 0
; COMPUTE_PGM_RSRC2:SCRATCH_EN: 0
; COMPUTE_PGM_RSRC2:USER_SGPR: 6
; COMPUTE_PGM_RSRC2:TRAP_HANDLER: 0
; COMPUTE_PGM_RSRC2:TGID_X_EN: 1
; COMPUTE_PGM_RSRC2:TGID_Y_EN: 0
; COMPUTE_PGM_RSRC2:TGID_Z_EN: 0
; COMPUTE_PGM_RSRC2:TIDIG_COMP_CNT: 0
	.section	.text._Z20sort_pairs_segmentedILj256ELj64ELj4EaN10test_utils4lessEEvPKT2_PS2_PKjT3_,"axG",@progbits,_Z20sort_pairs_segmentedILj256ELj64ELj4EaN10test_utils4lessEEvPKT2_PS2_PKjT3_,comdat
	.protected	_Z20sort_pairs_segmentedILj256ELj64ELj4EaN10test_utils4lessEEvPKT2_PS2_PKjT3_ ; -- Begin function _Z20sort_pairs_segmentedILj256ELj64ELj4EaN10test_utils4lessEEvPKT2_PS2_PKjT3_
	.globl	_Z20sort_pairs_segmentedILj256ELj64ELj4EaN10test_utils4lessEEvPKT2_PS2_PKjT3_
	.p2align	8
	.type	_Z20sort_pairs_segmentedILj256ELj64ELj4EaN10test_utils4lessEEvPKT2_PS2_PKjT3_,@function
_Z20sort_pairs_segmentedILj256ELj64ELj4EaN10test_utils4lessEEvPKT2_PS2_PKjT3_: ; @_Z20sort_pairs_segmentedILj256ELj64ELj4EaN10test_utils4lessEEvPKT2_PS2_PKjT3_
; %bb.0:
	s_clause 0x1
	s_load_dwordx2 s[0:1], s[4:5], 0x10
	s_load_dwordx4 s[8:11], s[4:5], 0x0
	v_lshrrev_b32_e32 v6, 6, v0
	v_mov_b32_e32 v1, 0
	v_mov_b32_e32 v8, 0
	v_mov_b32_e32 v7, 0
	v_lshl_or_b32 v0, s6, 2, v6
	v_lshlrev_b64 v[2:3], 2, v[0:1]
	v_lshlrev_b32_e32 v0, 8, v0
	s_waitcnt lgkmcnt(0)
	v_add_co_u32 v2, vcc_lo, s0, v2
	v_add_co_ci_u32_e64 v3, null, s1, v3, vcc_lo
	global_load_dword v5, v[2:3], off
	v_mbcnt_lo_u32_b32 v2, -1, 0
	v_lshlrev_b32_e32 v4, 2, v2
	v_add_co_u32 v2, s0, s8, v0
	v_add_co_ci_u32_e64 v3, null, s9, 0, s0
	v_add_co_u32 v2, vcc_lo, v2, v4
	v_add_co_ci_u32_e64 v3, null, 0, v3, vcc_lo
	s_waitcnt vmcnt(0)
	v_cmp_lt_u32_e64 s0, v4, v5
	s_and_saveexec_b32 s1, s0
	s_cbranch_execz .LBB91_2
; %bb.1:
	global_load_ubyte v8, v[2:3], off
	v_mov_b32_e32 v7, 0
.LBB91_2:
	s_or_b32 exec_lo, exec_lo, s1
	v_or_b32_e32 v9, 1, v4
	v_mov_b32_e32 v12, v1
	v_cmp_lt_u32_e64 s1, v9, v5
	s_and_saveexec_b32 s2, s1
	s_cbranch_execz .LBB91_4
; %bb.3:
	global_load_ubyte v12, v[2:3], off offset:1
.LBB91_4:
	s_or_b32 exec_lo, exec_lo, s2
	v_or_b32_e32 v10, 2, v4
	v_cmp_lt_u32_e64 s2, v10, v5
	s_and_saveexec_b32 s3, s2
	s_cbranch_execz .LBB91_6
; %bb.5:
	global_load_ubyte v1, v[2:3], off offset:2
.LBB91_6:
	s_or_b32 exec_lo, exec_lo, s3
	v_or_b32_e32 v11, 3, v4
	v_cmp_lt_u32_e64 s3, v11, v5
	s_and_saveexec_b32 s4, s3
	s_cbranch_execz .LBB91_8
; %bb.7:
	global_load_ubyte v7, v[2:3], off offset:3
.LBB91_8:
	s_or_b32 exec_lo, exec_lo, s4
	s_waitcnt vmcnt(0)
	v_add_nc_u16 v2, v8, 1
	v_mov_b32_e32 v3, 0xffff
	v_perm_b32 v14, v1, v7, 0xc0c0004
	v_add_nc_u16 v1, v1, 1
	v_cmp_lt_i32_e32 vcc_lo, v9, v5
	v_mov_b32_e32 v9, 0xff
	v_and_b32_sdwa v2, v3, v2 dst_sel:DWORD dst_unused:UNUSED_PAD src0_sel:DWORD src1_sel:BYTE_0
	v_lshlrev_b16 v3, 8, v12
	v_perm_b32 v12, v8, v12, 0xc0c0004
	v_lshlrev_b16 v7, 8, v7
	v_cmp_lt_i32_e64 s5, v11, v5
	v_cndmask_b32_e64 v13, 0, v2, s0
	s_mov_b32 s4, exec_lo
	v_or_b32_e32 v2, v3, v13
	v_add_nc_u16 v2, 0x100, v2
	v_and_b32_e32 v3, 0xffff, v2
	v_mov_b32_e32 v2, 0x7f00
	v_cndmask_b32_e64 v3, v13, v3, s1
	v_lshlrev_b32_e32 v13, 16, v14
	v_or_b32_sdwa v8, v8, v2 dst_sel:DWORD dst_unused:UNUSED_PAD src0_sel:BYTE_0 src1_sel:DWORD
	v_perm_b32 v1, v1, v3, 0xc0c0304
	v_or_b32_e32 v12, v12, v13
	v_or_b32_sdwa v8, v8, v13 dst_sel:DWORD dst_unused:UNUSED_PAD src0_sel:WORD_0 src1_sel:DWORD
	v_mov_b32_e32 v13, 0xffffff00
	v_lshl_or_b32 v1, v1, 16, v3
	v_cndmask_b32_e32 v8, v8, v12, vcc_lo
	v_cmp_lt_i32_e32 vcc_lo, v10, v5
	v_cndmask_b32_e64 v3, v3, v1, s2
	v_mov_b32_e32 v1, 0x7f
	v_and_b32_sdwa v13, v8, v13 dst_sel:DWORD dst_unused:UNUSED_PAD src0_sel:WORD_1 src1_sel:DWORD
	v_and_b32_sdwa v9, v3, v9 dst_sel:DWORD dst_unused:UNUSED_PAD src0_sel:WORD_1 src1_sel:DWORD
	v_or_b32_sdwa v1, v13, v1 dst_sel:WORD_1 dst_unused:UNUSED_PAD src0_sel:DWORD src1_sel:DWORD
	v_or_b32_e32 v7, v7, v9
	v_and_or_b32 v1, 0xffff, v8, v1
	v_add_nc_u16 v7, 0x100, v7
	v_cndmask_b32_e32 v1, v1, v12, vcc_lo
	v_lshlrev_b32_e32 v8, 16, v7
	v_lshrrev_b32_e32 v12, 24, v1
	v_lshrrev_b32_e32 v9, 16, v1
	;; [unrolled: 1-line block ×3, first 2 shown]
	v_and_or_b32 v10, 0xffff, v3, v8
                                        ; implicit-def: $vgpr8
	v_cmpx_ge_i32_e64 v11, v5
; %bb.9:
	v_or_b32_sdwa v2, v9, v2 dst_sel:WORD_1 dst_unused:UNUSED_PAD src0_sel:BYTE_0 src1_sel:DWORD
	v_cmp_lt_i32_e32 vcc_lo, v4, v5
	v_mov_b32_e32 v12, 0x7f
	s_andn2_b32 s5, s5, exec_lo
	v_and_or_b32 v8, 0xffff, v1, v2
	s_and_b32 s6, vcc_lo, exec_lo
	s_or_b32 s5, s5, s6
; %bb.10:
	s_or_b32 exec_lo, exec_lo, s4
	v_cndmask_b32_e64 v3, v3, v10, s3
	s_and_saveexec_b32 s4, s5
	s_cbranch_execz .LBB91_14
; %bb.11:
	v_perm_b32 v2, v9, v12, 0xc0c0004
	v_perm_b32 v8, v7, v1, 0xc0c0004
	;; [unrolled: 1-line block ×4, first 2 shown]
	v_cmp_lt_i16_sdwa vcc_lo, sext(v7), sext(v1) src0_sel:BYTE_0 src1_sel:BYTE_0
	v_lshlrev_b32_e32 v2, 16, v2
	v_cndmask_b32_e32 v1, v3, v10, vcc_lo
	v_or_b32_e32 v8, v8, v2
	v_or_b32_e32 v2, v9, v2
	v_mov_b32_e32 v10, 0xffffff00
	v_lshrrev_b32_e32 v3, 16, v1
	v_cndmask_b32_e32 v2, v2, v8, vcc_lo
	v_perm_b32 v3, 0, v3, 0xc0c0001
	v_lshrrev_b32_e32 v7, 16, v2
	v_lshrrev_b32_e32 v8, 24, v2
	v_lshlrev_b32_e32 v3, 16, v3
	v_perm_b32 v9, 0, v7, 0xc0c0001
	v_bfe_i32 v8, v8, 0, 8
	v_bfe_i32 v7, v7, 0, 8
	v_and_or_b32 v3, 0xffff, v1, v3
	v_lshlrev_b32_e32 v9, 16, v9
	v_cmp_lt_i16_e32 vcc_lo, v8, v7
	v_and_or_b32 v9, 0xffff, v2, v9
	v_cndmask_b32_e32 v1, v1, v3, vcc_lo
	v_min_i16 v3, v8, v7
	v_cndmask_b32_e32 v2, v2, v9, vcc_lo
	v_lshlrev_b16 v7, 8, v3
	v_and_b32_sdwa v8, v2, v10 dst_sel:DWORD dst_unused:UNUSED_PAD src0_sel:WORD_1 src1_sel:DWORD
	v_lshrrev_b32_e32 v9, 8, v2
	v_perm_b32 v10, v1, v1, 0x7050604
	v_or_b32_sdwa v7, v2, v7 dst_sel:DWORD dst_unused:UNUSED_PAD src0_sel:BYTE_0 src1_sel:DWORD
	v_or_b32_sdwa v8, v2, v8 dst_sel:WORD_1 dst_unused:UNUSED_PAD src0_sel:BYTE_1 src1_sel:DWORD
	v_bfe_i32 v9, v9, 0, 8
	v_or_b32_sdwa v7, v7, v8 dst_sel:DWORD dst_unused:UNUSED_PAD src0_sel:WORD_0 src1_sel:DWORD
	v_cmp_lt_i16_e32 vcc_lo, v3, v9
	v_min_i16 v3, v3, v9
	v_cndmask_b32_e32 v2, v2, v7, vcc_lo
	v_cndmask_b32_e32 v1, v1, v10, vcc_lo
	v_lshlrev_b16 v7, 8, v2
	v_perm_b32 v8, 0, v1, 0xc0c0001
	v_cmp_lt_i16_sdwa vcc_lo, v3, sext(v2) src0_sel:DWORD src1_sel:BYTE_0
	v_or_b32_sdwa v7, v3, v7 dst_sel:DWORD dst_unused:UNUSED_PAD src0_sel:BYTE_0 src1_sel:DWORD
	v_and_or_b32 v8, 0xffff0000, v1, v8
	v_and_b32_e32 v7, 0xffff, v7
	v_cndmask_b32_e32 v1, v1, v8, vcc_lo
	v_and_or_b32 v7, 0xffff0000, v2, v7
	v_lshrrev_b32_e32 v3, 16, v1
	v_cndmask_b32_e32 v2, v2, v7, vcc_lo
	v_perm_b32 v3, 0, v3, 0xc0c0001
	v_lshrrev_b32_e32 v7, 16, v2
	v_lshrrev_b32_e32 v8, 24, v2
	v_lshlrev_b32_e32 v3, 16, v3
	v_perm_b32 v9, 0, v7, 0xc0c0001
	v_bfe_i32 v10, v8, 0, 8
	v_bfe_i32 v7, v7, 0, 8
	v_and_or_b32 v3, 0xffff, v1, v3
	v_lshlrev_b32_e32 v8, 16, v9
	v_cmp_lt_i16_e32 vcc_lo, v10, v7
	v_and_or_b32 v8, 0xffff, v2, v8
	v_cndmask_b32_e32 v3, v1, v3, vcc_lo
	v_min_i16 v1, v10, v7
	v_cndmask_b32_e32 v8, v2, v8, vcc_lo
	v_lshrrev_b32_e32 v2, 8, v8
	v_cmp_lt_i16_sdwa s6, v1, sext(v2) src0_sel:DWORD src1_sel:BYTE_0
	s_and_saveexec_b32 s5, s6
; %bb.12:
	v_perm_b32 v8, v8, v1, 0x7050004
	v_perm_b32 v3, v3, v3, 0x7050604
; %bb.13:
	s_or_b32 exec_lo, exec_lo, s5
.LBB91_14:
	s_or_b32 exec_lo, exec_lo, s4
	v_and_b32_e32 v1, 0x78, v4
	v_and_b32_e32 v10, 4, v4
	v_mad_u32_u24 v13, 0x101, v6, v4
	s_mov_b32 s5, 0
	s_mov_b32 s4, exec_lo
	v_min_i32_e32 v9, v5, v1
	v_min_i32_e32 v10, v5, v10
	; wave barrier
	ds_write_b32 v13, v8
	v_add_nc_u32_e32 v1, 4, v9
	; wave barrier
	v_min_i32_e32 v2, v5, v1
	v_add_nc_u32_e32 v1, 4, v2
	v_sub_nc_u32_e32 v12, v2, v9
	v_min_i32_e32 v7, v5, v1
	v_min_i32_e32 v12, v10, v12
	v_sub_nc_u32_e32 v1, v7, v2
	v_sub_nc_u32_e32 v11, v10, v1
	v_cmp_ge_i32_e32 vcc_lo, v10, v1
	v_mul_u32_u24_e32 v1, 0x101, v6
	v_cndmask_b32_e32 v11, 0, v11, vcc_lo
	v_cmpx_lt_i32_e64 v11, v12
	s_cbranch_execz .LBB91_18
; %bb.15:
	v_add_nc_u32_e32 v6, v1, v9
	v_add3_u32 v8, v1, v2, v10
	.p2align	6
.LBB91_16:                              ; =>This Inner Loop Header: Depth=1
	v_sub_nc_u32_e32 v13, v12, v11
	v_lshrrev_b32_e32 v13, 1, v13
	v_add_nc_u32_e32 v13, v13, v11
	v_add_nc_u32_e32 v14, v6, v13
	v_xad_u32 v15, v13, -1, v8
	v_add_nc_u32_e32 v16, 1, v13
	ds_read_i8 v14, v14
	ds_read_i8 v15, v15
	s_waitcnt lgkmcnt(0)
	v_cmp_lt_i16_e32 vcc_lo, v15, v14
	v_cndmask_b32_e32 v12, v12, v13, vcc_lo
	v_cndmask_b32_e32 v11, v16, v11, vcc_lo
	v_cmp_ge_i32_e32 vcc_lo, v11, v12
	s_or_b32 s5, vcc_lo, s5
	s_andn2_b32 exec_lo, exec_lo, s5
	s_cbranch_execnz .LBB91_16
; %bb.17:
	s_or_b32 exec_lo, exec_lo, s5
.LBB91_18:
	s_or_b32 exec_lo, exec_lo, s4
	v_add_nc_u32_e32 v8, v2, v10
	v_add_nc_u32_e32 v6, v11, v9
                                        ; implicit-def: $vgpr13
	v_sub_nc_u32_e32 v8, v8, v11
	v_add_nc_u32_e32 v10, v1, v6
	v_cmp_le_i32_e32 vcc_lo, v2, v6
	v_add_nc_u32_e32 v9, v1, v8
	v_cmp_gt_i32_e64 s5, v7, v8
	ds_read_u8 v11, v10
	ds_read_u8 v12, v9
	s_waitcnt lgkmcnt(1)
	v_bfe_i32 v11, v11, 0, 8
	s_waitcnt lgkmcnt(0)
	v_bfe_i32 v12, v12, 0, 8
	v_cmp_lt_i16_e64 s4, v12, v11
	s_or_b32 s4, vcc_lo, s4
	s_and_b32 vcc_lo, s5, s4
	s_xor_b32 s4, vcc_lo, -1
	s_and_saveexec_b32 s5, s4
	s_xor_b32 s4, exec_lo, s5
; %bb.19:
	ds_read_u8 v13, v10 offset:1
                                        ; implicit-def: $vgpr9
; %bb.20:
	s_or_saveexec_b32 s4, s4
	v_mov_b32_e32 v14, v12
	s_xor_b32 exec_lo, exec_lo, s4
	s_cbranch_execz .LBB91_22
; %bb.21:
	ds_read_u8 v14, v9 offset:1
	s_waitcnt lgkmcnt(1)
	v_mov_b32_e32 v13, v11
.LBB91_22:
	s_or_b32 exec_lo, exec_lo, s4
	v_add_nc_u32_e32 v9, 1, v6
	v_add_nc_u32_e32 v10, 1, v8
	s_waitcnt lgkmcnt(0)
	v_cmp_lt_i16_sdwa s6, sext(v14), sext(v13) src0_sel:BYTE_0 src1_sel:BYTE_0
                                        ; implicit-def: $vgpr15
	v_cndmask_b32_e32 v9, v9, v6, vcc_lo
	v_cndmask_b32_e32 v10, v8, v10, vcc_lo
	v_cmp_ge_i32_e64 s4, v9, v2
	v_cmp_lt_i32_e64 s5, v10, v7
	s_or_b32 s4, s4, s6
	s_and_b32 s4, s5, s4
	s_xor_b32 s5, s4, -1
	s_and_saveexec_b32 s6, s5
	s_xor_b32 s5, exec_lo, s6
; %bb.23:
	v_add_nc_u32_e32 v15, v1, v9
	ds_read_u8 v15, v15 offset:1
; %bb.24:
	s_or_saveexec_b32 s5, s5
	v_mov_b32_e32 v16, v14
	s_xor_b32 exec_lo, exec_lo, s5
	s_cbranch_execz .LBB91_26
; %bb.25:
	s_waitcnt lgkmcnt(0)
	v_add_nc_u32_e32 v15, v1, v10
	ds_read_u8 v16, v15 offset:1
	v_mov_b32_e32 v15, v13
.LBB91_26:
	s_or_b32 exec_lo, exec_lo, s5
	v_add_nc_u32_e32 v17, 1, v9
	v_add_nc_u32_e32 v18, 1, v10
	s_waitcnt lgkmcnt(0)
	v_cmp_lt_i16_sdwa s7, sext(v16), sext(v15) src0_sel:BYTE_0 src1_sel:BYTE_0
                                        ; implicit-def: $vgpr19
	v_cndmask_b32_e64 v17, v17, v9, s4
	v_cndmask_b32_e64 v18, v10, v18, s4
	v_cmp_ge_i32_e64 s5, v17, v2
	v_cmp_lt_i32_e64 s6, v18, v7
	s_or_b32 s5, s5, s7
	s_and_b32 s5, s6, s5
	s_xor_b32 s6, s5, -1
	s_and_saveexec_b32 s7, s6
	s_xor_b32 s6, exec_lo, s7
; %bb.27:
	v_add_nc_u32_e32 v19, v1, v17
	ds_read_u8 v19, v19 offset:1
; %bb.28:
	s_or_saveexec_b32 s6, s6
	v_mov_b32_e32 v20, v16
	s_xor_b32 exec_lo, exec_lo, s6
	s_cbranch_execz .LBB91_30
; %bb.29:
	s_waitcnt lgkmcnt(0)
	v_add_nc_u32_e32 v19, v1, v18
	ds_read_u8 v20, v19 offset:1
	v_mov_b32_e32 v19, v15
.LBB91_30:
	s_or_b32 exec_lo, exec_lo, s6
	v_add_nc_u32_e32 v21, 1, v17
	v_add_nc_u32_e32 v23, 1, v18
	v_and_b32_e32 v22, 0x70, v4
	v_cndmask_b32_e64 v9, v9, v10, s4
	v_cndmask_b32_e64 v24, v17, v18, s5
	;; [unrolled: 1-line block ×4, first 2 shown]
	v_min_i32_e32 v17, v5, v22
	s_waitcnt lgkmcnt(0)
	v_cmp_lt_i16_sdwa s8, sext(v20), sext(v19) src0_sel:BYTE_0 src1_sel:BYTE_0
	v_cndmask_b32_e32 v8, v6, v8, vcc_lo
	v_cmp_ge_i32_e64 s6, v10, v2
	v_cmp_lt_i32_e64 s7, v18, v7
	v_add_nc_u32_e32 v6, 8, v17
	v_add_nc_u32_e32 v2, v1, v4
	;; [unrolled: 1-line block ×3, first 2 shown]
	s_or_b32 s6, s6, s8
	v_add_nc_u32_e32 v9, v1, v9
	s_and_b32 s6, s7, s6
	v_min_i32_e32 v6, v5, v6
	v_cndmask_b32_e64 v7, v10, v18, s6
	v_and_b32_e32 v10, 12, v4
	; wave barrier
	v_cndmask_b32_e64 v19, v19, v20, s6
	ds_write_b32 v2, v3
	v_add_nc_u32_e32 v3, 8, v6
	v_add_nc_u32_e32 v20, v1, v24
	;; [unrolled: 1-line block ×3, first 2 shown]
	; wave barrier
	v_min_i32_e32 v18, v5, v10
	ds_read_u8 v7, v8
	ds_read_u8 v8, v9
	;; [unrolled: 1-line block ×4, first 2 shown]
	v_min_i32_e32 v3, v5, v3
	v_cndmask_b32_e64 v15, v15, v16, s5
	v_cndmask_b32_e64 v13, v13, v14, s4
	v_sub_nc_u32_e32 v16, v6, v17
	v_cndmask_b32_e32 v20, v11, v12, vcc_lo
	v_sub_nc_u32_e32 v22, v3, v6
	s_mov_b32 s5, 0
	s_mov_b32 s4, exec_lo
	v_min_i32_e32 v12, v18, v16
	v_sub_nc_u32_e32 v14, v18, v22
	v_cmp_ge_i32_e32 vcc_lo, v18, v22
	; wave barrier
	ds_write_b8 v2, v20
	ds_write_b8 v2, v13 offset:1
	ds_write_b8 v2, v15 offset:2
	;; [unrolled: 1-line block ×3, first 2 shown]
	; wave barrier
	v_cndmask_b32_e32 v11, 0, v14, vcc_lo
	v_cmpx_lt_i32_e64 v11, v12
	s_cbranch_execz .LBB91_34
; %bb.31:
	v_add_nc_u32_e32 v13, v1, v17
	v_add3_u32 v14, v1, v6, v18
	.p2align	6
.LBB91_32:                              ; =>This Inner Loop Header: Depth=1
	v_sub_nc_u32_e32 v15, v12, v11
	v_lshrrev_b32_e32 v15, 1, v15
	v_add_nc_u32_e32 v15, v15, v11
	v_add_nc_u32_e32 v16, v13, v15
	v_xad_u32 v19, v15, -1, v14
	v_add_nc_u32_e32 v20, 1, v15
	ds_read_i8 v16, v16
	ds_read_i8 v19, v19
	s_waitcnt lgkmcnt(0)
	v_cmp_lt_i16_e32 vcc_lo, v19, v16
	v_cndmask_b32_e32 v12, v12, v15, vcc_lo
	v_cndmask_b32_e32 v11, v20, v11, vcc_lo
	v_cmp_ge_i32_e32 vcc_lo, v11, v12
	s_or_b32 s5, vcc_lo, s5
	s_andn2_b32 exec_lo, exec_lo, s5
	s_cbranch_execnz .LBB91_32
; %bb.33:
	s_or_b32 exec_lo, exec_lo, s5
.LBB91_34:
	s_or_b32 exec_lo, exec_lo, s4
	v_add_nc_u32_e32 v12, v6, v18
	v_add_nc_u32_e32 v14, v11, v17
                                        ; implicit-def: $vgpr13
	v_sub_nc_u32_e32 v16, v12, v11
	v_add_nc_u32_e32 v15, v1, v14
	v_cmp_le_i32_e32 vcc_lo, v6, v14
	v_add_nc_u32_e32 v17, v1, v16
	v_cmp_gt_i32_e64 s5, v3, v16
	ds_read_u8 v11, v15
	ds_read_u8 v12, v17
	s_waitcnt lgkmcnt(1)
	v_bfe_i32 v11, v11, 0, 8
	s_waitcnt lgkmcnt(0)
	v_bfe_i32 v12, v12, 0, 8
	v_cmp_lt_i16_e64 s4, v12, v11
	s_or_b32 s4, vcc_lo, s4
	s_and_b32 vcc_lo, s5, s4
	s_xor_b32 s4, vcc_lo, -1
	s_and_saveexec_b32 s5, s4
	s_xor_b32 s4, exec_lo, s5
; %bb.35:
	ds_read_u8 v13, v15 offset:1
                                        ; implicit-def: $vgpr17
; %bb.36:
	s_or_saveexec_b32 s4, s4
	v_mov_b32_e32 v15, v12
	s_xor_b32 exec_lo, exec_lo, s4
	s_cbranch_execz .LBB91_38
; %bb.37:
	ds_read_u8 v15, v17 offset:1
	s_waitcnt lgkmcnt(1)
	v_mov_b32_e32 v13, v11
.LBB91_38:
	s_or_b32 exec_lo, exec_lo, s4
	v_add_nc_u32_e32 v17, 1, v14
	v_add_nc_u32_e32 v18, 1, v16
	s_waitcnt lgkmcnt(0)
	v_cmp_lt_i16_sdwa s6, sext(v15), sext(v13) src0_sel:BYTE_0 src1_sel:BYTE_0
	v_cndmask_b32_e32 v19, v17, v14, vcc_lo
	v_cndmask_b32_e32 v20, v16, v18, vcc_lo
                                        ; implicit-def: $vgpr17
	v_cmp_ge_i32_e64 s4, v19, v6
	v_cmp_lt_i32_e64 s5, v20, v3
	s_or_b32 s4, s4, s6
	s_and_b32 s4, s5, s4
	s_xor_b32 s5, s4, -1
	s_and_saveexec_b32 s6, s5
	s_xor_b32 s5, exec_lo, s6
; %bb.39:
	v_add_nc_u32_e32 v17, v1, v19
	ds_read_u8 v17, v17 offset:1
; %bb.40:
	s_or_saveexec_b32 s5, s5
	v_mov_b32_e32 v18, v15
	s_xor_b32 exec_lo, exec_lo, s5
	s_cbranch_execz .LBB91_42
; %bb.41:
	s_waitcnt lgkmcnt(0)
	v_add_nc_u32_e32 v17, v1, v20
	ds_read_u8 v18, v17 offset:1
	v_mov_b32_e32 v17, v13
.LBB91_42:
	s_or_b32 exec_lo, exec_lo, s5
	v_add_nc_u32_e32 v21, 1, v19
	v_add_nc_u32_e32 v22, 1, v20
	s_waitcnt lgkmcnt(0)
	v_cmp_lt_i16_sdwa s7, sext(v18), sext(v17) src0_sel:BYTE_0 src1_sel:BYTE_0
	v_cndmask_b32_e64 v23, v21, v19, s4
	v_cndmask_b32_e64 v21, v20, v22, s4
                                        ; implicit-def: $vgpr22
	v_cmp_ge_i32_e64 s5, v23, v6
	v_cmp_lt_i32_e64 s6, v21, v3
	s_or_b32 s5, s5, s7
	s_and_b32 s5, s6, s5
	s_xor_b32 s6, s5, -1
	s_and_saveexec_b32 s7, s6
	s_xor_b32 s6, exec_lo, s7
; %bb.43:
	v_add_nc_u32_e32 v22, v1, v23
	ds_read_u8 v22, v22 offset:1
; %bb.44:
	s_or_saveexec_b32 s6, s6
	v_mov_b32_e32 v24, v18
	s_xor_b32 exec_lo, exec_lo, s6
	s_cbranch_execz .LBB91_46
; %bb.45:
	s_waitcnt lgkmcnt(0)
	v_add_nc_u32_e32 v22, v1, v21
	ds_read_u8 v24, v22 offset:1
	v_mov_b32_e32 v22, v17
.LBB91_46:
	s_or_b32 exec_lo, exec_lo, s6
	v_add_nc_u32_e32 v25, 1, v23
	v_add_nc_u32_e32 v27, 1, v21
	v_and_b32_e32 v26, 0x60, v4
	v_cndmask_b32_e64 v28, v23, v21, s5
	v_cndmask_b32_e64 v20, v19, v20, s4
	;; [unrolled: 1-line block ×4, first 2 shown]
	v_min_i32_e32 v19, v5, v26
	s_waitcnt lgkmcnt(0)
	v_cmp_lt_i16_sdwa s8, sext(v24), sext(v22) src0_sel:BYTE_0 src1_sel:BYTE_0
	v_cndmask_b32_e32 v14, v14, v16, vcc_lo
	v_cmp_ge_i32_e64 s6, v23, v6
	v_cmp_lt_i32_e64 s7, v21, v3
	v_add_nc_u32_e32 v6, 16, v19
	; wave barrier
	s_or_b32 s6, s6, s8
	ds_write_b8 v2, v7
	ds_write_b8 v2, v8 offset:1
	ds_write_b8 v2, v9 offset:2
	;; [unrolled: 1-line block ×3, first 2 shown]
	s_and_b32 s6, s7, s6
	v_min_i32_e32 v3, v5, v6
	v_cndmask_b32_e64 v21, v23, v21, s6
	v_add_nc_u32_e32 v7, v1, v14
	v_and_b32_e32 v8, 28, v4
	v_add_nc_u32_e32 v9, v1, v20
	v_add_nc_u32_e32 v6, 16, v3
	;; [unrolled: 1-line block ×4, first 2 shown]
	; wave barrier
	v_min_i32_e32 v14, v5, v8
	ds_read_u8 v7, v7
	ds_read_u8 v8, v9
	;; [unrolled: 1-line block ×4, first 2 shown]
	v_min_i32_e32 v6, v5, v6
	v_cndmask_b32_e64 v17, v17, v18, s5
	v_cndmask_b32_e64 v13, v13, v15, s4
	v_sub_nc_u32_e32 v18, v3, v19
	v_cndmask_b32_e32 v20, v11, v12, vcc_lo
	v_sub_nc_u32_e32 v21, v6, v3
	v_cndmask_b32_e64 v16, v22, v24, s6
	s_mov_b32 s5, 0
	v_min_i32_e32 v11, v14, v18
	s_mov_b32 s4, exec_lo
	v_sub_nc_u32_e32 v15, v14, v21
	v_cmp_ge_i32_e32 vcc_lo, v14, v21
	; wave barrier
	ds_write_b8 v2, v20
	ds_write_b8 v2, v13 offset:1
	ds_write_b8 v2, v17 offset:2
	;; [unrolled: 1-line block ×3, first 2 shown]
	v_cndmask_b32_e32 v12, 0, v15, vcc_lo
	; wave barrier
	v_cmpx_lt_i32_e64 v12, v11
	s_cbranch_execz .LBB91_50
; %bb.47:
	v_add_nc_u32_e32 v13, v1, v19
	v_add3_u32 v15, v1, v3, v14
	.p2align	6
.LBB91_48:                              ; =>This Inner Loop Header: Depth=1
	v_sub_nc_u32_e32 v16, v11, v12
	v_lshrrev_b32_e32 v16, 1, v16
	v_add_nc_u32_e32 v16, v16, v12
	v_add_nc_u32_e32 v17, v13, v16
	v_xad_u32 v18, v16, -1, v15
	v_add_nc_u32_e32 v20, 1, v16
	ds_read_i8 v17, v17
	ds_read_i8 v18, v18
	s_waitcnt lgkmcnt(0)
	v_cmp_lt_i16_e32 vcc_lo, v18, v17
	v_cndmask_b32_e32 v11, v11, v16, vcc_lo
	v_cndmask_b32_e32 v12, v20, v12, vcc_lo
	v_cmp_ge_i32_e32 vcc_lo, v12, v11
	s_or_b32 s5, vcc_lo, s5
	s_andn2_b32 exec_lo, exec_lo, s5
	s_cbranch_execnz .LBB91_48
; %bb.49:
	s_or_b32 exec_lo, exec_lo, s5
.LBB91_50:
	s_or_b32 exec_lo, exec_lo, s4
	v_add_nc_u32_e32 v13, v3, v14
	v_add_nc_u32_e32 v11, v12, v19
                                        ; implicit-def: $vgpr14
	v_sub_nc_u32_e32 v16, v13, v12
	v_add_nc_u32_e32 v15, v1, v11
	v_cmp_le_i32_e32 vcc_lo, v3, v11
	v_add_nc_u32_e32 v17, v1, v16
	v_cmp_gt_i32_e64 s5, v6, v16
	ds_read_u8 v12, v15
	ds_read_u8 v13, v17
	s_waitcnt lgkmcnt(1)
	v_bfe_i32 v12, v12, 0, 8
	s_waitcnt lgkmcnt(0)
	v_bfe_i32 v13, v13, 0, 8
	v_cmp_lt_i16_e64 s4, v13, v12
	s_or_b32 s4, vcc_lo, s4
	s_and_b32 vcc_lo, s5, s4
	s_xor_b32 s4, vcc_lo, -1
	s_and_saveexec_b32 s5, s4
	s_xor_b32 s4, exec_lo, s5
; %bb.51:
	ds_read_u8 v14, v15 offset:1
                                        ; implicit-def: $vgpr17
; %bb.52:
	s_or_saveexec_b32 s4, s4
	v_mov_b32_e32 v15, v13
	s_xor_b32 exec_lo, exec_lo, s4
	s_cbranch_execz .LBB91_54
; %bb.53:
	ds_read_u8 v15, v17 offset:1
	s_waitcnt lgkmcnt(1)
	v_mov_b32_e32 v14, v12
.LBB91_54:
	s_or_b32 exec_lo, exec_lo, s4
	v_add_nc_u32_e32 v17, 1, v11
	v_add_nc_u32_e32 v18, 1, v16
	s_waitcnt lgkmcnt(0)
	v_cmp_lt_i16_sdwa s6, sext(v15), sext(v14) src0_sel:BYTE_0 src1_sel:BYTE_0
	v_cndmask_b32_e32 v19, v17, v11, vcc_lo
	v_cndmask_b32_e32 v20, v16, v18, vcc_lo
                                        ; implicit-def: $vgpr17
	v_cmp_ge_i32_e64 s4, v19, v3
	v_cmp_lt_i32_e64 s5, v20, v6
	s_or_b32 s4, s4, s6
	s_and_b32 s4, s5, s4
	s_xor_b32 s5, s4, -1
	s_and_saveexec_b32 s6, s5
	s_xor_b32 s5, exec_lo, s6
; %bb.55:
	v_add_nc_u32_e32 v17, v1, v19
	ds_read_u8 v17, v17 offset:1
; %bb.56:
	s_or_saveexec_b32 s5, s5
	v_mov_b32_e32 v18, v15
	s_xor_b32 exec_lo, exec_lo, s5
	s_cbranch_execz .LBB91_58
; %bb.57:
	s_waitcnt lgkmcnt(0)
	v_add_nc_u32_e32 v17, v1, v20
	ds_read_u8 v18, v17 offset:1
	v_mov_b32_e32 v17, v14
.LBB91_58:
	s_or_b32 exec_lo, exec_lo, s5
	v_add_nc_u32_e32 v21, 1, v19
	v_add_nc_u32_e32 v22, 1, v20
	s_waitcnt lgkmcnt(0)
	v_cmp_lt_i16_sdwa s7, sext(v18), sext(v17) src0_sel:BYTE_0 src1_sel:BYTE_0
	v_cndmask_b32_e64 v23, v21, v19, s4
	v_cndmask_b32_e64 v21, v20, v22, s4
                                        ; implicit-def: $vgpr22
	v_cmp_ge_i32_e64 s5, v23, v3
	v_cmp_lt_i32_e64 s6, v21, v6
	s_or_b32 s5, s5, s7
	s_and_b32 s5, s6, s5
	s_xor_b32 s6, s5, -1
	s_and_saveexec_b32 s7, s6
	s_xor_b32 s6, exec_lo, s7
; %bb.59:
	v_add_nc_u32_e32 v22, v1, v23
	ds_read_u8 v22, v22 offset:1
; %bb.60:
	s_or_saveexec_b32 s6, s6
	v_mov_b32_e32 v24, v18
	s_xor_b32 exec_lo, exec_lo, s6
	s_cbranch_execz .LBB91_62
; %bb.61:
	s_waitcnt lgkmcnt(0)
	v_add_nc_u32_e32 v22, v1, v21
	ds_read_u8 v24, v22 offset:1
	v_mov_b32_e32 v22, v17
.LBB91_62:
	s_or_b32 exec_lo, exec_lo, s6
	v_add_nc_u32_e32 v25, 1, v23
	v_add_nc_u32_e32 v27, 1, v21
	v_and_b32_e32 v26, 64, v4
	v_cndmask_b32_e64 v28, v23, v21, s5
	v_cndmask_b32_e64 v20, v19, v20, s4
	;; [unrolled: 1-line block ×4, first 2 shown]
	v_min_i32_e32 v19, v5, v26
	s_waitcnt lgkmcnt(0)
	v_cmp_lt_i16_sdwa s8, sext(v24), sext(v22) src0_sel:BYTE_0 src1_sel:BYTE_0
	v_cndmask_b32_e32 v11, v11, v16, vcc_lo
	v_cmp_ge_i32_e64 s6, v23, v3
	v_cmp_lt_i32_e64 s7, v21, v6
	v_add_nc_u32_e32 v3, 32, v19
	; wave barrier
	s_or_b32 s6, s6, s8
	ds_write_b8 v2, v7
	ds_write_b8 v2, v8 offset:1
	ds_write_b8 v2, v9 offset:2
	;; [unrolled: 1-line block ×3, first 2 shown]
	s_and_b32 s6, s7, s6
	v_min_i32_e32 v6, v5, v3
	v_cndmask_b32_e64 v3, v23, v21, s6
	v_add_nc_u32_e32 v8, v1, v11
	v_and_b32_e32 v9, 60, v4
	v_add_nc_u32_e32 v10, v1, v20
	v_add_nc_u32_e32 v7, 32, v6
	;; [unrolled: 1-line block ×4, first 2 shown]
	; wave barrier
	v_min_i32_e32 v3, v5, v9
	ds_read_u8 v11, v8
	ds_read_u8 v8, v10
	;; [unrolled: 1-line block ×4, first 2 shown]
	v_min_i32_e32 v7, v5, v7
	v_cndmask_b32_e64 v16, v22, v24, s6
	v_cndmask_b32_e64 v17, v17, v18, s5
	v_cndmask_b32_e64 v14, v14, v15, s4
	v_sub_nc_u32_e32 v18, v6, v19
	v_sub_nc_u32_e32 v22, v7, v6
	v_cndmask_b32_e32 v20, v12, v13, vcc_lo
	s_mov_b32 s5, 0
	s_mov_b32 s4, exec_lo
	v_min_i32_e32 v13, v3, v18
	v_sub_nc_u32_e32 v15, v3, v22
	v_cmp_ge_i32_e32 vcc_lo, v3, v22
	; wave barrier
	ds_write_b8 v2, v20
	ds_write_b8 v2, v14 offset:1
	ds_write_b8 v2, v17 offset:2
	;; [unrolled: 1-line block ×3, first 2 shown]
	v_cndmask_b32_e32 v12, 0, v15, vcc_lo
	; wave barrier
	v_cmpx_lt_i32_e64 v12, v13
	s_cbranch_execz .LBB91_66
; %bb.63:
	v_add_nc_u32_e32 v14, v1, v19
	v_add3_u32 v15, v1, v6, v3
	.p2align	6
.LBB91_64:                              ; =>This Inner Loop Header: Depth=1
	v_sub_nc_u32_e32 v16, v13, v12
	v_lshrrev_b32_e32 v16, 1, v16
	v_add_nc_u32_e32 v16, v16, v12
	v_add_nc_u32_e32 v17, v14, v16
	v_xad_u32 v18, v16, -1, v15
	v_add_nc_u32_e32 v20, 1, v16
	ds_read_i8 v17, v17
	ds_read_i8 v18, v18
	s_waitcnt lgkmcnt(0)
	v_cmp_lt_i16_e32 vcc_lo, v18, v17
	v_cndmask_b32_e32 v13, v13, v16, vcc_lo
	v_cndmask_b32_e32 v12, v20, v12, vcc_lo
	v_cmp_ge_i32_e32 vcc_lo, v12, v13
	s_or_b32 s5, vcc_lo, s5
	s_andn2_b32 exec_lo, exec_lo, s5
	s_cbranch_execnz .LBB91_64
; %bb.65:
	s_or_b32 exec_lo, exec_lo, s5
.LBB91_66:
	s_or_b32 exec_lo, exec_lo, s4
	v_add_nc_u32_e32 v13, v6, v3
	v_add_nc_u32_e32 v3, v12, v19
                                        ; implicit-def: $vgpr15
	v_sub_nc_u32_e32 v12, v13, v12
	v_add_nc_u32_e32 v16, v1, v3
	v_cmp_le_i32_e32 vcc_lo, v6, v3
	v_add_nc_u32_e32 v17, v1, v12
	v_cmp_gt_i32_e64 s5, v7, v12
	ds_read_u8 v13, v16
	ds_read_u8 v14, v17
	s_waitcnt lgkmcnt(1)
	v_bfe_i32 v13, v13, 0, 8
	s_waitcnt lgkmcnt(0)
	v_bfe_i32 v14, v14, 0, 8
	v_cmp_lt_i16_e64 s4, v14, v13
	s_or_b32 s4, vcc_lo, s4
	s_and_b32 vcc_lo, s5, s4
	s_xor_b32 s4, vcc_lo, -1
	s_and_saveexec_b32 s5, s4
	s_xor_b32 s4, exec_lo, s5
; %bb.67:
	ds_read_u8 v15, v16 offset:1
                                        ; implicit-def: $vgpr17
; %bb.68:
	s_or_saveexec_b32 s4, s4
	v_mov_b32_e32 v16, v14
	s_xor_b32 exec_lo, exec_lo, s4
	s_cbranch_execz .LBB91_70
; %bb.69:
	ds_read_u8 v16, v17 offset:1
	s_waitcnt lgkmcnt(1)
	v_mov_b32_e32 v15, v13
.LBB91_70:
	s_or_b32 exec_lo, exec_lo, s4
	v_add_nc_u32_e32 v17, 1, v3
	v_add_nc_u32_e32 v18, 1, v12
	s_waitcnt lgkmcnt(0)
	v_cmp_lt_i16_sdwa s6, sext(v16), sext(v15) src0_sel:BYTE_0 src1_sel:BYTE_0
	v_cndmask_b32_e32 v19, v17, v3, vcc_lo
	v_cndmask_b32_e32 v21, v12, v18, vcc_lo
                                        ; implicit-def: $vgpr17
	v_cmp_ge_i32_e64 s4, v19, v6
	v_cmp_lt_i32_e64 s5, v21, v7
	s_or_b32 s4, s4, s6
	s_and_b32 s4, s5, s4
	s_xor_b32 s5, s4, -1
	s_and_saveexec_b32 s6, s5
	s_xor_b32 s5, exec_lo, s6
; %bb.71:
	v_add_nc_u32_e32 v17, v1, v19
	ds_read_u8 v17, v17 offset:1
; %bb.72:
	s_or_saveexec_b32 s5, s5
	v_mov_b32_e32 v18, v16
	s_xor_b32 exec_lo, exec_lo, s5
	s_cbranch_execz .LBB91_74
; %bb.73:
	s_waitcnt lgkmcnt(0)
	v_add_nc_u32_e32 v17, v1, v21
	ds_read_u8 v18, v17 offset:1
	v_mov_b32_e32 v17, v15
.LBB91_74:
	s_or_b32 exec_lo, exec_lo, s5
	v_add_nc_u32_e32 v20, 1, v19
	v_add_nc_u32_e32 v22, 1, v21
	s_waitcnt lgkmcnt(0)
	v_cmp_lt_i16_sdwa s7, sext(v18), sext(v17) src0_sel:BYTE_0 src1_sel:BYTE_0
	v_cndmask_b32_e64 v24, v20, v19, s4
	v_cndmask_b32_e64 v20, v21, v22, s4
                                        ; implicit-def: $vgpr22
	v_cmp_ge_i32_e64 s5, v24, v6
	v_cmp_lt_i32_e64 s6, v20, v7
	s_or_b32 s5, s5, s7
	s_and_b32 s5, s6, s5
	s_xor_b32 s6, s5, -1
	s_and_saveexec_b32 s7, s6
	s_xor_b32 s6, exec_lo, s7
; %bb.75:
	v_add_nc_u32_e32 v22, v1, v24
	ds_read_u8 v22, v22 offset:1
; %bb.76:
	s_or_saveexec_b32 s6, s6
	v_mov_b32_e32 v23, v18
	s_xor_b32 exec_lo, exec_lo, s6
	s_cbranch_execz .LBB91_78
; %bb.77:
	s_waitcnt lgkmcnt(0)
	v_add_nc_u32_e32 v22, v1, v20
	ds_read_u8 v23, v22 offset:1
	v_mov_b32_e32 v22, v17
.LBB91_78:
	s_or_b32 exec_lo, exec_lo, s6
	v_add_nc_u32_e32 v25, 1, v24
	v_add_nc_u32_e32 v26, 1, v20
	v_cndmask_b32_e64 v19, v19, v21, s4
	v_cndmask_b32_e32 v12, v3, v12, vcc_lo
	v_min_i32_e32 v3, 0, v5
	v_cndmask_b32_e64 v21, v25, v24, s5
	v_cndmask_b32_e64 v27, v24, v20, s5
	;; [unrolled: 1-line block ×3, first 2 shown]
	s_waitcnt lgkmcnt(0)
	v_cmp_lt_i16_sdwa s8, sext(v23), sext(v22) src0_sel:BYTE_0 src1_sel:BYTE_0
	v_cmp_ge_i32_e64 s6, v21, v6
	v_add_nc_u32_e32 v6, 64, v3
	v_cmp_lt_i32_e64 s7, v20, v7
	; wave barrier
	ds_write_b8 v2, v11
	s_or_b32 s6, s6, s8
	v_min_i32_e32 v7, v5, v6
	s_and_b32 s6, s7, s6
	ds_write_b8 v2, v8 offset:1
	ds_write_b8 v2, v9 offset:2
	;; [unrolled: 1-line block ×3, first 2 shown]
	v_cndmask_b32_e64 v6, v21, v20, s6
	v_add_nc_u32_e32 v9, v1, v12
	v_add_nc_u32_e32 v8, 64, v7
	v_and_b32_e32 v11, 0x7c, v4
	v_add_nc_u32_e32 v20, v1, v6
	; wave barrier
	v_min_i32_e32 v10, v5, v8
	v_add_nc_u32_e32 v8, v1, v19
	v_add_nc_u32_e32 v19, v1, v27
	v_min_i32_e32 v6, v5, v11
	ds_read_u8 v12, v9
	ds_read_u8 v11, v8
	;; [unrolled: 1-line block ×4, first 2 shown]
	v_sub_nc_u32_e32 v21, v10, v7
	v_cndmask_b32_e64 v17, v17, v18, s5
	v_cndmask_b32_e64 v15, v15, v16, s4
	v_sub_nc_u32_e32 v18, v7, v3
	v_cndmask_b32_e32 v19, v13, v14, vcc_lo
	v_sub_nc_u32_e32 v16, v6, v21
	v_cmp_ge_i32_e32 vcc_lo, v6, v21
	v_cndmask_b32_e64 v22, v22, v23, s6
	v_min_i32_e32 v14, v6, v18
	s_mov_b32 s5, 0
	s_mov_b32 s4, exec_lo
	v_cndmask_b32_e32 v13, 0, v16, vcc_lo
	; wave barrier
	ds_write_b8 v2, v19
	ds_write_b8 v2, v15 offset:1
	ds_write_b8 v2, v17 offset:2
	;; [unrolled: 1-line block ×3, first 2 shown]
	; wave barrier
	v_cmpx_lt_i32_e64 v13, v14
	s_cbranch_execz .LBB91_82
; %bb.79:
	v_add_nc_u32_e32 v15, v1, v3
	v_add3_u32 v16, v1, v7, v6
	.p2align	6
.LBB91_80:                              ; =>This Inner Loop Header: Depth=1
	v_sub_nc_u32_e32 v17, v14, v13
	v_lshrrev_b32_e32 v17, 1, v17
	v_add_nc_u32_e32 v17, v17, v13
	v_add_nc_u32_e32 v18, v15, v17
	v_xad_u32 v19, v17, -1, v16
	v_add_nc_u32_e32 v20, 1, v17
	ds_read_i8 v18, v18
	ds_read_i8 v19, v19
	s_waitcnt lgkmcnt(0)
	v_cmp_lt_i16_e32 vcc_lo, v19, v18
	v_cndmask_b32_e32 v14, v14, v17, vcc_lo
	v_cndmask_b32_e32 v13, v20, v13, vcc_lo
	v_cmp_ge_i32_e32 vcc_lo, v13, v14
	s_or_b32 s5, vcc_lo, s5
	s_andn2_b32 exec_lo, exec_lo, s5
	s_cbranch_execnz .LBB91_80
; %bb.81:
	s_or_b32 exec_lo, exec_lo, s5
.LBB91_82:
	s_or_b32 exec_lo, exec_lo, s4
	v_add_nc_u32_e32 v14, v7, v6
	v_add_nc_u32_e32 v18, v13, v3
                                        ; implicit-def: $vgpr15
	v_sub_nc_u32_e32 v19, v14, v13
	v_add_nc_u32_e32 v16, v1, v18
	v_cmp_le_i32_e32 vcc_lo, v7, v18
	v_add_nc_u32_e32 v17, v1, v19
	v_cmp_gt_i32_e64 s5, v10, v19
	ds_read_u8 v13, v16
	ds_read_u8 v14, v17
	s_waitcnt lgkmcnt(1)
	v_bfe_i32 v13, v13, 0, 8
	s_waitcnt lgkmcnt(0)
	v_bfe_i32 v14, v14, 0, 8
	v_cmp_lt_i16_e64 s4, v14, v13
	s_or_b32 s4, vcc_lo, s4
	s_and_b32 vcc_lo, s5, s4
	s_xor_b32 s4, vcc_lo, -1
	s_and_saveexec_b32 s5, s4
	s_xor_b32 s4, exec_lo, s5
; %bb.83:
	ds_read_u8 v15, v16 offset:1
                                        ; implicit-def: $vgpr17
; %bb.84:
	s_or_saveexec_b32 s4, s4
	v_mov_b32_e32 v16, v14
	s_xor_b32 exec_lo, exec_lo, s4
	s_cbranch_execz .LBB91_86
; %bb.85:
	ds_read_u8 v16, v17 offset:1
	s_waitcnt lgkmcnt(1)
	v_mov_b32_e32 v15, v13
.LBB91_86:
	s_or_b32 exec_lo, exec_lo, s4
	v_add_nc_u32_e32 v17, 1, v18
	v_add_nc_u32_e32 v20, 1, v19
	s_waitcnt lgkmcnt(0)
	v_cmp_lt_i16_sdwa s6, sext(v16), sext(v15) src0_sel:BYTE_0 src1_sel:BYTE_0
	v_cndmask_b32_e32 v21, v17, v18, vcc_lo
	v_cndmask_b32_e32 v22, v19, v20, vcc_lo
                                        ; implicit-def: $vgpr17
	v_cmp_ge_i32_e64 s4, v21, v7
	v_cmp_lt_i32_e64 s5, v22, v10
	s_or_b32 s4, s4, s6
	s_and_b32 s4, s5, s4
	s_xor_b32 s5, s4, -1
	s_and_saveexec_b32 s6, s5
	s_xor_b32 s5, exec_lo, s6
; %bb.87:
	v_add_nc_u32_e32 v17, v1, v21
	ds_read_u8 v17, v17 offset:1
; %bb.88:
	s_or_saveexec_b32 s5, s5
	v_mov_b32_e32 v20, v16
	s_xor_b32 exec_lo, exec_lo, s5
	s_cbranch_execz .LBB91_90
; %bb.89:
	s_waitcnt lgkmcnt(0)
	v_add_nc_u32_e32 v17, v1, v22
	ds_read_u8 v20, v17 offset:1
	v_mov_b32_e32 v17, v15
.LBB91_90:
	s_or_b32 exec_lo, exec_lo, s5
	v_add_nc_u32_e32 v23, 1, v21
	v_add_nc_u32_e32 v24, 1, v22
	s_waitcnt lgkmcnt(0)
	v_cmp_lt_i16_sdwa s7, sext(v20), sext(v17) src0_sel:BYTE_0 src1_sel:BYTE_0
	v_cndmask_b32_e64 v26, v23, v21, s4
	v_cndmask_b32_e64 v25, v22, v24, s4
                                        ; implicit-def: $vgpr23
	v_cmp_ge_i32_e64 s5, v26, v7
	v_cmp_lt_i32_e64 s6, v25, v10
	s_or_b32 s5, s5, s7
	s_and_b32 s5, s6, s5
	s_xor_b32 s6, s5, -1
	s_and_saveexec_b32 s7, s6
	s_xor_b32 s6, exec_lo, s7
; %bb.91:
	v_add_nc_u32_e32 v23, v1, v26
	ds_read_u8 v23, v23 offset:1
; %bb.92:
	s_or_saveexec_b32 s6, s6
	v_mov_b32_e32 v24, v20
	s_xor_b32 exec_lo, exec_lo, s6
	s_cbranch_execz .LBB91_94
; %bb.93:
	s_waitcnt lgkmcnt(0)
	v_add_nc_u32_e32 v23, v1, v25
	ds_read_u8 v24, v23 offset:1
	v_mov_b32_e32 v23, v17
.LBB91_94:
	s_or_b32 exec_lo, exec_lo, s6
	v_add_nc_u32_e32 v27, 1, v26
	v_add_nc_u32_e32 v28, 1, v25
	v_cndmask_b32_e32 v18, v18, v19, vcc_lo
	v_cndmask_b32_e64 v21, v21, v22, s4
	s_waitcnt lgkmcnt(0)
	v_cmp_lt_i16_sdwa s8, sext(v24), sext(v23) src0_sel:BYTE_0 src1_sel:BYTE_0
	v_cndmask_b32_e64 v19, v27, v26, s5
	v_cndmask_b32_e64 v22, v25, v28, s5
	;; [unrolled: 1-line block ×3, first 2 shown]
	v_add_nc_u32_e32 v25, 0x80, v3
	v_cmp_ge_i32_e64 s6, v19, v7
	v_cmp_lt_i32_e64 s7, v22, v10
	; wave barrier
	v_min_i32_e32 v7, v5, v25
	ds_write_b8 v2, v12
	s_or_b32 s6, s6, s8
	ds_write_b8 v2, v11 offset:1
	s_and_b32 s6, s7, s6
	v_add_nc_u32_e32 v11, 0x80, v7
	v_cndmask_b32_e64 v10, v19, v22, s6
	ds_write_b8 v2, v8 offset:2
	ds_write_b8 v2, v9 offset:3
	v_add_nc_u32_e32 v8, v1, v18
	v_add_nc_u32_e32 v9, v1, v21
	;; [unrolled: 1-line block ×4, first 2 shown]
	; wave barrier
	v_min_i32_e32 v5, v5, v11
	ds_read_u8 v10, v8
	ds_read_u8 v11, v9
	;; [unrolled: 1-line block ×4, first 2 shown]
	v_cndmask_b32_e64 v15, v15, v16, s4
	v_sub_nc_u32_e32 v16, v7, v3
	v_cndmask_b32_e32 v14, v13, v14, vcc_lo
	v_sub_nc_u32_e32 v19, v5, v7
	v_cndmask_b32_e64 v17, v17, v20, s5
	v_cndmask_b32_e64 v23, v23, v24, s6
	v_min_i32_e32 v13, v6, v16
	s_mov_b32 s5, 0
	v_sub_nc_u32_e32 v12, v6, v19
	v_cmp_ge_i32_e32 vcc_lo, v6, v19
	s_mov_b32 s4, exec_lo
	; wave barrier
	ds_write_b8 v2, v14
	ds_write_b8 v2, v15 offset:1
	ds_write_b8 v2, v17 offset:2
	;; [unrolled: 1-line block ×3, first 2 shown]
	v_cndmask_b32_e32 v12, 0, v12, vcc_lo
	; wave barrier
	v_cmpx_lt_i32_e64 v12, v13
	s_cbranch_execz .LBB91_98
; %bb.95:
	v_add_nc_u32_e32 v14, v1, v3
	v_add3_u32 v15, v1, v7, v6
	.p2align	6
.LBB91_96:                              ; =>This Inner Loop Header: Depth=1
	v_sub_nc_u32_e32 v16, v13, v12
	v_lshrrev_b32_e32 v16, 1, v16
	v_add_nc_u32_e32 v16, v16, v12
	v_add_nc_u32_e32 v17, v14, v16
	v_xad_u32 v18, v16, -1, v15
	v_add_nc_u32_e32 v19, 1, v16
	ds_read_i8 v17, v17
	ds_read_i8 v18, v18
	s_waitcnt lgkmcnt(0)
	v_cmp_lt_i16_e32 vcc_lo, v18, v17
	v_cndmask_b32_e32 v13, v13, v16, vcc_lo
	v_cndmask_b32_e32 v12, v19, v12, vcc_lo
	v_cmp_ge_i32_e32 vcc_lo, v12, v13
	s_or_b32 s5, vcc_lo, s5
	s_andn2_b32 exec_lo, exec_lo, s5
	s_cbranch_execnz .LBB91_96
; %bb.97:
	s_or_b32 exec_lo, exec_lo, s5
.LBB91_98:
	s_or_b32 exec_lo, exec_lo, s4
	v_add_nc_u32_e32 v6, v7, v6
	v_add_nc_u32_e32 v14, v12, v3
	v_sub_nc_u32_e32 v15, v6, v12
	v_add_nc_u32_e32 v13, v1, v14
	v_cmp_le_i32_e32 vcc_lo, v7, v14
                                        ; implicit-def: $vgpr12
	v_add_nc_u32_e32 v16, v1, v15
	v_cmp_gt_i32_e64 s5, v5, v15
	ds_read_u8 v3, v13
	ds_read_u8 v6, v16
	s_waitcnt lgkmcnt(1)
	v_bfe_i32 v3, v3, 0, 8
	s_waitcnt lgkmcnt(0)
	v_bfe_i32 v6, v6, 0, 8
	v_cmp_lt_i16_e64 s4, v6, v3
	s_or_b32 s4, vcc_lo, s4
	s_and_b32 s4, s5, s4
	s_xor_b32 s5, s4, -1
	s_and_saveexec_b32 s6, s5
	s_xor_b32 s5, exec_lo, s6
; %bb.99:
	ds_read_u8 v12, v13 offset:1
                                        ; implicit-def: $vgpr16
; %bb.100:
	s_or_saveexec_b32 s5, s5
	v_mov_b32_e32 v13, v6
	s_xor_b32 exec_lo, exec_lo, s5
	s_cbranch_execz .LBB91_102
; %bb.101:
	ds_read_u8 v13, v16 offset:1
	s_waitcnt lgkmcnt(1)
	v_mov_b32_e32 v12, v3
.LBB91_102:
	s_or_b32 exec_lo, exec_lo, s5
	v_add_nc_u32_e32 v16, 1, v14
	v_add_nc_u32_e32 v17, 1, v15
	s_waitcnt lgkmcnt(0)
	v_cmp_lt_i16_sdwa s6, sext(v13), sext(v12) src0_sel:BYTE_0 src1_sel:BYTE_0
                                        ; implicit-def: $vgpr18
	v_cndmask_b32_e64 v16, v16, v14, s4
	v_cndmask_b32_e64 v17, v15, v17, s4
	v_cmp_ge_i32_e32 vcc_lo, v16, v7
	v_cmp_lt_i32_e64 s5, v17, v5
	s_or_b32 s6, vcc_lo, s6
	s_and_b32 vcc_lo, s5, s6
	s_xor_b32 s5, vcc_lo, -1
	s_and_saveexec_b32 s6, s5
	s_xor_b32 s5, exec_lo, s6
; %bb.103:
	v_add_nc_u32_e32 v18, v1, v16
	ds_read_u8 v18, v18 offset:1
; %bb.104:
	s_or_saveexec_b32 s5, s5
	v_mov_b32_e32 v19, v13
	s_xor_b32 exec_lo, exec_lo, s5
	s_cbranch_execz .LBB91_106
; %bb.105:
	s_waitcnt lgkmcnt(0)
	v_add_nc_u32_e32 v18, v1, v17
	ds_read_u8 v19, v18 offset:1
	v_mov_b32_e32 v18, v12
.LBB91_106:
	s_or_b32 exec_lo, exec_lo, s5
	v_add_nc_u32_e32 v20, 1, v16
	v_add_nc_u32_e32 v21, 1, v17
	s_waitcnt lgkmcnt(0)
	v_cmp_lt_i16_sdwa s7, sext(v19), sext(v18) src0_sel:BYTE_0 src1_sel:BYTE_0
                                        ; implicit-def: $vgpr22
	v_cndmask_b32_e32 v25, v20, v16, vcc_lo
	v_cndmask_b32_e32 v20, v17, v21, vcc_lo
                                        ; implicit-def: $vgpr21
	v_cmp_ge_i32_e64 s5, v25, v7
	v_cmp_lt_i32_e64 s6, v20, v5
	s_or_b32 s5, s5, s7
	s_and_b32 s5, s6, s5
	s_xor_b32 s6, s5, -1
	s_and_saveexec_b32 s7, s6
	s_xor_b32 s6, exec_lo, s7
; %bb.107:
	v_add_nc_u32_e32 v21, v1, v25
	ds_read_u8 v22, v21 offset:1
	v_add_nc_u32_e32 v21, 1, v25
; %bb.108:
	s_or_saveexec_b32 s6, s6
	v_mov_b32_e32 v23, v25
	v_mov_b32_e32 v24, v19
	s_xor_b32 exec_lo, exec_lo, s6
	s_cbranch_execz .LBB91_110
; %bb.109:
	v_add_nc_u32_e32 v21, v1, v20
	s_waitcnt lgkmcnt(0)
	v_add_nc_u32_e32 v22, 1, v20
	v_mov_b32_e32 v23, v20
	ds_read_u8 v24, v21 offset:1
	v_mov_b32_e32 v21, v25
	v_mov_b32_e32 v20, v22
	;; [unrolled: 1-line block ×3, first 2 shown]
.LBB91_110:
	s_or_b32 exec_lo, exec_lo, s6
	v_cndmask_b32_e64 v14, v14, v15, s4
	v_cmp_ge_i32_e64 s6, v21, v7
	; wave barrier
	ds_write_b8 v2, v10
	ds_write_b8 v2, v11 offset:1
	v_add_nc_u32_e32 v7, v1, v14
	ds_write_b8 v2, v8 offset:2
	ds_write_b8 v2, v9 offset:3
	; wave barrier
	s_waitcnt lgkmcnt(4)
	v_cmp_lt_i16_sdwa s8, sext(v24), sext(v22) src0_sel:BYTE_0 src1_sel:BYTE_0
	ds_read_u8 v2, v7
	v_cmp_lt_i32_e64 s7, v20, v5
	v_cndmask_b32_e32 v5, v16, v17, vcc_lo
	v_cndmask_b32_e64 v3, v3, v6, s4
	s_or_b32 s6, s6, s8
	v_cndmask_b32_e64 v6, v18, v19, s5
	s_and_b32 s6, s7, s6
	v_add_nc_u32_e32 v5, v1, v5
	v_cndmask_b32_e64 v7, v22, v24, s6
	v_cndmask_b32_e64 v8, v21, v20, s6
	v_add_nc_u32_e32 v9, v1, v23
	v_add_co_u32 v0, s4, s10, v0
	v_lshlrev_b16 v7, 8, v7
	v_add_nc_u32_e32 v1, v1, v8
	v_cndmask_b32_sdwa v8, v12, v13, vcc_lo dst_sel:BYTE_1 dst_unused:UNUSED_PAD src0_sel:DWORD src1_sel:DWORD
	ds_read_u8 v5, v5
	ds_read_u8 v9, v9
	;; [unrolled: 1-line block ×3, first 2 shown]
	v_or_b32_sdwa v6, v6, v7 dst_sel:WORD_1 dst_unused:UNUSED_PAD src0_sel:BYTE_0 src1_sel:DWORD
	v_add_co_u32 v0, vcc_lo, v0, v4
	s_waitcnt lgkmcnt(3)
	v_add_nc_u16 v2, v2, v3
	v_or_b32_sdwa v3, v3, v8 dst_sel:DWORD dst_unused:UNUSED_PAD src0_sel:BYTE_0 src1_sel:DWORD
	v_or_b32_sdwa v2, v2, v8 dst_sel:DWORD dst_unused:UNUSED_PAD src0_sel:BYTE_0 src1_sel:DWORD
	v_or_b32_sdwa v3, v3, v6 dst_sel:DWORD dst_unused:UNUSED_PAD src0_sel:WORD_0 src1_sel:DWORD
	v_or_b32_sdwa v2, v2, v6 dst_sel:DWORD dst_unused:UNUSED_PAD src0_sel:WORD_0 src1_sel:DWORD
	v_cndmask_b32_e64 v2, v3, v2, s0
	v_lshrrev_b32_e32 v3, 8, v2
	s_waitcnt lgkmcnt(2)
	v_add_nc_u16 v3, v3, v5
	v_mov_b32_e32 v5, 0xff
	v_lshlrev_b16 v3, 8, v3
	v_or_b32_sdwa v3, v2, v3 dst_sel:DWORD dst_unused:UNUSED_PAD src0_sel:BYTE_0 src1_sel:DWORD
	v_and_b32_e32 v3, 0xffff, v3
	v_and_or_b32 v3, 0xffff0000, v2, v3
	v_cndmask_b32_e64 v2, v2, v3, s1
	v_lshrrev_b32_e32 v3, 16, v2
	s_waitcnt lgkmcnt(1)
	v_add_nc_u16 v3, v3, v9
	v_perm_b32 v3, v3, v2, 0xc0c0304
	v_lshlrev_b32_e32 v3, 16, v3
	v_and_or_b32 v3, 0xffff, v2, v3
	v_cndmask_b32_e64 v2, v2, v3, s2
	v_lshrrev_b32_e32 v3, 24, v2
	s_waitcnt lgkmcnt(0)
	v_add_nc_u16 v1, v3, v1
	v_and_b32_sdwa v3, v2, v5 dst_sel:DWORD dst_unused:UNUSED_PAD src0_sel:WORD_1 src1_sel:DWORD
	v_lshlrev_b16 v1, 8, v1
	v_or_b32_sdwa v1, v3, v1 dst_sel:WORD_1 dst_unused:UNUSED_PAD src0_sel:DWORD src1_sel:DWORD
	v_add_co_ci_u32_e64 v3, null, s11, 0, s4
	v_and_or_b32 v1, 0xffff, v2, v1
	v_cndmask_b32_e64 v2, v2, v1, s3
	v_add_co_ci_u32_e64 v1, null, 0, v3, vcc_lo
	s_and_saveexec_b32 s4, s0
	s_cbranch_execnz .LBB91_115
; %bb.111:
	s_or_b32 exec_lo, exec_lo, s4
	s_and_saveexec_b32 s0, s1
	s_cbranch_execnz .LBB91_116
.LBB91_112:
	s_or_b32 exec_lo, exec_lo, s0
	s_and_saveexec_b32 s0, s2
	s_cbranch_execnz .LBB91_117
.LBB91_113:
	s_or_b32 exec_lo, exec_lo, s0
	s_and_saveexec_b32 s0, s3
	s_cbranch_execnz .LBB91_118
.LBB91_114:
	s_endpgm
.LBB91_115:
	global_store_byte v[0:1], v2, off
	s_or_b32 exec_lo, exec_lo, s4
	s_and_saveexec_b32 s0, s1
	s_cbranch_execz .LBB91_112
.LBB91_116:
	v_lshrrev_b32_e32 v3, 8, v2
	global_store_byte v[0:1], v3, off offset:1
	s_or_b32 exec_lo, exec_lo, s0
	s_and_saveexec_b32 s0, s2
	s_cbranch_execz .LBB91_113
.LBB91_117:
	global_store_byte_d16_hi v[0:1], v2, off offset:2
	s_or_b32 exec_lo, exec_lo, s0
	s_and_saveexec_b32 s0, s3
	s_cbranch_execz .LBB91_114
.LBB91_118:
	v_lshrrev_b32_e32 v2, 24, v2
	global_store_byte v[0:1], v2, off offset:3
	s_endpgm
	.section	.rodata,"a",@progbits
	.p2align	6, 0x0
	.amdhsa_kernel _Z20sort_pairs_segmentedILj256ELj64ELj4EaN10test_utils4lessEEvPKT2_PS2_PKjT3_
		.amdhsa_group_segment_fixed_size 1028
		.amdhsa_private_segment_fixed_size 0
		.amdhsa_kernarg_size 28
		.amdhsa_user_sgpr_count 6
		.amdhsa_user_sgpr_private_segment_buffer 1
		.amdhsa_user_sgpr_dispatch_ptr 0
		.amdhsa_user_sgpr_queue_ptr 0
		.amdhsa_user_sgpr_kernarg_segment_ptr 1
		.amdhsa_user_sgpr_dispatch_id 0
		.amdhsa_user_sgpr_flat_scratch_init 0
		.amdhsa_user_sgpr_private_segment_size 0
		.amdhsa_wavefront_size32 1
		.amdhsa_uses_dynamic_stack 0
		.amdhsa_system_sgpr_private_segment_wavefront_offset 0
		.amdhsa_system_sgpr_workgroup_id_x 1
		.amdhsa_system_sgpr_workgroup_id_y 0
		.amdhsa_system_sgpr_workgroup_id_z 0
		.amdhsa_system_sgpr_workgroup_info 0
		.amdhsa_system_vgpr_workitem_id 0
		.amdhsa_next_free_vgpr 30
		.amdhsa_next_free_sgpr 12
		.amdhsa_reserve_vcc 1
		.amdhsa_reserve_flat_scratch 0
		.amdhsa_float_round_mode_32 0
		.amdhsa_float_round_mode_16_64 0
		.amdhsa_float_denorm_mode_32 3
		.amdhsa_float_denorm_mode_16_64 3
		.amdhsa_dx10_clamp 1
		.amdhsa_ieee_mode 1
		.amdhsa_fp16_overflow 0
		.amdhsa_workgroup_processor_mode 1
		.amdhsa_memory_ordered 1
		.amdhsa_forward_progress 1
		.amdhsa_shared_vgpr_count 0
		.amdhsa_exception_fp_ieee_invalid_op 0
		.amdhsa_exception_fp_denorm_src 0
		.amdhsa_exception_fp_ieee_div_zero 0
		.amdhsa_exception_fp_ieee_overflow 0
		.amdhsa_exception_fp_ieee_underflow 0
		.amdhsa_exception_fp_ieee_inexact 0
		.amdhsa_exception_int_div_zero 0
	.end_amdhsa_kernel
	.section	.text._Z20sort_pairs_segmentedILj256ELj64ELj4EaN10test_utils4lessEEvPKT2_PS2_PKjT3_,"axG",@progbits,_Z20sort_pairs_segmentedILj256ELj64ELj4EaN10test_utils4lessEEvPKT2_PS2_PKjT3_,comdat
.Lfunc_end91:
	.size	_Z20sort_pairs_segmentedILj256ELj64ELj4EaN10test_utils4lessEEvPKT2_PS2_PKjT3_, .Lfunc_end91-_Z20sort_pairs_segmentedILj256ELj64ELj4EaN10test_utils4lessEEvPKT2_PS2_PKjT3_
                                        ; -- End function
	.set _Z20sort_pairs_segmentedILj256ELj64ELj4EaN10test_utils4lessEEvPKT2_PS2_PKjT3_.num_vgpr, 30
	.set _Z20sort_pairs_segmentedILj256ELj64ELj4EaN10test_utils4lessEEvPKT2_PS2_PKjT3_.num_agpr, 0
	.set _Z20sort_pairs_segmentedILj256ELj64ELj4EaN10test_utils4lessEEvPKT2_PS2_PKjT3_.numbered_sgpr, 12
	.set _Z20sort_pairs_segmentedILj256ELj64ELj4EaN10test_utils4lessEEvPKT2_PS2_PKjT3_.num_named_barrier, 0
	.set _Z20sort_pairs_segmentedILj256ELj64ELj4EaN10test_utils4lessEEvPKT2_PS2_PKjT3_.private_seg_size, 0
	.set _Z20sort_pairs_segmentedILj256ELj64ELj4EaN10test_utils4lessEEvPKT2_PS2_PKjT3_.uses_vcc, 1
	.set _Z20sort_pairs_segmentedILj256ELj64ELj4EaN10test_utils4lessEEvPKT2_PS2_PKjT3_.uses_flat_scratch, 0
	.set _Z20sort_pairs_segmentedILj256ELj64ELj4EaN10test_utils4lessEEvPKT2_PS2_PKjT3_.has_dyn_sized_stack, 0
	.set _Z20sort_pairs_segmentedILj256ELj64ELj4EaN10test_utils4lessEEvPKT2_PS2_PKjT3_.has_recursion, 0
	.set _Z20sort_pairs_segmentedILj256ELj64ELj4EaN10test_utils4lessEEvPKT2_PS2_PKjT3_.has_indirect_call, 0
	.section	.AMDGPU.csdata,"",@progbits
; Kernel info:
; codeLenInByte = 6440
; TotalNumSgprs: 14
; NumVgprs: 30
; ScratchSize: 0
; MemoryBound: 0
; FloatMode: 240
; IeeeMode: 1
; LDSByteSize: 1028 bytes/workgroup (compile time only)
; SGPRBlocks: 0
; VGPRBlocks: 3
; NumSGPRsForWavesPerEU: 14
; NumVGPRsForWavesPerEU: 30
; Occupancy: 16
; WaveLimiterHint : 0
; COMPUTE_PGM_RSRC2:SCRATCH_EN: 0
; COMPUTE_PGM_RSRC2:USER_SGPR: 6
; COMPUTE_PGM_RSRC2:TRAP_HANDLER: 0
; COMPUTE_PGM_RSRC2:TGID_X_EN: 1
; COMPUTE_PGM_RSRC2:TGID_Y_EN: 0
; COMPUTE_PGM_RSRC2:TGID_Z_EN: 0
; COMPUTE_PGM_RSRC2:TIDIG_COMP_CNT: 0
	.section	.text._Z9sort_keysILj256ELj64ELj8EaN10test_utils4lessEEvPKT2_PS2_T3_,"axG",@progbits,_Z9sort_keysILj256ELj64ELj8EaN10test_utils4lessEEvPKT2_PS2_T3_,comdat
	.protected	_Z9sort_keysILj256ELj64ELj8EaN10test_utils4lessEEvPKT2_PS2_T3_ ; -- Begin function _Z9sort_keysILj256ELj64ELj8EaN10test_utils4lessEEvPKT2_PS2_T3_
	.globl	_Z9sort_keysILj256ELj64ELj8EaN10test_utils4lessEEvPKT2_PS2_T3_
	.p2align	8
	.type	_Z9sort_keysILj256ELj64ELj8EaN10test_utils4lessEEvPKT2_PS2_T3_,@function
_Z9sort_keysILj256ELj64ELj8EaN10test_utils4lessEEvPKT2_PS2_T3_: ; @_Z9sort_keysILj256ELj64ELj8EaN10test_utils4lessEEvPKT2_PS2_T3_
; %bb.0:
	s_load_dwordx4 s[8:11], s[4:5], 0x0
	s_lshl_b32 s7, s6, 11
	v_lshlrev_b32_e32 v1, 3, v0
	v_mov_b32_e32 v14, 0xff
	v_lshrrev_b32_e32 v0, 6, v0
	s_waitcnt lgkmcnt(0)
	s_add_u32 s0, s8, s7
	s_addc_u32 s1, s9, 0
	global_load_dwordx2 v[2:3], v1, s[0:1]
	; wave barrier
	s_waitcnt vmcnt(0)
	v_lshrrev_b32_e32 v4, 8, v2
	v_perm_b32 v5, 0, v2, 0xc0c0001
	v_bfe_i32 v6, v2, 0, 8
	v_lshrrev_b32_e32 v11, 8, v3
	v_bfe_i32 v13, v3, 0, 8
	v_bfe_i32 v4, v4, 0, 8
	v_and_or_b32 v5, 0xffff0000, v2, v5
	v_perm_b32 v15, v3, v3, 0x7060405
	v_bfe_i32 v11, v11, 0, 8
	v_cmp_lt_i16_e32 vcc_lo, v4, v6
	v_min_i16 v16, v11, v13
	v_cndmask_b32_e32 v2, v2, v5, vcc_lo
	v_lshrrev_b32_e32 v5, 16, v2
	v_lshrrev_b32_e32 v7, 24, v2
	v_perm_b32 v8, 0, v5, 0xc0c0001
	v_bfe_i32 v7, v7, 0, 8
	v_bfe_i32 v5, v5, 0, 8
	v_lshlrev_b32_e32 v8, 16, v8
	v_min_i16 v9, v7, v5
	v_cmp_lt_i16_e32 vcc_lo, v7, v5
	v_max_i16 v5, v7, v5
	v_and_or_b32 v8, 0xffff, v2, v8
	v_lshlrev_b16 v10, 8, v9
	v_cndmask_b32_e32 v2, v2, v8, vcc_lo
	v_max_i16 v8, v4, v6
	v_min_i16 v4, v4, v6
	v_max_i16 v6, v11, v13
	v_or_b32_sdwa v10, v2, v10 dst_sel:DWORD dst_unused:UNUSED_PAD src0_sel:BYTE_0 src1_sel:DWORD
	v_perm_b32 v12, v8, v2, 0xc0c0304
	v_cmp_lt_i16_e32 vcc_lo, v9, v8
	v_min_i16 v17, v9, v8
	v_max_i16 v8, v9, v8
	v_and_b32_e32 v10, 0xffff, v10
	v_lshl_or_b32 v10, v12, 16, v10
	v_mov_b32_e32 v12, 0xffffff00
	v_cndmask_b32_e32 v2, v2, v10, vcc_lo
	v_cmp_lt_i16_e32 vcc_lo, v11, v13
	v_lshlrev_b16 v10, 8, v16
	v_and_b32_sdwa v11, v2, v14 dst_sel:DWORD dst_unused:UNUSED_PAD src0_sel:WORD_1 src1_sel:DWORD
	v_cndmask_b32_e32 v3, v3, v15, vcc_lo
	v_lshlrev_b16 v15, 8, v4
	v_cmp_lt_i16_e32 vcc_lo, v16, v5
	v_or_b32_sdwa v10, v11, v10 dst_sel:WORD_1 dst_unused:UNUSED_PAD src0_sel:DWORD src1_sel:DWORD
	v_lshrrev_b32_e32 v13, 24, v3
	v_lshrrev_b32_e32 v18, 16, v3
	v_or_b32_sdwa v15, v17, v15 dst_sel:DWORD dst_unused:UNUSED_PAD src0_sel:BYTE_0 src1_sel:DWORD
	v_perm_b32 v11, v3, v3, 0x6070504
	v_and_or_b32 v7, 0xffff, v2, v10
	v_bfe_i32 v13, v13, 0, 8
	v_bfe_i32 v10, v18, 0, 8
	v_and_b32_e32 v15, 0xffff, v15
	v_lshlrev_b16 v18, 8, v8
	v_cndmask_b32_e32 v2, v2, v7, vcc_lo
	v_min_i16 v7, v16, v5
	v_cmp_lt_i16_e64 s0, v13, v10
	v_cmp_lt_i16_e64 s1, v7, v8
	v_cndmask_b32_e64 v3, v3, v11, s0
	v_and_or_b32 v11, 0xffff0000, v2, v15
	v_cmp_lt_i16_e64 s0, v9, v4
	v_max_i16 v15, v13, v10
	v_min_i16 v10, v13, v10
	v_or_b32_sdwa v13, v7, v18 dst_sel:WORD_1 dst_unused:UNUSED_PAD src0_sel:BYTE_0 src1_sel:DWORD
	v_perm_b32 v9, v5, v3, 0x3020104
	v_cndmask_b32_e64 v2, v2, v11, s0
	v_min_i16 v11, v7, v8
	v_max_i16 v5, v16, v5
	v_cndmask_b32_e64 v21, v17, v4, s0
	v_cndmask_b32_e32 v3, v3, v9, vcc_lo
	v_and_or_b32 v13, 0xffff, v2, v13
	v_lshlrev_b16 v20, 8, v11
	v_lshlrev_b16 v16, 8, v10
	v_min_i16 v19, v10, v6
	v_and_b32_sdwa v24, v3, v12 dst_sel:DWORD dst_unused:UNUSED_PAD src0_sel:WORD_1 src1_sel:DWORD
	v_cndmask_b32_e64 v2, v2, v13, s1
	v_lshlrev_b16 v13, 8, v5
	v_or_b32_sdwa v16, v3, v16 dst_sel:DWORD dst_unused:UNUSED_PAD src0_sel:BYTE_0 src1_sel:DWORD
	v_cmp_lt_i16_e32 vcc_lo, v11, v21
	v_or_b32_sdwa v24, v6, v24 dst_sel:WORD_1 dst_unused:UNUSED_PAD src0_sel:BYTE_0 src1_sel:DWORD
	v_or_b32_sdwa v20, v2, v20 dst_sel:DWORD dst_unused:UNUSED_PAD src0_sel:BYTE_0 src1_sel:DWORD
	v_perm_b32 v9, v21, v2, 0xc0c0304
	v_or_b32_sdwa v13, v19, v13 dst_sel:DWORD dst_unused:UNUSED_PAD src0_sel:BYTE_0 src1_sel:DWORD
	v_min_i16 v22, v19, v5
	v_max_i16 v18, v10, v6
	v_and_b32_e32 v20, 0xffff, v20
	v_cndmask_b32_e64 v4, v4, v17, s0
	v_max_i16 v7, v7, v8
	v_lshlrev_b16 v25, 8, v22
	v_lshlrev_b16 v23, 8, v18
	v_lshl_or_b32 v9, v9, 16, v20
	v_cmp_gt_i16_e64 s0, v6, v15
	v_max_i16 v8, v19, v5
	v_max_i16 v20, v22, v7
	v_or_b32_sdwa v23, v15, v23 dst_sel:WORD_1 dst_unused:UNUSED_PAD src0_sel:BYTE_0 src1_sel:DWORD
	v_cndmask_b32_e32 v2, v2, v9, vcc_lo
	v_and_b32_e32 v9, 0xffff, v13
	v_or_b32_sdwa v13, v16, v24 dst_sel:DWORD dst_unused:UNUSED_PAD src0_sel:WORD_0 src1_sel:DWORD
	v_cmp_lt_i16_e32 vcc_lo, v10, v6
	v_min_i16 v16, v11, v21
	v_and_b32_sdwa v17, v2, v14 dst_sel:DWORD dst_unused:UNUSED_PAD src0_sel:WORD_1 src1_sel:DWORD
	v_lshlrev_b16 v24, 8, v4
	v_max_i16 v11, v11, v21
	v_cndmask_b32_e32 v3, v3, v13, vcc_lo
	v_cmp_lt_i16_e32 vcc_lo, v19, v5
	v_or_b32_sdwa v13, v17, v25 dst_sel:WORD_1 dst_unused:UNUSED_PAD src0_sel:DWORD src1_sel:DWORD
	v_or_b32_sdwa v17, v16, v24 dst_sel:DWORD dst_unused:UNUSED_PAD src0_sel:BYTE_0 src1_sel:DWORD
	v_min_i16 v10, v22, v7
	v_and_or_b32 v9, 0xffff0000, v3, v9
	v_lshlrev_b16 v5, 8, v11
	v_and_or_b32 v13, 0xffff, v2, v13
	v_and_b32_e32 v17, 0xffff, v17
	v_cmp_lt_i16_e64 s1, v16, v4
	v_cndmask_b32_e32 v3, v3, v9, vcc_lo
	v_cmp_lt_i16_e32 vcc_lo, v22, v7
	v_or_b32_sdwa v5, v10, v5 dst_sel:WORD_1 dst_unused:UNUSED_PAD src0_sel:BYTE_0 src1_sel:DWORD
	v_min_i16 v19, v10, v11
	v_lshlrev_b16 v24, 8, v20
	v_max_i16 v9, v16, v4
	v_cndmask_b32_e32 v2, v2, v13, vcc_lo
	v_and_or_b32 v13, 0xffff, v3, v23
	v_lshlrev_b16 v6, 8, v19
	v_min_i16 v4, v16, v4
	v_min_i16 v16, v19, v9
	v_and_or_b32 v17, 0xffff0000, v2, v17
	v_cndmask_b32_e64 v3, v3, v13, s0
	v_max_i16 v13, v19, v9
	v_cndmask_b32_e64 v2, v2, v17, s1
	v_perm_b32 v7, v7, v3, 0x3020104
	v_cndmask_b32_e64 v17, v18, v15, s0
	v_cndmask_b32_e64 v15, v15, v18, s0
	s_mov_b32 s1, exec_lo
	v_and_or_b32 v5, 0xffff, v2, v5
	v_cndmask_b32_e32 v3, v3, v7, vcc_lo
	v_cmp_lt_i16_e32 vcc_lo, v10, v11
	v_lshlrev_b16 v7, 8, v17
	v_min_i16 v18, v17, v8
	v_and_b32_sdwa v21, v3, v12 dst_sel:DWORD dst_unused:UNUSED_PAD src0_sel:WORD_1 src1_sel:DWORD
	v_cndmask_b32_e32 v2, v2, v5, vcc_lo
	v_or_b32_sdwa v7, v3, v7 dst_sel:DWORD dst_unused:UNUSED_PAD src0_sel:BYTE_0 src1_sel:DWORD
	v_or_b32_sdwa v23, v18, v24 dst_sel:DWORD dst_unused:UNUSED_PAD src0_sel:BYTE_0 src1_sel:DWORD
	v_cmp_lt_i16_e32 vcc_lo, v17, v8
	v_or_b32_sdwa v21, v8, v21 dst_sel:WORD_1 dst_unused:UNUSED_PAD src0_sel:BYTE_0 src1_sel:DWORD
	v_or_b32_sdwa v6, v2, v6 dst_sel:DWORD dst_unused:UNUSED_PAD src0_sel:BYTE_0 src1_sel:DWORD
	v_perm_b32 v22, v9, v2, 0xc0c0304
	v_max_i16 v24, v17, v8
	v_lshlrev_b16 v5, 8, v4
	v_or_b32_sdwa v7, v7, v21 dst_sel:DWORD dst_unused:UNUSED_PAD src0_sel:WORD_0 src1_sel:DWORD
	v_and_b32_e32 v6, 0xffff, v6
	v_min_i16 v21, v18, v20
	v_or_b32_sdwa v5, v16, v5 dst_sel:DWORD dst_unused:UNUSED_PAD src0_sel:BYTE_0 src1_sel:DWORD
	v_cndmask_b32_e32 v3, v3, v7, vcc_lo
	v_lshl_or_b32 v6, v22, 16, v6
	v_and_b32_e32 v22, 0xffff, v23
	v_cmp_lt_i16_e32 vcc_lo, v19, v9
	v_lshlrev_b16 v8, 8, v21
	v_and_b32_e32 v5, 0xffff, v5
	v_and_or_b32 v7, 0xffff0000, v3, v22
	v_cndmask_b32_e32 v2, v2, v6, vcc_lo
	v_lshlrev_b16 v6, 8, v24
	v_cmp_lt_i16_e32 vcc_lo, v18, v20
	v_and_b32_sdwa v9, v2, v14 dst_sel:DWORD dst_unused:UNUSED_PAD src0_sel:WORD_1 src1_sel:DWORD
	v_or_b32_sdwa v6, v15, v6 dst_sel:WORD_1 dst_unused:UNUSED_PAD src0_sel:BYTE_0 src1_sel:DWORD
	v_cndmask_b32_e32 v3, v3, v7, vcc_lo
	v_max_i16 v7, v10, v11
	v_cmp_lt_i16_e32 vcc_lo, v15, v24
	v_or_b32_sdwa v8, v9, v8 dst_sel:WORD_1 dst_unused:UNUSED_PAD src0_sel:DWORD src1_sel:DWORD
	v_max_i16 v11, v15, v24
	v_and_or_b32 v6, 0xffff, v3, v6
	v_lshlrev_b16 v9, 8, v13
	v_max_i16 v10, v18, v20
	v_and_or_b32 v8, 0xffff, v2, v8
	v_cndmask_b32_e32 v3, v3, v6, vcc_lo
	v_cmp_lt_i16_e32 vcc_lo, v21, v7
	v_min_i16 v6, v15, v24
	v_perm_b32 v15, v7, v3, 0x3020104
	v_cndmask_b32_e32 v2, v2, v8, vcc_lo
	v_min_i16 v8, v21, v7
	v_max_i16 v7, v21, v7
	v_lshlrev_b16 v17, 8, v6
	v_cndmask_b32_e32 v3, v3, v15, vcc_lo
	v_and_or_b32 v5, 0xffff0000, v2, v5
	v_cmp_lt_i16_e32 vcc_lo, v19, v4
	v_or_b32_sdwa v9, v8, v9 dst_sel:WORD_1 dst_unused:UNUSED_PAD src0_sel:BYTE_0 src1_sel:DWORD
	v_min_i16 v15, v6, v10
	v_and_b32_sdwa v18, v3, v12 dst_sel:DWORD dst_unused:UNUSED_PAD src0_sel:WORD_1 src1_sel:DWORD
	v_lshlrev_b16 v19, 8, v7
	v_cndmask_b32_e32 v2, v2, v5, vcc_lo
	v_min_i16 v5, v8, v13
	v_or_b32_sdwa v17, v3, v17 dst_sel:DWORD dst_unused:UNUSED_PAD src0_sel:BYTE_0 src1_sel:DWORD
	v_or_b32_sdwa v18, v10, v18 dst_sel:WORD_1 dst_unused:UNUSED_PAD src0_sel:BYTE_0 src1_sel:DWORD
	v_cmp_lt_i16_e64 s0, v8, v13
	v_and_or_b32 v9, 0xffff, v2, v9
	v_lshlrev_b16 v20, 8, v5
	v_cndmask_b32_e32 v4, v16, v4, vcc_lo
	v_or_b32_sdwa v17, v17, v18 dst_sel:DWORD dst_unused:UNUSED_PAD src0_sel:WORD_0 src1_sel:DWORD
	v_cmp_lt_i16_e32 vcc_lo, v6, v10
	v_cndmask_b32_e64 v2, v2, v9, s0
	v_or_b32_sdwa v9, v15, v19 dst_sel:DWORD dst_unused:UNUSED_PAD src0_sel:BYTE_0 src1_sel:DWORD
	v_max_i16 v19, v6, v10
	v_min_i16 v18, v15, v7
	v_cndmask_b32_e32 v3, v3, v17, vcc_lo
	v_or_b32_sdwa v16, v2, v20 dst_sel:DWORD dst_unused:UNUSED_PAD src0_sel:BYTE_0 src1_sel:DWORD
	v_and_b32_e32 v9, 0xffff, v9
	v_perm_b32 v6, v4, v2, 0xc0c0304
	v_cmp_lt_i16_e32 vcc_lo, v15, v7
	v_lshlrev_b16 v17, 8, v19
	v_and_b32_e32 v16, 0xffff, v16
	v_and_or_b32 v9, 0xffff0000, v3, v9
	v_max_i16 v8, v8, v13
	v_max_i16 v13, v15, v7
	v_lshl_or_b32 v6, v6, 16, v16
	v_cndmask_b32_e32 v3, v3, v9, vcc_lo
	v_cmp_lt_i16_e32 vcc_lo, v5, v4
	v_or_b32_sdwa v16, v11, v17 dst_sel:WORD_1 dst_unused:UNUSED_PAD src0_sel:BYTE_0 src1_sel:DWORD
	v_mbcnt_lo_u32_b32 v9, -1, 0
	v_cmp_lt_i16_e64 s0, v18, v8
	v_cndmask_b32_e32 v4, v2, v6, vcc_lo
	v_lshlrev_b16 v2, 8, v18
	v_and_or_b32 v5, 0xffff, v3, v16
	v_cmp_gt_i16_e32 vcc_lo, v10, v11
	v_and_b32_sdwa v6, v4, v14 dst_sel:DWORD dst_unused:UNUSED_PAD src0_sel:WORD_1 src1_sel:DWORD
	v_cndmask_b32_e32 v3, v3, v5, vcc_lo
	v_cndmask_b32_e32 v10, v19, v11, vcc_lo
	v_or_b32_sdwa v5, v6, v2 dst_sel:WORD_1 dst_unused:UNUSED_PAD src0_sel:DWORD src1_sel:DWORD
	v_lshlrev_b32_e32 v2, 3, v9
	v_perm_b32 v6, v8, v3, 0x3020104
	v_lshlrev_b16 v7, 8, v10
	v_and_or_b32 v9, 0xffff, v4, v5
	v_and_b32_e32 v5, 0xf0, v2
	v_mad_u32_u24 v16, 0x201, v0, v2
	v_cndmask_b32_e64 v11, v3, v6, s0
	v_and_b32_e32 v6, 8, v2
	v_cndmask_b32_e64 v9, v4, v9, s0
	v_or_b32_e32 v4, 8, v5
	v_add_nc_u32_e32 v3, 16, v5
	v_and_b32_sdwa v8, v11, v12 dst_sel:DWORD dst_unused:UNUSED_PAD src0_sel:WORD_1 src1_sel:DWORD
	v_or_b32_sdwa v7, v11, v7 dst_sel:DWORD dst_unused:UNUSED_PAD src0_sel:BYTE_0 src1_sel:DWORD
	v_mul_u32_u24_e32 v0, 0x201, v0
	v_sub_nc_u32_e32 v14, v4, v5
	v_sub_nc_u32_e32 v12, v3, v4
	v_or_b32_sdwa v8, v13, v8 dst_sel:WORD_1 dst_unused:UNUSED_PAD src0_sel:BYTE_0 src1_sel:DWORD
	s_mov_b32 s0, 0
	v_sub_nc_u32_e32 v15, v6, v12
	v_cmp_ge_i32_e32 vcc_lo, v6, v12
	v_or_b32_sdwa v17, v7, v8 dst_sel:DWORD dst_unused:UNUSED_PAD src0_sel:WORD_0 src1_sel:DWORD
	v_min_i32_e32 v8, v6, v14
	v_cndmask_b32_e32 v7, 0, v15, vcc_lo
	v_cmp_lt_i16_e32 vcc_lo, v10, v13
	v_cndmask_b32_e32 v10, v11, v17, vcc_lo
	ds_write_b64 v16, v[9:10]
	; wave barrier
	v_cmpx_lt_i32_e64 v7, v8
	s_cbranch_execz .LBB92_4
; %bb.1:
	v_add_nc_u32_e32 v9, v0, v5
	v_add3_u32 v10, v0, v4, v6
	.p2align	6
.LBB92_2:                               ; =>This Inner Loop Header: Depth=1
	v_sub_nc_u32_e32 v11, v8, v7
	v_lshrrev_b32_e32 v11, 1, v11
	v_add_nc_u32_e32 v11, v11, v7
	v_add_nc_u32_e32 v12, v9, v11
	v_xad_u32 v13, v11, -1, v10
	v_add_nc_u32_e32 v14, 1, v11
	ds_read_i8 v12, v12
	ds_read_i8 v13, v13
	s_waitcnt lgkmcnt(0)
	v_cmp_lt_i16_e32 vcc_lo, v13, v12
	v_cndmask_b32_e32 v8, v8, v11, vcc_lo
	v_cndmask_b32_e32 v7, v14, v7, vcc_lo
	v_cmp_ge_i32_e32 vcc_lo, v7, v8
	s_or_b32 s0, vcc_lo, s0
	s_andn2_b32 exec_lo, exec_lo, s0
	s_cbranch_execnz .LBB92_2
; %bb.3:
	s_or_b32 exec_lo, exec_lo, s0
.LBB92_4:
	s_or_b32 exec_lo, exec_lo, s1
	v_add_nc_u32_e32 v6, v4, v6
	v_add_nc_u32_e32 v9, v7, v5
	v_sub_nc_u32_e32 v10, v6, v7
	v_add_nc_u32_e32 v8, v0, v9
	v_cmp_le_i32_e32 vcc_lo, v4, v9
                                        ; implicit-def: $vgpr7
	v_add_nc_u32_e32 v11, v0, v10
	v_cmp_gt_i32_e64 s1, v3, v10
	ds_read_u8 v5, v8
	ds_read_u8 v6, v11
	s_waitcnt lgkmcnt(1)
	v_bfe_i32 v5, v5, 0, 8
	s_waitcnt lgkmcnt(0)
	v_bfe_i32 v6, v6, 0, 8
	v_cmp_lt_i16_e64 s0, v6, v5
	s_or_b32 s0, vcc_lo, s0
	s_and_b32 s0, s1, s0
	s_xor_b32 s1, s0, -1
	s_and_saveexec_b32 s2, s1
	s_xor_b32 s1, exec_lo, s2
; %bb.5:
	ds_read_u8 v7, v8 offset:1
                                        ; implicit-def: $vgpr11
; %bb.6:
	s_or_saveexec_b32 s1, s1
	v_mov_b32_e32 v8, v6
	s_xor_b32 exec_lo, exec_lo, s1
	s_cbranch_execz .LBB92_8
; %bb.7:
	ds_read_u8 v8, v11 offset:1
	s_waitcnt lgkmcnt(1)
	v_mov_b32_e32 v7, v5
.LBB92_8:
	s_or_b32 exec_lo, exec_lo, s1
	v_add_nc_u32_e32 v11, 1, v9
	v_add_nc_u32_e32 v13, 1, v10
	s_waitcnt lgkmcnt(0)
	v_cmp_lt_i16_sdwa s2, sext(v8), sext(v7) src0_sel:BYTE_0 src1_sel:BYTE_0
	v_cndmask_b32_e64 v12, v11, v9, s0
	v_cndmask_b32_e64 v11, v10, v13, s0
                                        ; implicit-def: $vgpr9
	v_cmp_ge_i32_e32 vcc_lo, v12, v4
	v_cmp_lt_i32_e64 s1, v11, v3
	s_or_b32 s2, vcc_lo, s2
	s_and_b32 s1, s1, s2
	s_xor_b32 s2, s1, -1
	s_and_saveexec_b32 s3, s2
	s_xor_b32 s2, exec_lo, s3
; %bb.9:
	v_add_nc_u32_e32 v9, v0, v12
	ds_read_u8 v9, v9 offset:1
; %bb.10:
	s_or_saveexec_b32 s2, s2
	v_mov_b32_e32 v10, v8
	s_xor_b32 exec_lo, exec_lo, s2
	s_cbranch_execz .LBB92_12
; %bb.11:
	s_waitcnt lgkmcnt(0)
	v_add_nc_u32_e32 v9, v0, v11
	ds_read_u8 v10, v9 offset:1
	v_mov_b32_e32 v9, v7
.LBB92_12:
	s_or_b32 exec_lo, exec_lo, s2
	v_add_nc_u32_e32 v13, 1, v12
	v_add_nc_u32_e32 v15, 1, v11
	s_waitcnt lgkmcnt(0)
	v_cmp_lt_i16_sdwa s3, sext(v10), sext(v9) src0_sel:BYTE_0 src1_sel:BYTE_0
	v_cndmask_b32_e64 v14, v13, v12, s1
	v_cndmask_b32_e64 v13, v11, v15, s1
                                        ; implicit-def: $vgpr11
	v_cmp_ge_i32_e32 vcc_lo, v14, v4
	v_cmp_lt_i32_e64 s2, v13, v3
	s_or_b32 s3, vcc_lo, s3
	s_and_b32 s2, s2, s3
	s_xor_b32 s3, s2, -1
	s_and_saveexec_b32 s4, s3
	s_xor_b32 s3, exec_lo, s4
; %bb.13:
	v_add_nc_u32_e32 v11, v0, v14
	ds_read_u8 v11, v11 offset:1
; %bb.14:
	s_or_saveexec_b32 s3, s3
	v_mov_b32_e32 v12, v10
	s_xor_b32 exec_lo, exec_lo, s3
	s_cbranch_execz .LBB92_16
; %bb.15:
	s_waitcnt lgkmcnt(0)
	v_add_nc_u32_e32 v11, v0, v13
	ds_read_u8 v12, v11 offset:1
	v_mov_b32_e32 v11, v9
.LBB92_16:
	s_or_b32 exec_lo, exec_lo, s3
	v_add_nc_u32_e32 v15, 1, v14
	v_add_nc_u32_e32 v17, 1, v13
	s_waitcnt lgkmcnt(0)
	v_cmp_lt_i16_sdwa s4, sext(v12), sext(v11) src0_sel:BYTE_0 src1_sel:BYTE_0
	v_cndmask_b32_e64 v16, v15, v14, s2
	v_cndmask_b32_e64 v15, v13, v17, s2
                                        ; implicit-def: $vgpr13
	v_cmp_ge_i32_e32 vcc_lo, v16, v4
	v_cmp_lt_i32_e64 s3, v15, v3
	s_or_b32 s4, vcc_lo, s4
	s_and_b32 s3, s3, s4
	s_xor_b32 s4, s3, -1
	s_and_saveexec_b32 s5, s4
	s_xor_b32 s4, exec_lo, s5
; %bb.17:
	v_add_nc_u32_e32 v13, v0, v16
	ds_read_u8 v13, v13 offset:1
; %bb.18:
	s_or_saveexec_b32 s4, s4
	v_mov_b32_e32 v14, v12
	s_xor_b32 exec_lo, exec_lo, s4
	s_cbranch_execz .LBB92_20
; %bb.19:
	s_waitcnt lgkmcnt(0)
	v_add_nc_u32_e32 v13, v0, v15
	ds_read_u8 v14, v13 offset:1
	v_mov_b32_e32 v13, v11
.LBB92_20:
	s_or_b32 exec_lo, exec_lo, s4
	v_add_nc_u32_e32 v17, 1, v16
	v_add_nc_u32_e32 v19, 1, v15
	s_waitcnt lgkmcnt(0)
	v_cmp_lt_i16_sdwa s5, sext(v14), sext(v13) src0_sel:BYTE_0 src1_sel:BYTE_0
	v_cndmask_b32_e64 v18, v17, v16, s3
	v_cndmask_b32_e64 v17, v15, v19, s3
                                        ; implicit-def: $vgpr15
	v_cmp_ge_i32_e32 vcc_lo, v18, v4
	v_cmp_lt_i32_e64 s4, v17, v3
	s_or_b32 s5, vcc_lo, s5
	s_and_b32 s4, s4, s5
	s_xor_b32 s5, s4, -1
	s_and_saveexec_b32 s6, s5
	s_xor_b32 s5, exec_lo, s6
; %bb.21:
	v_add_nc_u32_e32 v15, v0, v18
	ds_read_u8 v15, v15 offset:1
; %bb.22:
	s_or_saveexec_b32 s5, s5
	v_mov_b32_e32 v16, v14
	s_xor_b32 exec_lo, exec_lo, s5
	s_cbranch_execz .LBB92_24
; %bb.23:
	s_waitcnt lgkmcnt(0)
	v_add_nc_u32_e32 v15, v0, v17
	ds_read_u8 v16, v15 offset:1
	v_mov_b32_e32 v15, v13
.LBB92_24:
	s_or_b32 exec_lo, exec_lo, s5
	v_add_nc_u32_e32 v19, 1, v18
	v_add_nc_u32_e32 v20, 1, v17
	s_waitcnt lgkmcnt(0)
	v_cmp_lt_i16_sdwa s6, sext(v16), sext(v15) src0_sel:BYTE_0 src1_sel:BYTE_0
	v_cndmask_b32_e64 v19, v19, v18, s4
	v_cndmask_b32_e64 v17, v17, v20, s4
                                        ; implicit-def: $vgpr18
	v_cmp_ge_i32_e32 vcc_lo, v19, v4
	v_cmp_lt_i32_e64 s5, v17, v3
	s_or_b32 s6, vcc_lo, s6
	s_and_b32 vcc_lo, s5, s6
	s_xor_b32 s5, vcc_lo, -1
	s_and_saveexec_b32 s6, s5
	s_xor_b32 s5, exec_lo, s6
; %bb.25:
	v_add_nc_u32_e32 v18, v0, v19
	ds_read_u8 v18, v18 offset:1
; %bb.26:
	s_or_saveexec_b32 s5, s5
	v_mov_b32_e32 v20, v16
	s_xor_b32 exec_lo, exec_lo, s5
	s_cbranch_execz .LBB92_28
; %bb.27:
	s_waitcnt lgkmcnt(0)
	v_add_nc_u32_e32 v18, v0, v17
	ds_read_u8 v20, v18 offset:1
	v_mov_b32_e32 v18, v15
.LBB92_28:
	s_or_b32 exec_lo, exec_lo, s5
	v_add_nc_u32_e32 v21, 1, v19
	v_add_nc_u32_e32 v22, 1, v17
	s_waitcnt lgkmcnt(0)
	v_cmp_lt_i16_sdwa s8, sext(v20), sext(v18) src0_sel:BYTE_0 src1_sel:BYTE_0
	v_cndmask_b32_e32 v21, v21, v19, vcc_lo
	v_cndmask_b32_e32 v22, v17, v22, vcc_lo
                                        ; implicit-def: $vgpr17
	v_cmp_ge_i32_e64 s5, v21, v4
	v_cmp_lt_i32_e64 s6, v22, v3
	s_or_b32 s5, s5, s8
	s_and_b32 s5, s6, s5
	s_xor_b32 s6, s5, -1
	s_and_saveexec_b32 s8, s6
	s_xor_b32 s6, exec_lo, s8
; %bb.29:
	v_add_nc_u32_e32 v17, v0, v21
	ds_read_u8 v17, v17 offset:1
; %bb.30:
	s_or_saveexec_b32 s6, s6
	v_mov_b32_e32 v19, v20
	s_xor_b32 exec_lo, exec_lo, s6
	s_cbranch_execz .LBB92_32
; %bb.31:
	s_waitcnt lgkmcnt(0)
	v_add_nc_u32_e32 v17, v0, v22
	ds_read_u8 v19, v17 offset:1
	v_mov_b32_e32 v17, v18
.LBB92_32:
	s_or_b32 exec_lo, exec_lo, s6
	v_add_nc_u32_e32 v24, 1, v21
	v_add_nc_u32_e32 v23, 1, v22
	v_cndmask_b32_e64 v18, v18, v20, s5
	v_cndmask_b32_sdwa v15, v15, v16, vcc_lo dst_sel:BYTE_1 dst_unused:UNUSED_PAD src0_sel:DWORD src1_sel:DWORD
	s_mov_b32 vcc_lo, s3
	v_cndmask_b32_e64 v21, v24, v21, s5
	v_cndmask_b32_e64 v20, v22, v23, s5
	v_cndmask_b32_sdwa v11, v11, v12, vcc_lo dst_sel:BYTE_1 dst_unused:UNUSED_PAD src0_sel:DWORD src1_sel:DWORD
	v_cndmask_b32_e64 v9, v9, v10, s2
	s_waitcnt lgkmcnt(0)
	v_cmp_lt_i16_sdwa s2, sext(v19), sext(v17) src0_sel:BYTE_0 src1_sel:BYTE_0
	v_cmp_ge_i32_e32 vcc_lo, v21, v4
	v_cndmask_b32_e64 v4, v7, v8, s1
	v_cndmask_b32_e64 v8, v5, v6, s0
	v_cmp_lt_i32_e64 s0, v20, v3
	v_and_b32_e32 v7, 0xe0, v2
	s_or_b32 s1, vcc_lo, s2
	v_lshlrev_b16 v10, 8, v4
	v_cndmask_b32_e64 v13, v13, v14, s4
	s_and_b32 vcc_lo, s0, s1
	v_or_b32_e32 v5, 16, v7
	v_add_nc_u32_e32 v4, 32, v7
	v_cndmask_b32_e32 v12, v17, v19, vcc_lo
	v_and_b32_e32 v6, 24, v2
	v_or_b32_sdwa v8, v8, v10 dst_sel:DWORD dst_unused:UNUSED_PAD src0_sel:BYTE_0 src1_sel:DWORD
	v_or_b32_sdwa v9, v9, v11 dst_sel:WORD_1 dst_unused:UNUSED_PAD src0_sel:BYTE_0 src1_sel:DWORD
	v_sub_nc_u32_e32 v14, v4, v5
	v_lshlrev_b16 v10, 8, v12
	v_or_b32_sdwa v11, v13, v15 dst_sel:DWORD dst_unused:UNUSED_PAD src0_sel:BYTE_0 src1_sel:DWORD
	v_sub_nc_u32_e32 v13, v5, v7
	v_add_nc_u32_e32 v3, v0, v2
	v_sub_nc_u32_e32 v12, v6, v14
	v_or_b32_sdwa v15, v18, v10 dst_sel:WORD_1 dst_unused:UNUSED_PAD src0_sel:BYTE_0 src1_sel:DWORD
	v_cmp_ge_i32_e32 vcc_lo, v6, v14
	v_or_b32_sdwa v10, v8, v9 dst_sel:DWORD dst_unused:UNUSED_PAD src0_sel:WORD_0 src1_sel:DWORD
	v_min_i32_e32 v9, v6, v13
	s_mov_b32 s1, 0
	v_or_b32_sdwa v11, v11, v15 dst_sel:DWORD dst_unused:UNUSED_PAD src0_sel:WORD_0 src1_sel:DWORD
	v_cndmask_b32_e32 v8, 0, v12, vcc_lo
	s_mov_b32 s0, exec_lo
	; wave barrier
	ds_write_b64 v3, v[10:11]
	; wave barrier
	v_cmpx_lt_i32_e64 v8, v9
	s_cbranch_execz .LBB92_36
; %bb.33:
	v_add_nc_u32_e32 v10, v0, v7
	v_add3_u32 v11, v0, v5, v6
	.p2align	6
.LBB92_34:                              ; =>This Inner Loop Header: Depth=1
	v_sub_nc_u32_e32 v12, v9, v8
	v_lshrrev_b32_e32 v12, 1, v12
	v_add_nc_u32_e32 v12, v12, v8
	v_add_nc_u32_e32 v13, v10, v12
	v_xad_u32 v14, v12, -1, v11
	v_add_nc_u32_e32 v15, 1, v12
	ds_read_i8 v13, v13
	ds_read_i8 v14, v14
	s_waitcnt lgkmcnt(0)
	v_cmp_lt_i16_e32 vcc_lo, v14, v13
	v_cndmask_b32_e32 v9, v9, v12, vcc_lo
	v_cndmask_b32_e32 v8, v15, v8, vcc_lo
	v_cmp_ge_i32_e32 vcc_lo, v8, v9
	s_or_b32 s1, vcc_lo, s1
	s_andn2_b32 exec_lo, exec_lo, s1
	s_cbranch_execnz .LBB92_34
; %bb.35:
	s_or_b32 exec_lo, exec_lo, s1
.LBB92_36:
	s_or_b32 exec_lo, exec_lo, s0
	v_add_nc_u32_e32 v6, v5, v6
	v_add_nc_u32_e32 v9, v8, v7
	v_sub_nc_u32_e32 v11, v6, v8
	v_add_nc_u32_e32 v10, v0, v9
	v_cmp_le_i32_e32 vcc_lo, v5, v9
                                        ; implicit-def: $vgpr8
	v_add_nc_u32_e32 v12, v0, v11
	v_cmp_gt_i32_e64 s1, v4, v11
	ds_read_u8 v6, v10
	ds_read_u8 v7, v12
	s_waitcnt lgkmcnt(1)
	v_bfe_i32 v6, v6, 0, 8
	s_waitcnt lgkmcnt(0)
	v_bfe_i32 v7, v7, 0, 8
	v_cmp_lt_i16_e64 s0, v7, v6
	s_or_b32 s0, vcc_lo, s0
	s_and_b32 s0, s1, s0
	s_xor_b32 s1, s0, -1
	s_and_saveexec_b32 s2, s1
	s_xor_b32 s1, exec_lo, s2
; %bb.37:
	ds_read_u8 v8, v10 offset:1
                                        ; implicit-def: $vgpr12
; %bb.38:
	s_or_saveexec_b32 s1, s1
	v_mov_b32_e32 v10, v7
	s_xor_b32 exec_lo, exec_lo, s1
	s_cbranch_execz .LBB92_40
; %bb.39:
	ds_read_u8 v10, v12 offset:1
	s_waitcnt lgkmcnt(1)
	v_mov_b32_e32 v8, v6
.LBB92_40:
	s_or_b32 exec_lo, exec_lo, s1
	v_add_nc_u32_e32 v12, 1, v9
	v_add_nc_u32_e32 v14, 1, v11
	s_waitcnt lgkmcnt(0)
	v_cmp_lt_i16_sdwa s2, sext(v10), sext(v8) src0_sel:BYTE_0 src1_sel:BYTE_0
	v_cndmask_b32_e64 v13, v12, v9, s0
	v_cndmask_b32_e64 v12, v11, v14, s0
                                        ; implicit-def: $vgpr9
	v_cmp_ge_i32_e32 vcc_lo, v13, v5
	v_cmp_lt_i32_e64 s1, v12, v4
	s_or_b32 s2, vcc_lo, s2
	s_and_b32 s1, s1, s2
	s_xor_b32 s2, s1, -1
	s_and_saveexec_b32 s3, s2
	s_xor_b32 s2, exec_lo, s3
; %bb.41:
	v_add_nc_u32_e32 v9, v0, v13
	ds_read_u8 v9, v9 offset:1
; %bb.42:
	s_or_saveexec_b32 s2, s2
	v_mov_b32_e32 v11, v10
	s_xor_b32 exec_lo, exec_lo, s2
	s_cbranch_execz .LBB92_44
; %bb.43:
	s_waitcnt lgkmcnt(0)
	v_add_nc_u32_e32 v9, v0, v12
	ds_read_u8 v11, v9 offset:1
	v_mov_b32_e32 v9, v8
.LBB92_44:
	s_or_b32 exec_lo, exec_lo, s2
	v_add_nc_u32_e32 v14, 1, v13
	v_add_nc_u32_e32 v16, 1, v12
	s_waitcnt lgkmcnt(0)
	v_cmp_lt_i16_sdwa s3, sext(v11), sext(v9) src0_sel:BYTE_0 src1_sel:BYTE_0
	v_cndmask_b32_e64 v15, v14, v13, s1
	v_cndmask_b32_e64 v14, v12, v16, s1
                                        ; implicit-def: $vgpr12
	v_cmp_ge_i32_e32 vcc_lo, v15, v5
	v_cmp_lt_i32_e64 s2, v14, v4
	s_or_b32 s3, vcc_lo, s3
	s_and_b32 s2, s2, s3
	s_xor_b32 s3, s2, -1
	s_and_saveexec_b32 s4, s3
	s_xor_b32 s3, exec_lo, s4
; %bb.45:
	v_add_nc_u32_e32 v12, v0, v15
	ds_read_u8 v12, v12 offset:1
; %bb.46:
	s_or_saveexec_b32 s3, s3
	v_mov_b32_e32 v13, v11
	s_xor_b32 exec_lo, exec_lo, s3
	s_cbranch_execz .LBB92_48
; %bb.47:
	s_waitcnt lgkmcnt(0)
	v_add_nc_u32_e32 v12, v0, v14
	ds_read_u8 v13, v12 offset:1
	v_mov_b32_e32 v12, v9
.LBB92_48:
	s_or_b32 exec_lo, exec_lo, s3
	v_add_nc_u32_e32 v16, 1, v15
	v_add_nc_u32_e32 v18, 1, v14
	s_waitcnt lgkmcnt(0)
	v_cmp_lt_i16_sdwa s4, sext(v13), sext(v12) src0_sel:BYTE_0 src1_sel:BYTE_0
	v_cndmask_b32_e64 v17, v16, v15, s2
	v_cndmask_b32_e64 v16, v14, v18, s2
                                        ; implicit-def: $vgpr14
	v_cmp_ge_i32_e32 vcc_lo, v17, v5
	v_cmp_lt_i32_e64 s3, v16, v4
	s_or_b32 s4, vcc_lo, s4
	s_and_b32 s3, s3, s4
	s_xor_b32 s4, s3, -1
	s_and_saveexec_b32 s5, s4
	s_xor_b32 s4, exec_lo, s5
; %bb.49:
	v_add_nc_u32_e32 v14, v0, v17
	ds_read_u8 v14, v14 offset:1
; %bb.50:
	s_or_saveexec_b32 s4, s4
	v_mov_b32_e32 v15, v13
	s_xor_b32 exec_lo, exec_lo, s4
	s_cbranch_execz .LBB92_52
; %bb.51:
	s_waitcnt lgkmcnt(0)
	v_add_nc_u32_e32 v14, v0, v16
	ds_read_u8 v15, v14 offset:1
	v_mov_b32_e32 v14, v12
.LBB92_52:
	s_or_b32 exec_lo, exec_lo, s4
	v_add_nc_u32_e32 v18, 1, v17
	v_add_nc_u32_e32 v20, 1, v16
	s_waitcnt lgkmcnt(0)
	v_cmp_lt_i16_sdwa s5, sext(v15), sext(v14) src0_sel:BYTE_0 src1_sel:BYTE_0
	v_cndmask_b32_e64 v19, v18, v17, s3
	v_cndmask_b32_e64 v18, v16, v20, s3
                                        ; implicit-def: $vgpr16
	v_cmp_ge_i32_e32 vcc_lo, v19, v5
	v_cmp_lt_i32_e64 s4, v18, v4
	s_or_b32 s5, vcc_lo, s5
	s_and_b32 s4, s4, s5
	s_xor_b32 s5, s4, -1
	s_and_saveexec_b32 s6, s5
	s_xor_b32 s5, exec_lo, s6
; %bb.53:
	v_add_nc_u32_e32 v16, v0, v19
	ds_read_u8 v16, v16 offset:1
; %bb.54:
	s_or_saveexec_b32 s5, s5
	v_mov_b32_e32 v17, v15
	s_xor_b32 exec_lo, exec_lo, s5
	s_cbranch_execz .LBB92_56
; %bb.55:
	s_waitcnt lgkmcnt(0)
	v_add_nc_u32_e32 v16, v0, v18
	ds_read_u8 v17, v16 offset:1
	v_mov_b32_e32 v16, v14
.LBB92_56:
	s_or_b32 exec_lo, exec_lo, s5
	v_add_nc_u32_e32 v20, 1, v19
	v_add_nc_u32_e32 v21, 1, v18
	s_waitcnt lgkmcnt(0)
	v_cmp_lt_i16_sdwa s6, sext(v17), sext(v16) src0_sel:BYTE_0 src1_sel:BYTE_0
	v_cndmask_b32_e64 v20, v20, v19, s4
	v_cndmask_b32_e64 v18, v18, v21, s4
                                        ; implicit-def: $vgpr19
	v_cmp_ge_i32_e32 vcc_lo, v20, v5
	v_cmp_lt_i32_e64 s5, v18, v4
	s_or_b32 s6, vcc_lo, s6
	s_and_b32 vcc_lo, s5, s6
	s_xor_b32 s5, vcc_lo, -1
	s_and_saveexec_b32 s6, s5
	s_xor_b32 s5, exec_lo, s6
; %bb.57:
	v_add_nc_u32_e32 v19, v0, v20
	ds_read_u8 v19, v19 offset:1
; %bb.58:
	s_or_saveexec_b32 s5, s5
	v_mov_b32_e32 v21, v17
	s_xor_b32 exec_lo, exec_lo, s5
	s_cbranch_execz .LBB92_60
; %bb.59:
	s_waitcnt lgkmcnt(0)
	v_add_nc_u32_e32 v19, v0, v18
	ds_read_u8 v21, v19 offset:1
	v_mov_b32_e32 v19, v16
.LBB92_60:
	s_or_b32 exec_lo, exec_lo, s5
	v_add_nc_u32_e32 v22, 1, v20
	v_add_nc_u32_e32 v24, 1, v18
	s_waitcnt lgkmcnt(0)
	v_cmp_lt_i16_sdwa s8, sext(v21), sext(v19) src0_sel:BYTE_0 src1_sel:BYTE_0
	v_cndmask_b32_e32 v23, v22, v20, vcc_lo
	v_cndmask_b32_e32 v22, v18, v24, vcc_lo
                                        ; implicit-def: $vgpr18
	v_cmp_ge_i32_e64 s5, v23, v5
	v_cmp_lt_i32_e64 s6, v22, v4
	s_or_b32 s5, s5, s8
	s_and_b32 s5, s6, s5
	s_xor_b32 s6, s5, -1
	s_and_saveexec_b32 s8, s6
	s_xor_b32 s6, exec_lo, s8
; %bb.61:
	v_add_nc_u32_e32 v18, v0, v23
	ds_read_u8 v18, v18 offset:1
; %bb.62:
	s_or_saveexec_b32 s6, s6
	v_mov_b32_e32 v20, v21
	s_xor_b32 exec_lo, exec_lo, s6
	s_cbranch_execz .LBB92_64
; %bb.63:
	s_waitcnt lgkmcnt(0)
	v_add_nc_u32_e32 v18, v0, v22
	ds_read_u8 v20, v18 offset:1
	v_mov_b32_e32 v18, v19
.LBB92_64:
	s_or_b32 exec_lo, exec_lo, s6
	v_add_nc_u32_e32 v24, 1, v23
	v_cndmask_b32_e64 v19, v19, v21, s5
	v_add_nc_u32_e32 v21, 1, v22
	v_cndmask_b32_sdwa v16, v16, v17, vcc_lo dst_sel:BYTE_1 dst_unused:UNUSED_PAD src0_sel:DWORD src1_sel:DWORD
	s_mov_b32 vcc_lo, s3
	v_cndmask_b32_e64 v17, v24, v23, s5
	v_cndmask_b32_sdwa v12, v12, v13, vcc_lo dst_sel:BYTE_1 dst_unused:UNUSED_PAD src0_sel:DWORD src1_sel:DWORD
	v_cndmask_b32_e64 v13, v22, v21, s5
	s_waitcnt lgkmcnt(0)
	v_cmp_lt_i16_sdwa s3, sext(v20), sext(v18) src0_sel:BYTE_0 src1_sel:BYTE_0
	v_cndmask_b32_e64 v7, v6, v7, s0
	v_cmp_ge_i32_e32 vcc_lo, v17, v5
	v_cndmask_b32_e64 v5, v8, v10, s1
	v_cmp_lt_i32_e64 s0, v13, v4
	v_and_b32_e32 v8, 0xc0, v2
	v_cndmask_b32_e64 v14, v14, v15, s4
	s_or_b32 s1, vcc_lo, s3
	v_lshlrev_b16 v10, 8, v5
	s_and_b32 vcc_lo, s0, s1
	v_or_b32_e32 v5, 32, v8
	v_add_nc_u32_e32 v4, 64, v8
	v_cndmask_b32_e32 v13, v18, v20, vcc_lo
	v_cndmask_b32_e64 v9, v9, v11, s2
	v_and_b32_e32 v6, 56, v2
	v_or_b32_sdwa v7, v7, v10 dst_sel:DWORD dst_unused:UNUSED_PAD src0_sel:BYTE_0 src1_sel:DWORD
	v_sub_nc_u32_e32 v11, v4, v5
	v_lshlrev_b16 v10, 8, v13
	v_or_b32_sdwa v9, v9, v12 dst_sel:WORD_1 dst_unused:UNUSED_PAD src0_sel:BYTE_0 src1_sel:DWORD
	v_or_b32_sdwa v12, v14, v16 dst_sel:DWORD dst_unused:UNUSED_PAD src0_sel:BYTE_0 src1_sel:DWORD
	v_sub_nc_u32_e32 v14, v5, v8
	v_sub_nc_u32_e32 v13, v6, v11
	v_or_b32_sdwa v15, v19, v10 dst_sel:WORD_1 dst_unused:UNUSED_PAD src0_sel:BYTE_0 src1_sel:DWORD
	v_cmp_ge_i32_e32 vcc_lo, v6, v11
	v_or_b32_sdwa v10, v7, v9 dst_sel:DWORD dst_unused:UNUSED_PAD src0_sel:WORD_0 src1_sel:DWORD
	v_min_i32_e32 v9, v6, v14
	s_mov_b32 s1, 0
	v_or_b32_sdwa v11, v12, v15 dst_sel:DWORD dst_unused:UNUSED_PAD src0_sel:WORD_0 src1_sel:DWORD
	v_cndmask_b32_e32 v7, 0, v13, vcc_lo
	s_mov_b32 s0, exec_lo
	; wave barrier
	ds_write_b64 v3, v[10:11]
	; wave barrier
	v_cmpx_lt_i32_e64 v7, v9
	s_cbranch_execz .LBB92_68
; %bb.65:
	v_add_nc_u32_e32 v10, v0, v8
	v_add3_u32 v11, v0, v5, v6
	.p2align	6
.LBB92_66:                              ; =>This Inner Loop Header: Depth=1
	v_sub_nc_u32_e32 v12, v9, v7
	v_lshrrev_b32_e32 v12, 1, v12
	v_add_nc_u32_e32 v12, v12, v7
	v_add_nc_u32_e32 v13, v10, v12
	v_xad_u32 v14, v12, -1, v11
	v_add_nc_u32_e32 v15, 1, v12
	ds_read_i8 v13, v13
	ds_read_i8 v14, v14
	s_waitcnt lgkmcnt(0)
	v_cmp_lt_i16_e32 vcc_lo, v14, v13
	v_cndmask_b32_e32 v9, v9, v12, vcc_lo
	v_cndmask_b32_e32 v7, v15, v7, vcc_lo
	v_cmp_ge_i32_e32 vcc_lo, v7, v9
	s_or_b32 s1, vcc_lo, s1
	s_andn2_b32 exec_lo, exec_lo, s1
	s_cbranch_execnz .LBB92_66
; %bb.67:
	s_or_b32 exec_lo, exec_lo, s1
.LBB92_68:
	s_or_b32 exec_lo, exec_lo, s0
	v_add_nc_u32_e32 v6, v5, v6
	v_add_nc_u32_e32 v9, v7, v8
                                        ; implicit-def: $vgpr8
	v_sub_nc_u32_e32 v11, v6, v7
	v_add_nc_u32_e32 v10, v0, v9
	v_cmp_le_i32_e32 vcc_lo, v5, v9
	v_add_nc_u32_e32 v12, v0, v11
	v_cmp_gt_i32_e64 s1, v4, v11
	ds_read_u8 v6, v10
	ds_read_u8 v7, v12
	s_waitcnt lgkmcnt(1)
	v_bfe_i32 v6, v6, 0, 8
	s_waitcnt lgkmcnt(0)
	v_bfe_i32 v7, v7, 0, 8
	v_cmp_lt_i16_e64 s0, v7, v6
	s_or_b32 s0, vcc_lo, s0
	s_and_b32 s0, s1, s0
	s_xor_b32 s1, s0, -1
	s_and_saveexec_b32 s2, s1
	s_xor_b32 s1, exec_lo, s2
; %bb.69:
	ds_read_u8 v8, v10 offset:1
                                        ; implicit-def: $vgpr12
; %bb.70:
	s_or_saveexec_b32 s1, s1
	v_mov_b32_e32 v10, v7
	s_xor_b32 exec_lo, exec_lo, s1
	s_cbranch_execz .LBB92_72
; %bb.71:
	ds_read_u8 v10, v12 offset:1
	s_waitcnt lgkmcnt(1)
	v_mov_b32_e32 v8, v6
.LBB92_72:
	s_or_b32 exec_lo, exec_lo, s1
	v_add_nc_u32_e32 v12, 1, v9
	v_add_nc_u32_e32 v14, 1, v11
	s_waitcnt lgkmcnt(0)
	v_cmp_lt_i16_sdwa s2, sext(v10), sext(v8) src0_sel:BYTE_0 src1_sel:BYTE_0
	v_cndmask_b32_e64 v13, v12, v9, s0
	v_cndmask_b32_e64 v12, v11, v14, s0
                                        ; implicit-def: $vgpr9
	v_cmp_ge_i32_e32 vcc_lo, v13, v5
	v_cmp_lt_i32_e64 s1, v12, v4
	s_or_b32 s2, vcc_lo, s2
	s_and_b32 s1, s1, s2
	s_xor_b32 s2, s1, -1
	s_and_saveexec_b32 s3, s2
	s_xor_b32 s2, exec_lo, s3
; %bb.73:
	v_add_nc_u32_e32 v9, v0, v13
	ds_read_u8 v9, v9 offset:1
; %bb.74:
	s_or_saveexec_b32 s2, s2
	v_mov_b32_e32 v11, v10
	s_xor_b32 exec_lo, exec_lo, s2
	s_cbranch_execz .LBB92_76
; %bb.75:
	s_waitcnt lgkmcnt(0)
	v_add_nc_u32_e32 v9, v0, v12
	ds_read_u8 v11, v9 offset:1
	v_mov_b32_e32 v9, v8
.LBB92_76:
	s_or_b32 exec_lo, exec_lo, s2
	v_add_nc_u32_e32 v14, 1, v13
	v_add_nc_u32_e32 v16, 1, v12
	s_waitcnt lgkmcnt(0)
	v_cmp_lt_i16_sdwa s3, sext(v11), sext(v9) src0_sel:BYTE_0 src1_sel:BYTE_0
	v_cndmask_b32_e64 v15, v14, v13, s1
	v_cndmask_b32_e64 v14, v12, v16, s1
                                        ; implicit-def: $vgpr12
	v_cmp_ge_i32_e32 vcc_lo, v15, v5
	v_cmp_lt_i32_e64 s2, v14, v4
	s_or_b32 s3, vcc_lo, s3
	s_and_b32 s2, s2, s3
	s_xor_b32 s3, s2, -1
	s_and_saveexec_b32 s4, s3
	s_xor_b32 s3, exec_lo, s4
; %bb.77:
	v_add_nc_u32_e32 v12, v0, v15
	ds_read_u8 v12, v12 offset:1
; %bb.78:
	s_or_saveexec_b32 s3, s3
	v_mov_b32_e32 v13, v11
	s_xor_b32 exec_lo, exec_lo, s3
	s_cbranch_execz .LBB92_80
; %bb.79:
	s_waitcnt lgkmcnt(0)
	v_add_nc_u32_e32 v12, v0, v14
	ds_read_u8 v13, v12 offset:1
	v_mov_b32_e32 v12, v9
.LBB92_80:
	s_or_b32 exec_lo, exec_lo, s3
	v_add_nc_u32_e32 v16, 1, v15
	v_add_nc_u32_e32 v18, 1, v14
	s_waitcnt lgkmcnt(0)
	v_cmp_lt_i16_sdwa s4, sext(v13), sext(v12) src0_sel:BYTE_0 src1_sel:BYTE_0
	v_cndmask_b32_e64 v17, v16, v15, s2
	v_cndmask_b32_e64 v16, v14, v18, s2
                                        ; implicit-def: $vgpr14
	v_cmp_ge_i32_e32 vcc_lo, v17, v5
	v_cmp_lt_i32_e64 s3, v16, v4
	s_or_b32 s4, vcc_lo, s4
	s_and_b32 s3, s3, s4
	s_xor_b32 s4, s3, -1
	s_and_saveexec_b32 s5, s4
	s_xor_b32 s4, exec_lo, s5
; %bb.81:
	v_add_nc_u32_e32 v14, v0, v17
	ds_read_u8 v14, v14 offset:1
; %bb.82:
	s_or_saveexec_b32 s4, s4
	v_mov_b32_e32 v15, v13
	s_xor_b32 exec_lo, exec_lo, s4
	s_cbranch_execz .LBB92_84
; %bb.83:
	s_waitcnt lgkmcnt(0)
	v_add_nc_u32_e32 v14, v0, v16
	ds_read_u8 v15, v14 offset:1
	v_mov_b32_e32 v14, v12
.LBB92_84:
	s_or_b32 exec_lo, exec_lo, s4
	v_add_nc_u32_e32 v18, 1, v17
	v_add_nc_u32_e32 v20, 1, v16
	s_waitcnt lgkmcnt(0)
	v_cmp_lt_i16_sdwa s5, sext(v15), sext(v14) src0_sel:BYTE_0 src1_sel:BYTE_0
	v_cndmask_b32_e64 v19, v18, v17, s3
	v_cndmask_b32_e64 v18, v16, v20, s3
                                        ; implicit-def: $vgpr16
	v_cmp_ge_i32_e32 vcc_lo, v19, v5
	v_cmp_lt_i32_e64 s4, v18, v4
	s_or_b32 s5, vcc_lo, s5
	s_and_b32 s4, s4, s5
	s_xor_b32 s5, s4, -1
	s_and_saveexec_b32 s6, s5
	s_xor_b32 s5, exec_lo, s6
; %bb.85:
	v_add_nc_u32_e32 v16, v0, v19
	ds_read_u8 v16, v16 offset:1
; %bb.86:
	s_or_saveexec_b32 s5, s5
	v_mov_b32_e32 v17, v15
	s_xor_b32 exec_lo, exec_lo, s5
	s_cbranch_execz .LBB92_88
; %bb.87:
	s_waitcnt lgkmcnt(0)
	v_add_nc_u32_e32 v16, v0, v18
	ds_read_u8 v17, v16 offset:1
	v_mov_b32_e32 v16, v14
.LBB92_88:
	s_or_b32 exec_lo, exec_lo, s5
	v_add_nc_u32_e32 v20, 1, v19
	v_add_nc_u32_e32 v21, 1, v18
	s_waitcnt lgkmcnt(0)
	v_cmp_lt_i16_sdwa s6, sext(v17), sext(v16) src0_sel:BYTE_0 src1_sel:BYTE_0
	v_cndmask_b32_e64 v20, v20, v19, s4
	v_cndmask_b32_e64 v18, v18, v21, s4
                                        ; implicit-def: $vgpr19
	v_cmp_ge_i32_e32 vcc_lo, v20, v5
	v_cmp_lt_i32_e64 s5, v18, v4
	s_or_b32 s6, vcc_lo, s6
	s_and_b32 vcc_lo, s5, s6
	s_xor_b32 s5, vcc_lo, -1
	s_and_saveexec_b32 s6, s5
	s_xor_b32 s5, exec_lo, s6
; %bb.89:
	v_add_nc_u32_e32 v19, v0, v20
	ds_read_u8 v19, v19 offset:1
; %bb.90:
	s_or_saveexec_b32 s5, s5
	v_mov_b32_e32 v21, v17
	s_xor_b32 exec_lo, exec_lo, s5
	s_cbranch_execz .LBB92_92
; %bb.91:
	s_waitcnt lgkmcnt(0)
	v_add_nc_u32_e32 v19, v0, v18
	ds_read_u8 v21, v19 offset:1
	v_mov_b32_e32 v19, v16
.LBB92_92:
	s_or_b32 exec_lo, exec_lo, s5
	v_add_nc_u32_e32 v22, 1, v20
	v_add_nc_u32_e32 v24, 1, v18
	s_waitcnt lgkmcnt(0)
	v_cmp_lt_i16_sdwa s8, sext(v21), sext(v19) src0_sel:BYTE_0 src1_sel:BYTE_0
	v_cndmask_b32_e32 v23, v22, v20, vcc_lo
	v_cndmask_b32_e32 v22, v18, v24, vcc_lo
                                        ; implicit-def: $vgpr18
	v_cmp_ge_i32_e64 s5, v23, v5
	v_cmp_lt_i32_e64 s6, v22, v4
	s_or_b32 s5, s5, s8
	s_and_b32 s5, s6, s5
	s_xor_b32 s6, s5, -1
	s_and_saveexec_b32 s8, s6
	s_xor_b32 s6, exec_lo, s8
; %bb.93:
	v_add_nc_u32_e32 v18, v0, v23
	ds_read_u8 v18, v18 offset:1
; %bb.94:
	s_or_saveexec_b32 s6, s6
	v_mov_b32_e32 v20, v21
	s_xor_b32 exec_lo, exec_lo, s6
	s_cbranch_execz .LBB92_96
; %bb.95:
	s_waitcnt lgkmcnt(0)
	v_add_nc_u32_e32 v18, v0, v22
	ds_read_u8 v20, v18 offset:1
	v_mov_b32_e32 v18, v19
.LBB92_96:
	s_or_b32 exec_lo, exec_lo, s6
	v_add_nc_u32_e32 v24, 1, v23
	v_cndmask_b32_e64 v19, v19, v21, s5
	v_add_nc_u32_e32 v21, 1, v22
	v_cndmask_b32_sdwa v16, v16, v17, vcc_lo dst_sel:BYTE_1 dst_unused:UNUSED_PAD src0_sel:DWORD src1_sel:DWORD
	s_mov_b32 vcc_lo, s3
	v_cndmask_b32_e64 v17, v24, v23, s5
	v_cndmask_b32_sdwa v12, v12, v13, vcc_lo dst_sel:BYTE_1 dst_unused:UNUSED_PAD src0_sel:DWORD src1_sel:DWORD
	v_cndmask_b32_e64 v13, v22, v21, s5
	s_waitcnt lgkmcnt(0)
	v_cmp_lt_i16_sdwa s3, sext(v20), sext(v18) src0_sel:BYTE_0 src1_sel:BYTE_0
	v_cndmask_b32_e64 v7, v6, v7, s0
	v_cmp_ge_i32_e32 vcc_lo, v17, v5
	v_cndmask_b32_e64 v5, v8, v10, s1
	v_cmp_lt_i32_e64 s0, v13, v4
	v_and_b32_e32 v8, 0x80, v2
	v_cndmask_b32_e64 v14, v14, v15, s4
	s_or_b32 s1, vcc_lo, s3
	v_lshlrev_b16 v10, 8, v5
	s_and_b32 vcc_lo, s0, s1
	v_or_b32_e32 v5, 64, v8
	v_add_nc_u32_e32 v4, 0x80, v8
	v_cndmask_b32_e32 v13, v18, v20, vcc_lo
	v_cndmask_b32_e64 v9, v9, v11, s2
	v_and_b32_e32 v6, 0x78, v2
	v_or_b32_sdwa v7, v7, v10 dst_sel:DWORD dst_unused:UNUSED_PAD src0_sel:BYTE_0 src1_sel:DWORD
	v_sub_nc_u32_e32 v11, v4, v5
	v_lshlrev_b16 v10, 8, v13
	v_or_b32_sdwa v9, v9, v12 dst_sel:WORD_1 dst_unused:UNUSED_PAD src0_sel:BYTE_0 src1_sel:DWORD
	v_or_b32_sdwa v12, v14, v16 dst_sel:DWORD dst_unused:UNUSED_PAD src0_sel:BYTE_0 src1_sel:DWORD
	v_sub_nc_u32_e32 v14, v5, v8
	v_sub_nc_u32_e32 v13, v6, v11
	v_or_b32_sdwa v15, v19, v10 dst_sel:WORD_1 dst_unused:UNUSED_PAD src0_sel:BYTE_0 src1_sel:DWORD
	v_cmp_ge_i32_e32 vcc_lo, v6, v11
	v_or_b32_sdwa v10, v7, v9 dst_sel:DWORD dst_unused:UNUSED_PAD src0_sel:WORD_0 src1_sel:DWORD
	v_min_i32_e32 v9, v6, v14
	s_mov_b32 s1, 0
	v_or_b32_sdwa v11, v12, v15 dst_sel:DWORD dst_unused:UNUSED_PAD src0_sel:WORD_0 src1_sel:DWORD
	v_cndmask_b32_e32 v7, 0, v13, vcc_lo
	s_mov_b32 s0, exec_lo
	; wave barrier
	ds_write_b64 v3, v[10:11]
	; wave barrier
	v_cmpx_lt_i32_e64 v7, v9
	s_cbranch_execz .LBB92_100
; %bb.97:
	v_add_nc_u32_e32 v10, v0, v8
	v_add3_u32 v11, v0, v5, v6
	.p2align	6
.LBB92_98:                              ; =>This Inner Loop Header: Depth=1
	v_sub_nc_u32_e32 v12, v9, v7
	v_lshrrev_b32_e32 v12, 1, v12
	v_add_nc_u32_e32 v12, v12, v7
	v_add_nc_u32_e32 v13, v10, v12
	v_xad_u32 v14, v12, -1, v11
	v_add_nc_u32_e32 v15, 1, v12
	ds_read_i8 v13, v13
	ds_read_i8 v14, v14
	s_waitcnt lgkmcnt(0)
	v_cmp_lt_i16_e32 vcc_lo, v14, v13
	v_cndmask_b32_e32 v9, v9, v12, vcc_lo
	v_cndmask_b32_e32 v7, v15, v7, vcc_lo
	v_cmp_ge_i32_e32 vcc_lo, v7, v9
	s_or_b32 s1, vcc_lo, s1
	s_andn2_b32 exec_lo, exec_lo, s1
	s_cbranch_execnz .LBB92_98
; %bb.99:
	s_or_b32 exec_lo, exec_lo, s1
.LBB92_100:
	s_or_b32 exec_lo, exec_lo, s0
	v_add_nc_u32_e32 v6, v5, v6
	v_add_nc_u32_e32 v10, v7, v8
                                        ; implicit-def: $vgpr8
	v_sub_nc_u32_e32 v11, v6, v7
	v_add_nc_u32_e32 v9, v0, v10
	v_cmp_le_i32_e32 vcc_lo, v5, v10
	v_add_nc_u32_e32 v12, v0, v11
	v_cmp_gt_i32_e64 s1, v4, v11
	ds_read_u8 v6, v9
	ds_read_u8 v7, v12
	s_waitcnt lgkmcnt(1)
	v_bfe_i32 v6, v6, 0, 8
	s_waitcnt lgkmcnt(0)
	v_bfe_i32 v7, v7, 0, 8
	v_cmp_lt_i16_e64 s0, v7, v6
	s_or_b32 s0, vcc_lo, s0
	s_and_b32 s0, s1, s0
	s_xor_b32 s1, s0, -1
	s_and_saveexec_b32 s2, s1
	s_xor_b32 s1, exec_lo, s2
; %bb.101:
	ds_read_u8 v8, v9 offset:1
                                        ; implicit-def: $vgpr12
; %bb.102:
	s_or_saveexec_b32 s1, s1
	v_mov_b32_e32 v9, v7
	s_xor_b32 exec_lo, exec_lo, s1
	s_cbranch_execz .LBB92_104
; %bb.103:
	ds_read_u8 v9, v12 offset:1
	s_waitcnt lgkmcnt(1)
	v_mov_b32_e32 v8, v6
.LBB92_104:
	s_or_b32 exec_lo, exec_lo, s1
	v_add_nc_u32_e32 v12, 1, v10
	v_add_nc_u32_e32 v14, 1, v11
	s_waitcnt lgkmcnt(0)
	v_cmp_lt_i16_sdwa s2, sext(v9), sext(v8) src0_sel:BYTE_0 src1_sel:BYTE_0
	v_cndmask_b32_e64 v13, v12, v10, s0
	v_cndmask_b32_e64 v11, v11, v14, s0
                                        ; implicit-def: $vgpr10
	v_cmp_ge_i32_e32 vcc_lo, v13, v5
	v_cmp_lt_i32_e64 s1, v11, v4
	s_or_b32 s2, vcc_lo, s2
	s_and_b32 s1, s1, s2
	s_xor_b32 s2, s1, -1
	s_and_saveexec_b32 s3, s2
	s_xor_b32 s2, exec_lo, s3
; %bb.105:
	v_add_nc_u32_e32 v10, v0, v13
	ds_read_u8 v10, v10 offset:1
; %bb.106:
	s_or_saveexec_b32 s2, s2
	v_mov_b32_e32 v12, v9
	s_xor_b32 exec_lo, exec_lo, s2
	s_cbranch_execz .LBB92_108
; %bb.107:
	s_waitcnt lgkmcnt(0)
	v_add_nc_u32_e32 v10, v0, v11
	ds_read_u8 v12, v10 offset:1
	v_mov_b32_e32 v10, v8
.LBB92_108:
	s_or_b32 exec_lo, exec_lo, s2
	v_add_nc_u32_e32 v14, 1, v13
	v_add_nc_u32_e32 v16, 1, v11
	s_waitcnt lgkmcnt(0)
	v_cmp_lt_i16_sdwa s3, sext(v12), sext(v10) src0_sel:BYTE_0 src1_sel:BYTE_0
	v_cndmask_b32_e64 v15, v14, v13, s1
	v_cndmask_b32_e64 v14, v11, v16, s1
                                        ; implicit-def: $vgpr11
	v_cmp_ge_i32_e32 vcc_lo, v15, v5
	v_cmp_lt_i32_e64 s2, v14, v4
	s_or_b32 s3, vcc_lo, s3
	s_and_b32 s2, s2, s3
	s_xor_b32 s3, s2, -1
	s_and_saveexec_b32 s4, s3
	s_xor_b32 s3, exec_lo, s4
; %bb.109:
	v_add_nc_u32_e32 v11, v0, v15
	ds_read_u8 v11, v11 offset:1
; %bb.110:
	s_or_saveexec_b32 s3, s3
	v_mov_b32_e32 v13, v12
	s_xor_b32 exec_lo, exec_lo, s3
	s_cbranch_execz .LBB92_112
; %bb.111:
	s_waitcnt lgkmcnt(0)
	v_add_nc_u32_e32 v11, v0, v14
	ds_read_u8 v13, v11 offset:1
	v_mov_b32_e32 v11, v10
.LBB92_112:
	s_or_b32 exec_lo, exec_lo, s3
	v_add_nc_u32_e32 v16, 1, v15
	v_add_nc_u32_e32 v18, 1, v14
	s_waitcnt lgkmcnt(0)
	v_cmp_lt_i16_sdwa s4, sext(v13), sext(v11) src0_sel:BYTE_0 src1_sel:BYTE_0
	v_cndmask_b32_e64 v17, v16, v15, s2
	v_cndmask_b32_e64 v15, v14, v18, s2
                                        ; implicit-def: $vgpr14
	v_cmp_ge_i32_e32 vcc_lo, v17, v5
	v_cmp_lt_i32_e64 s3, v15, v4
	s_or_b32 s4, vcc_lo, s4
	s_and_b32 s3, s3, s4
	s_xor_b32 s4, s3, -1
	s_and_saveexec_b32 s5, s4
	s_xor_b32 s4, exec_lo, s5
; %bb.113:
	v_add_nc_u32_e32 v14, v0, v17
	ds_read_u8 v14, v14 offset:1
; %bb.114:
	s_or_saveexec_b32 s4, s4
	v_mov_b32_e32 v16, v13
	s_xor_b32 exec_lo, exec_lo, s4
	s_cbranch_execz .LBB92_116
; %bb.115:
	s_waitcnt lgkmcnt(0)
	v_add_nc_u32_e32 v14, v0, v15
	ds_read_u8 v16, v14 offset:1
	v_mov_b32_e32 v14, v11
.LBB92_116:
	s_or_b32 exec_lo, exec_lo, s4
	v_add_nc_u32_e32 v18, 1, v17
	v_add_nc_u32_e32 v20, 1, v15
	s_waitcnt lgkmcnt(0)
	v_cmp_lt_i16_sdwa s5, sext(v16), sext(v14) src0_sel:BYTE_0 src1_sel:BYTE_0
	v_cndmask_b32_e64 v19, v18, v17, s3
	v_cndmask_b32_e64 v18, v15, v20, s3
                                        ; implicit-def: $vgpr15
	v_cmp_ge_i32_e32 vcc_lo, v19, v5
	v_cmp_lt_i32_e64 s4, v18, v4
	s_or_b32 s5, vcc_lo, s5
	s_and_b32 s4, s4, s5
	s_xor_b32 s5, s4, -1
	s_and_saveexec_b32 s6, s5
	s_xor_b32 s5, exec_lo, s6
; %bb.117:
	v_add_nc_u32_e32 v15, v0, v19
	ds_read_u8 v15, v15 offset:1
; %bb.118:
	s_or_saveexec_b32 s5, s5
	v_mov_b32_e32 v17, v16
	s_xor_b32 exec_lo, exec_lo, s5
	s_cbranch_execz .LBB92_120
; %bb.119:
	s_waitcnt lgkmcnt(0)
	v_add_nc_u32_e32 v15, v0, v18
	ds_read_u8 v17, v15 offset:1
	v_mov_b32_e32 v15, v14
.LBB92_120:
	s_or_b32 exec_lo, exec_lo, s5
	v_add_nc_u32_e32 v20, 1, v19
	v_add_nc_u32_e32 v21, 1, v18
	s_waitcnt lgkmcnt(0)
	v_cmp_lt_i16_sdwa s6, sext(v17), sext(v15) src0_sel:BYTE_0 src1_sel:BYTE_0
	v_cndmask_b32_e64 v20, v20, v19, s4
	v_cndmask_b32_e64 v18, v18, v21, s4
                                        ; implicit-def: $vgpr19
	v_cmp_ge_i32_e32 vcc_lo, v20, v5
	v_cmp_lt_i32_e64 s5, v18, v4
	s_or_b32 s6, vcc_lo, s6
	s_and_b32 vcc_lo, s5, s6
	s_xor_b32 s5, vcc_lo, -1
	s_and_saveexec_b32 s6, s5
	s_xor_b32 s5, exec_lo, s6
; %bb.121:
	v_add_nc_u32_e32 v19, v0, v20
	ds_read_u8 v19, v19 offset:1
; %bb.122:
	s_or_saveexec_b32 s5, s5
	v_mov_b32_e32 v21, v17
	s_xor_b32 exec_lo, exec_lo, s5
	s_cbranch_execz .LBB92_124
; %bb.123:
	s_waitcnt lgkmcnt(0)
	v_add_nc_u32_e32 v19, v0, v18
	ds_read_u8 v21, v19 offset:1
	v_mov_b32_e32 v19, v15
.LBB92_124:
	s_or_b32 exec_lo, exec_lo, s5
	v_add_nc_u32_e32 v22, 1, v20
	v_add_nc_u32_e32 v24, 1, v18
	s_waitcnt lgkmcnt(0)
	v_cmp_lt_i16_sdwa s8, sext(v21), sext(v19) src0_sel:BYTE_0 src1_sel:BYTE_0
	v_cndmask_b32_e32 v23, v22, v20, vcc_lo
	v_cndmask_b32_e32 v22, v18, v24, vcc_lo
                                        ; implicit-def: $vgpr18
	v_cmp_ge_i32_e64 s5, v23, v5
	v_cmp_lt_i32_e64 s6, v22, v4
	s_or_b32 s5, s5, s8
	s_and_b32 s5, s6, s5
	s_xor_b32 s6, s5, -1
	s_and_saveexec_b32 s8, s6
	s_xor_b32 s6, exec_lo, s8
; %bb.125:
	v_add_nc_u32_e32 v18, v0, v23
	ds_read_u8 v18, v18 offset:1
; %bb.126:
	s_or_saveexec_b32 s6, s6
	v_mov_b32_e32 v20, v21
	s_xor_b32 exec_lo, exec_lo, s6
	s_cbranch_execz .LBB92_128
; %bb.127:
	s_waitcnt lgkmcnt(0)
	v_add_nc_u32_e32 v18, v0, v22
	ds_read_u8 v20, v18 offset:1
	v_mov_b32_e32 v18, v19
.LBB92_128:
	s_or_b32 exec_lo, exec_lo, s6
	v_add_nc_u32_e32 v24, 1, v23
	v_add_nc_u32_e32 v25, 1, v22
	v_cndmask_b32_e64 v19, v19, v21, s5
	v_cndmask_b32_e64 v14, v14, v16, s4
	;; [unrolled: 1-line block ×5, first 2 shown]
	s_waitcnt lgkmcnt(0)
	v_cmp_lt_i16_sdwa s4, sext(v20), sext(v18) src0_sel:BYTE_0 src1_sel:BYTE_0
	v_and_b32_e32 v2, 0xf8, v2
	v_cmp_ge_i32_e64 s2, v21, v5
	v_cndmask_b32_e64 v5, v8, v9, s1
	v_cmp_lt_i32_e64 s1, v16, v4
	v_cndmask_b32_e64 v4, v6, v7, s0
	v_cndmask_b32_sdwa v6, v15, v17, vcc_lo dst_sel:BYTE_1 dst_unused:UNUSED_PAD src0_sel:DWORD src1_sel:DWORD
	s_or_b32 s0, s2, s4
	v_lshlrev_b16 v5, 8, v5
	s_and_b32 vcc_lo, s1, s0
	v_add_nc_u32_e32 v9, 0xffffff80, v2
	v_cndmask_b32_e32 v7, v18, v20, vcc_lo
	s_mov_b32 vcc_lo, s3
	v_or_b32_sdwa v6, v14, v6 dst_sel:DWORD dst_unused:UNUSED_PAD src0_sel:BYTE_0 src1_sel:DWORD
	v_cndmask_b32_sdwa v8, v11, v13, vcc_lo dst_sel:BYTE_1 dst_unused:UNUSED_PAD src0_sel:DWORD src1_sel:DWORD
	v_or_b32_sdwa v5, v4, v5 dst_sel:DWORD dst_unused:UNUSED_PAD src0_sel:BYTE_0 src1_sel:DWORD
	v_lshlrev_b16 v7, 8, v7
	v_cmp_lt_i32_e32 vcc_lo, 0x7f, v2
	v_min_i32_e32 v4, 0x80, v2
	v_or_b32_sdwa v10, v10, v8 dst_sel:WORD_1 dst_unused:UNUSED_PAD src0_sel:BYTE_0 src1_sel:DWORD
	s_mov_b32 s0, exec_lo
	v_or_b32_sdwa v7, v19, v7 dst_sel:WORD_1 dst_unused:UNUSED_PAD src0_sel:BYTE_0 src1_sel:DWORD
	v_cndmask_b32_e32 v8, 0, v9, vcc_lo
	; wave barrier
	v_or_b32_sdwa v5, v5, v10 dst_sel:DWORD dst_unused:UNUSED_PAD src0_sel:WORD_0 src1_sel:DWORD
	v_or_b32_sdwa v6, v6, v7 dst_sel:DWORD dst_unused:UNUSED_PAD src0_sel:WORD_0 src1_sel:DWORD
	ds_write_b64 v3, v[5:6]
	; wave barrier
	v_cmpx_lt_i32_e64 v8, v4
	s_cbranch_execz .LBB92_132
; %bb.129:
	v_add3_u32 v5, 0x80, v0, v2
	s_mov_b32 s1, 0
	.p2align	6
.LBB92_130:                             ; =>This Inner Loop Header: Depth=1
	v_sub_nc_u32_e32 v6, v4, v8
	v_lshrrev_b32_e32 v6, 1, v6
	v_add_nc_u32_e32 v6, v6, v8
	v_add_nc_u32_e32 v7, v0, v6
	v_xad_u32 v9, v6, -1, v5
	v_add_nc_u32_e32 v10, 1, v6
	ds_read_i8 v7, v7
	ds_read_i8 v9, v9
	s_waitcnt lgkmcnt(0)
	v_cmp_lt_i16_e32 vcc_lo, v9, v7
	v_cndmask_b32_e32 v4, v4, v6, vcc_lo
	v_cndmask_b32_e32 v8, v10, v8, vcc_lo
	v_cmp_ge_i32_e32 vcc_lo, v8, v4
	s_or_b32 s1, vcc_lo, s1
	s_andn2_b32 exec_lo, exec_lo, s1
	s_cbranch_execnz .LBB92_130
; %bb.131:
	s_or_b32 exec_lo, exec_lo, s1
.LBB92_132:
	s_or_b32 exec_lo, exec_lo, s0
	v_add_nc_u32_e32 v4, 0x80, v2
	v_add_nc_u32_e32 v7, v0, v8
	v_cmp_le_i32_e32 vcc_lo, 0x80, v8
                                        ; implicit-def: $vgpr6
	v_sub_nc_u32_e32 v9, v4, v8
	v_add_nc_u32_e32 v10, v0, v9
	v_cmp_gt_i32_e64 s1, 0x100, v9
	ds_read_u8 v4, v7
	ds_read_u8 v5, v10
	s_waitcnt lgkmcnt(1)
	v_bfe_i32 v4, v4, 0, 8
	s_waitcnt lgkmcnt(0)
	v_bfe_i32 v5, v5, 0, 8
	v_cmp_lt_i16_e64 s0, v5, v4
	s_or_b32 s0, vcc_lo, s0
	s_and_b32 s0, s1, s0
	s_xor_b32 s1, s0, -1
	s_and_saveexec_b32 s2, s1
	s_xor_b32 s1, exec_lo, s2
; %bb.133:
	ds_read_u8 v6, v7 offset:1
                                        ; implicit-def: $vgpr10
; %bb.134:
	s_or_saveexec_b32 s1, s1
	v_mov_b32_e32 v7, v5
	s_xor_b32 exec_lo, exec_lo, s1
	s_cbranch_execz .LBB92_136
; %bb.135:
	ds_read_u8 v7, v10 offset:1
	s_waitcnt lgkmcnt(1)
	v_mov_b32_e32 v6, v4
.LBB92_136:
	s_or_b32 exec_lo, exec_lo, s1
	v_add_nc_u32_e32 v10, 1, v8
	v_add_nc_u32_e32 v12, 1, v9
	s_waitcnt lgkmcnt(0)
	v_cmp_lt_i16_sdwa s2, sext(v7), sext(v6) src0_sel:BYTE_0 src1_sel:BYTE_0
	v_cndmask_b32_e64 v11, v10, v8, s0
	v_cndmask_b32_e64 v10, v9, v12, s0
                                        ; implicit-def: $vgpr8
	v_cmp_le_i32_e32 vcc_lo, 0x80, v11
	v_cmp_gt_i32_e64 s1, 0x100, v10
	s_or_b32 s2, vcc_lo, s2
	s_and_b32 s1, s1, s2
	s_xor_b32 s2, s1, -1
	s_and_saveexec_b32 s3, s2
	s_xor_b32 s2, exec_lo, s3
; %bb.137:
	v_add_nc_u32_e32 v8, v0, v11
	ds_read_u8 v8, v8 offset:1
; %bb.138:
	s_or_saveexec_b32 s2, s2
	v_mov_b32_e32 v9, v7
	s_xor_b32 exec_lo, exec_lo, s2
	s_cbranch_execz .LBB92_140
; %bb.139:
	s_waitcnt lgkmcnt(0)
	v_add_nc_u32_e32 v8, v0, v10
	ds_read_u8 v9, v8 offset:1
	v_mov_b32_e32 v8, v6
.LBB92_140:
	s_or_b32 exec_lo, exec_lo, s2
	v_add_nc_u32_e32 v12, 1, v11
	v_add_nc_u32_e32 v14, 1, v10
	s_waitcnt lgkmcnt(0)
	v_cmp_lt_i16_sdwa s3, sext(v9), sext(v8) src0_sel:BYTE_0 src1_sel:BYTE_0
	v_cndmask_b32_e64 v13, v12, v11, s1
	v_cndmask_b32_e64 v12, v10, v14, s1
                                        ; implicit-def: $vgpr10
	v_cmp_le_i32_e32 vcc_lo, 0x80, v13
	v_cmp_gt_i32_e64 s2, 0x100, v12
	s_or_b32 s3, vcc_lo, s3
	s_and_b32 s2, s2, s3
	s_xor_b32 s3, s2, -1
	s_and_saveexec_b32 s4, s3
	s_xor_b32 s3, exec_lo, s4
; %bb.141:
	v_add_nc_u32_e32 v10, v0, v13
	ds_read_u8 v10, v10 offset:1
; %bb.142:
	s_or_saveexec_b32 s3, s3
	v_mov_b32_e32 v11, v9
	s_xor_b32 exec_lo, exec_lo, s3
	s_cbranch_execz .LBB92_144
; %bb.143:
	s_waitcnt lgkmcnt(0)
	v_add_nc_u32_e32 v10, v0, v12
	ds_read_u8 v11, v10 offset:1
	v_mov_b32_e32 v10, v8
.LBB92_144:
	s_or_b32 exec_lo, exec_lo, s3
	v_add_nc_u32_e32 v14, 1, v13
	v_add_nc_u32_e32 v16, 1, v12
	s_waitcnt lgkmcnt(0)
	v_cmp_lt_i16_sdwa s4, sext(v11), sext(v10) src0_sel:BYTE_0 src1_sel:BYTE_0
	v_cndmask_b32_e64 v15, v14, v13, s2
	v_cndmask_b32_e64 v14, v12, v16, s2
                                        ; implicit-def: $vgpr12
	v_cmp_le_i32_e32 vcc_lo, 0x80, v15
	v_cmp_gt_i32_e64 s3, 0x100, v14
	s_or_b32 s4, vcc_lo, s4
	s_and_b32 s3, s3, s4
	s_xor_b32 s4, s3, -1
	s_and_saveexec_b32 s5, s4
	s_xor_b32 s4, exec_lo, s5
; %bb.145:
	v_add_nc_u32_e32 v12, v0, v15
	ds_read_u8 v12, v12 offset:1
; %bb.146:
	s_or_saveexec_b32 s4, s4
	v_mov_b32_e32 v13, v11
	s_xor_b32 exec_lo, exec_lo, s4
	s_cbranch_execz .LBB92_148
; %bb.147:
	s_waitcnt lgkmcnt(0)
	v_add_nc_u32_e32 v12, v0, v14
	ds_read_u8 v13, v12 offset:1
	v_mov_b32_e32 v12, v10
.LBB92_148:
	s_or_b32 exec_lo, exec_lo, s4
	v_add_nc_u32_e32 v16, 1, v15
	v_add_nc_u32_e32 v18, 1, v14
	s_waitcnt lgkmcnt(0)
	v_cmp_lt_i16_sdwa s5, sext(v13), sext(v12) src0_sel:BYTE_0 src1_sel:BYTE_0
	v_cndmask_b32_e64 v17, v16, v15, s3
	v_cndmask_b32_e64 v16, v14, v18, s3
                                        ; implicit-def: $vgpr14
	v_cmp_le_i32_e32 vcc_lo, 0x80, v17
	v_cmp_gt_i32_e64 s4, 0x100, v16
	s_or_b32 s5, vcc_lo, s5
	s_and_b32 s4, s4, s5
	s_xor_b32 s5, s4, -1
	s_and_saveexec_b32 s6, s5
	s_xor_b32 s5, exec_lo, s6
; %bb.149:
	v_add_nc_u32_e32 v14, v0, v17
	ds_read_u8 v14, v14 offset:1
; %bb.150:
	s_or_saveexec_b32 s5, s5
	v_mov_b32_e32 v15, v13
	s_xor_b32 exec_lo, exec_lo, s5
	s_cbranch_execz .LBB92_152
; %bb.151:
	s_waitcnt lgkmcnt(0)
	v_add_nc_u32_e32 v14, v0, v16
	ds_read_u8 v15, v14 offset:1
	v_mov_b32_e32 v14, v12
.LBB92_152:
	s_or_b32 exec_lo, exec_lo, s5
	v_add_nc_u32_e32 v18, 1, v17
	v_add_nc_u32_e32 v20, 1, v16
	s_waitcnt lgkmcnt(0)
	v_cmp_lt_i16_sdwa s6, sext(v15), sext(v14) src0_sel:BYTE_0 src1_sel:BYTE_0
	v_cndmask_b32_e64 v19, v18, v17, s4
	v_cndmask_b32_e64 v18, v16, v20, s4
                                        ; implicit-def: $vgpr16
	v_cmp_le_i32_e32 vcc_lo, 0x80, v19
	v_cmp_gt_i32_e64 s5, 0x100, v18
	s_or_b32 s6, vcc_lo, s6
	s_and_b32 vcc_lo, s5, s6
	s_xor_b32 s5, vcc_lo, -1
	s_and_saveexec_b32 s6, s5
	s_xor_b32 s5, exec_lo, s6
; %bb.153:
	v_add_nc_u32_e32 v16, v0, v19
	ds_read_u8 v16, v16 offset:1
; %bb.154:
	s_or_saveexec_b32 s5, s5
	v_mov_b32_e32 v17, v15
	s_xor_b32 exec_lo, exec_lo, s5
	s_cbranch_execz .LBB92_156
; %bb.155:
	s_waitcnt lgkmcnt(0)
	v_add_nc_u32_e32 v16, v0, v18
	ds_read_u8 v17, v16 offset:1
	v_mov_b32_e32 v16, v14
.LBB92_156:
	s_or_b32 exec_lo, exec_lo, s5
	v_add_nc_u32_e32 v20, 1, v19
	v_add_nc_u32_e32 v21, 1, v18
	s_waitcnt lgkmcnt(0)
	v_cmp_lt_i16_sdwa s8, sext(v17), sext(v16) src0_sel:BYTE_0 src1_sel:BYTE_0
	v_cndmask_b32_e32 v20, v20, v19, vcc_lo
	v_cndmask_b32_e32 v19, v18, v21, vcc_lo
                                        ; implicit-def: $vgpr18
	v_cmp_le_i32_e64 s5, 0x80, v20
	v_cmp_gt_i32_e64 s6, 0x100, v19
	s_or_b32 s5, s5, s8
	s_and_b32 s5, s6, s5
	s_xor_b32 s6, s5, -1
	s_and_saveexec_b32 s8, s6
	s_xor_b32 s6, exec_lo, s8
; %bb.157:
	v_add_nc_u32_e32 v18, v0, v20
	ds_read_u8 v18, v18 offset:1
; %bb.158:
	s_or_saveexec_b32 s6, s6
	v_mov_b32_e32 v21, v17
	s_xor_b32 exec_lo, exec_lo, s6
	s_cbranch_execz .LBB92_160
; %bb.159:
	s_waitcnt lgkmcnt(0)
	v_add_nc_u32_e32 v18, v0, v19
	ds_read_u8 v21, v18 offset:1
	v_mov_b32_e32 v18, v16
.LBB92_160:
	s_or_b32 exec_lo, exec_lo, s6
	v_add_nc_u32_e32 v22, 1, v20
	v_add_nc_u32_e32 v23, 1, v19
	v_cndmask_b32_e64 v16, v16, v17, s5
	v_cndmask_b32_e64 v12, v12, v13, s4
	;; [unrolled: 1-line block ×5, first 2 shown]
	s_waitcnt lgkmcnt(0)
	v_cmp_lt_i16_sdwa s5, sext(v21), sext(v18) src0_sel:BYTE_0 src1_sel:BYTE_0
	v_cndmask_b32_e64 v4, v4, v5, s0
	v_cndmask_b32_sdwa v5, v14, v15, vcc_lo dst_sel:BYTE_1 dst_unused:UNUSED_PAD src0_sel:DWORD src1_sel:DWORD
	v_cmp_le_i32_e64 s4, 0x80, v20
	v_cmp_gt_i32_e64 s2, 0x100, v17
	v_cndmask_b32_e64 v6, v6, v7, s1
	v_or_b32_sdwa v5, v12, v5 dst_sel:DWORD dst_unused:UNUSED_PAD src0_sel:BYTE_0 src1_sel:DWORD
	s_or_b32 s0, s4, s5
	; wave barrier
	s_and_b32 vcc_lo, s2, s0
	v_lshlrev_b16 v6, 8, v6
	v_cndmask_b32_e32 v7, v18, v21, vcc_lo
	s_mov_b32 vcc_lo, s3
	s_mov_b32 s0, exec_lo
	v_cndmask_b32_sdwa v9, v10, v11, vcc_lo dst_sel:BYTE_1 dst_unused:UNUSED_PAD src0_sel:DWORD src1_sel:DWORD
	v_or_b32_e32 v10, 0xffffff00, v2
	v_lshlrev_b16 v7, 8, v7
	v_or_b32_sdwa v4, v4, v6 dst_sel:DWORD dst_unused:UNUSED_PAD src0_sel:BYTE_0 src1_sel:DWORD
	v_cmp_lt_i32_e32 vcc_lo, 0xff, v2
	v_or_b32_sdwa v8, v8, v9 dst_sel:WORD_1 dst_unused:UNUSED_PAD src0_sel:BYTE_0 src1_sel:DWORD
	v_or_b32_sdwa v7, v16, v7 dst_sel:WORD_1 dst_unused:UNUSED_PAD src0_sel:BYTE_0 src1_sel:DWORD
	v_cndmask_b32_e32 v6, 0, v10, vcc_lo
	v_or_b32_sdwa v4, v4, v8 dst_sel:DWORD dst_unused:UNUSED_PAD src0_sel:WORD_0 src1_sel:DWORD
	v_or_b32_sdwa v5, v5, v7 dst_sel:DWORD dst_unused:UNUSED_PAD src0_sel:WORD_0 src1_sel:DWORD
	ds_write_b64 v3, v[4:5]
	; wave barrier
	v_cmpx_lt_i32_e64 v6, v2
	s_cbranch_execz .LBB92_164
; %bb.161:
	v_add3_u32 v3, 0x100, v0, v2
	v_mov_b32_e32 v4, v2
	s_mov_b32 s1, 0
	.p2align	6
.LBB92_162:                             ; =>This Inner Loop Header: Depth=1
	v_sub_nc_u32_e32 v5, v4, v6
	v_lshrrev_b32_e32 v5, 1, v5
	v_add_nc_u32_e32 v5, v5, v6
	v_add_nc_u32_e32 v7, v0, v5
	v_xad_u32 v8, v5, -1, v3
	v_add_nc_u32_e32 v9, 1, v5
	ds_read_i8 v7, v7
	ds_read_i8 v8, v8
	s_waitcnt lgkmcnt(0)
	v_cmp_lt_i16_e32 vcc_lo, v8, v7
	v_cndmask_b32_e32 v4, v4, v5, vcc_lo
	v_cndmask_b32_e32 v6, v9, v6, vcc_lo
	v_cmp_ge_i32_e32 vcc_lo, v6, v4
	s_or_b32 s1, vcc_lo, s1
	s_andn2_b32 exec_lo, exec_lo, s1
	s_cbranch_execnz .LBB92_162
; %bb.163:
	s_or_b32 exec_lo, exec_lo, s1
.LBB92_164:
	s_or_b32 exec_lo, exec_lo, s0
	v_add_nc_u32_e32 v2, 0x100, v2
	v_add_nc_u32_e32 v5, v0, v6
	v_cmp_le_i32_e32 vcc_lo, 0x100, v6
                                        ; implicit-def: $vgpr4
	v_sub_nc_u32_e32 v7, v2, v6
	v_add_nc_u32_e32 v8, v0, v7
	v_cmp_gt_i32_e64 s1, 0x200, v7
	ds_read_u8 v2, v5
	ds_read_u8 v3, v8
	s_waitcnt lgkmcnt(1)
	v_bfe_i32 v2, v2, 0, 8
	s_waitcnt lgkmcnt(0)
	v_bfe_i32 v3, v3, 0, 8
	v_cmp_lt_i16_e64 s0, v3, v2
	s_or_b32 s0, vcc_lo, s0
	s_and_b32 s0, s1, s0
	s_xor_b32 s1, s0, -1
	s_and_saveexec_b32 s2, s1
	s_xor_b32 s1, exec_lo, s2
; %bb.165:
	ds_read_u8 v4, v5 offset:1
                                        ; implicit-def: $vgpr8
; %bb.166:
	s_or_saveexec_b32 s1, s1
	v_mov_b32_e32 v5, v3
	s_xor_b32 exec_lo, exec_lo, s1
	s_cbranch_execz .LBB92_168
; %bb.167:
	ds_read_u8 v5, v8 offset:1
	s_waitcnt lgkmcnt(1)
	v_mov_b32_e32 v4, v2
.LBB92_168:
	s_or_b32 exec_lo, exec_lo, s1
	v_add_nc_u32_e32 v8, 1, v6
	v_add_nc_u32_e32 v10, 1, v7
	s_waitcnt lgkmcnt(0)
	v_cmp_lt_i16_sdwa s2, sext(v5), sext(v4) src0_sel:BYTE_0 src1_sel:BYTE_0
	v_cndmask_b32_e64 v9, v8, v6, s0
	v_cndmask_b32_e64 v8, v7, v10, s0
                                        ; implicit-def: $vgpr6
	v_cmp_le_i32_e32 vcc_lo, 0x100, v9
	v_cmp_gt_i32_e64 s1, 0x200, v8
	s_or_b32 s2, vcc_lo, s2
	s_and_b32 s1, s1, s2
	s_xor_b32 s2, s1, -1
	s_and_saveexec_b32 s3, s2
	s_xor_b32 s2, exec_lo, s3
; %bb.169:
	v_add_nc_u32_e32 v6, v0, v9
	ds_read_u8 v6, v6 offset:1
; %bb.170:
	s_or_saveexec_b32 s2, s2
	v_mov_b32_e32 v7, v5
	s_xor_b32 exec_lo, exec_lo, s2
	s_cbranch_execz .LBB92_172
; %bb.171:
	s_waitcnt lgkmcnt(0)
	v_add_nc_u32_e32 v6, v0, v8
	ds_read_u8 v7, v6 offset:1
	v_mov_b32_e32 v6, v4
.LBB92_172:
	s_or_b32 exec_lo, exec_lo, s2
	v_add_nc_u32_e32 v10, 1, v9
	v_add_nc_u32_e32 v12, 1, v8
	s_waitcnt lgkmcnt(0)
	v_cmp_lt_i16_sdwa s3, sext(v7), sext(v6) src0_sel:BYTE_0 src1_sel:BYTE_0
	v_cndmask_b32_e64 v11, v10, v9, s1
	v_cndmask_b32_e64 v10, v8, v12, s1
                                        ; implicit-def: $vgpr8
	v_cmp_le_i32_e32 vcc_lo, 0x100, v11
	v_cmp_gt_i32_e64 s2, 0x200, v10
	s_or_b32 s3, vcc_lo, s3
	s_and_b32 s2, s2, s3
	s_xor_b32 s3, s2, -1
	s_and_saveexec_b32 s4, s3
	s_xor_b32 s3, exec_lo, s4
; %bb.173:
	v_add_nc_u32_e32 v8, v0, v11
	ds_read_u8 v8, v8 offset:1
; %bb.174:
	s_or_saveexec_b32 s3, s3
	v_mov_b32_e32 v9, v7
	s_xor_b32 exec_lo, exec_lo, s3
	s_cbranch_execz .LBB92_176
; %bb.175:
	s_waitcnt lgkmcnt(0)
	v_add_nc_u32_e32 v8, v0, v10
	ds_read_u8 v9, v8 offset:1
	v_mov_b32_e32 v8, v6
.LBB92_176:
	s_or_b32 exec_lo, exec_lo, s3
	v_add_nc_u32_e32 v12, 1, v11
	v_add_nc_u32_e32 v14, 1, v10
	s_waitcnt lgkmcnt(0)
	v_cmp_lt_i16_sdwa s4, sext(v9), sext(v8) src0_sel:BYTE_0 src1_sel:BYTE_0
	v_cndmask_b32_e64 v13, v12, v11, s2
	v_cndmask_b32_e64 v12, v10, v14, s2
                                        ; implicit-def: $vgpr10
	v_cmp_le_i32_e32 vcc_lo, 0x100, v13
	v_cmp_gt_i32_e64 s3, 0x200, v12
	s_or_b32 s4, vcc_lo, s4
	s_and_b32 s3, s3, s4
	s_xor_b32 s4, s3, -1
	s_and_saveexec_b32 s5, s4
	s_xor_b32 s4, exec_lo, s5
; %bb.177:
	v_add_nc_u32_e32 v10, v0, v13
	ds_read_u8 v10, v10 offset:1
; %bb.178:
	s_or_saveexec_b32 s4, s4
	v_mov_b32_e32 v11, v9
	s_xor_b32 exec_lo, exec_lo, s4
	s_cbranch_execz .LBB92_180
; %bb.179:
	s_waitcnt lgkmcnt(0)
	v_add_nc_u32_e32 v10, v0, v12
	ds_read_u8 v11, v10 offset:1
	v_mov_b32_e32 v10, v8
.LBB92_180:
	s_or_b32 exec_lo, exec_lo, s4
	v_add_nc_u32_e32 v14, 1, v13
	v_add_nc_u32_e32 v16, 1, v12
	s_waitcnt lgkmcnt(0)
	v_cmp_lt_i16_sdwa s5, sext(v11), sext(v10) src0_sel:BYTE_0 src1_sel:BYTE_0
	v_cndmask_b32_e64 v15, v14, v13, s3
	v_cndmask_b32_e64 v14, v12, v16, s3
                                        ; implicit-def: $vgpr12
	v_cmp_le_i32_e32 vcc_lo, 0x100, v15
	v_cmp_gt_i32_e64 s4, 0x200, v14
	s_or_b32 s5, vcc_lo, s5
	s_and_b32 s4, s4, s5
	s_xor_b32 s5, s4, -1
	s_and_saveexec_b32 s6, s5
	s_xor_b32 s5, exec_lo, s6
; %bb.181:
	v_add_nc_u32_e32 v12, v0, v15
	ds_read_u8 v12, v12 offset:1
; %bb.182:
	s_or_saveexec_b32 s5, s5
	v_mov_b32_e32 v13, v11
	s_xor_b32 exec_lo, exec_lo, s5
	s_cbranch_execz .LBB92_184
; %bb.183:
	s_waitcnt lgkmcnt(0)
	v_add_nc_u32_e32 v12, v0, v14
	ds_read_u8 v13, v12 offset:1
	v_mov_b32_e32 v12, v10
.LBB92_184:
	s_or_b32 exec_lo, exec_lo, s5
	v_add_nc_u32_e32 v16, 1, v15
	v_add_nc_u32_e32 v18, 1, v14
	s_waitcnt lgkmcnt(0)
	v_cmp_lt_i16_sdwa s6, sext(v13), sext(v12) src0_sel:BYTE_0 src1_sel:BYTE_0
	v_cndmask_b32_e64 v17, v16, v15, s4
	v_cndmask_b32_e64 v16, v14, v18, s4
                                        ; implicit-def: $vgpr15
	v_cmp_le_i32_e32 vcc_lo, 0x100, v17
	v_cmp_gt_i32_e64 s5, 0x200, v16
	s_or_b32 s6, vcc_lo, s6
	s_and_b32 vcc_lo, s5, s6
	s_xor_b32 s5, vcc_lo, -1
	s_and_saveexec_b32 s6, s5
	s_xor_b32 s5, exec_lo, s6
; %bb.185:
	v_add_nc_u32_e32 v14, v0, v17
	ds_read_u8 v15, v14 offset:1
; %bb.186:
	s_or_saveexec_b32 s5, s5
	v_mov_b32_e32 v14, v13
	s_xor_b32 exec_lo, exec_lo, s5
	s_cbranch_execz .LBB92_188
; %bb.187:
	v_add_nc_u32_e32 v14, v0, v16
	s_waitcnt lgkmcnt(0)
	v_mov_b32_e32 v15, v12
	ds_read_u8 v14, v14 offset:1
.LBB92_188:
	s_or_b32 exec_lo, exec_lo, s5
	v_add_nc_u32_e32 v18, 1, v17
	v_add_nc_u32_e32 v19, 1, v16
	s_waitcnt lgkmcnt(0)
	v_cmp_ge_i16_sdwa s8, sext(v14), sext(v15) src0_sel:BYTE_0 src1_sel:BYTE_0
	v_cndmask_b32_e32 v20, v18, v17, vcc_lo
	v_cndmask_b32_e32 v16, v16, v19, vcc_lo
                                        ; implicit-def: $vgpr18
                                        ; implicit-def: $vgpr19
	v_cmp_gt_i32_e64 s5, 0x100, v20
	v_cmp_le_i32_e64 s6, 0x200, v16
	s_and_b32 s5, s5, s8
	s_or_b32 s5, s6, s5
	s_and_saveexec_b32 s6, s5
	s_xor_b32 s5, exec_lo, s6
; %bb.189:
	v_add_nc_u32_e32 v0, v0, v20
	v_add_nc_u32_e32 v19, 1, v20
                                        ; implicit-def: $vgpr20
	ds_read_u8 v18, v0 offset:1
                                        ; implicit-def: $vgpr0
; %bb.190:
	s_or_saveexec_b32 s5, s5
	v_mov_b32_e32 v17, v15
	s_xor_b32 exec_lo, exec_lo, s5
	s_cbranch_execz .LBB92_192
; %bb.191:
	v_add_nc_u32_e32 v0, v0, v16
	v_add_nc_u32_e32 v16, 1, v16
	v_mov_b32_e32 v17, v14
	v_mov_b32_e32 v19, v20
	s_waitcnt lgkmcnt(0)
	v_mov_b32_e32 v18, v15
	ds_read_u8 v0, v0 offset:1
	s_waitcnt lgkmcnt(0)
	v_mov_b32_e32 v14, v0
.LBB92_192:
	s_or_b32 exec_lo, exec_lo, s5
	v_cmp_le_i32_e64 s5, 0x100, v19
	s_waitcnt lgkmcnt(0)
	v_cmp_lt_i16_sdwa s6, sext(v14), sext(v18) src0_sel:BYTE_0 src1_sel:BYTE_0
	v_cndmask_b32_e64 v10, v10, v11, s4
	v_cmp_gt_i32_e64 s4, 0x200, v16
	v_cndmask_b32_sdwa v0, v12, v13, vcc_lo dst_sel:BYTE_1 dst_unused:UNUSED_PAD src0_sel:DWORD src1_sel:DWORD
	s_mov_b32 vcc_lo, s3
	s_or_b32 s5, s5, s6
	v_cndmask_b32_sdwa v8, v8, v9, vcc_lo dst_sel:BYTE_1 dst_unused:UNUSED_PAD src0_sel:DWORD src1_sel:DWORD
	s_and_b32 vcc_lo, s4, s5
	v_cndmask_b32_e64 v2, v2, v3, s0
	v_cndmask_b32_e32 v9, v18, v14, vcc_lo
	s_mov_b32 vcc_lo, s1
	v_cndmask_b32_e64 v3, v6, v7, s2
	v_cndmask_b32_sdwa v4, v4, v5, vcc_lo dst_sel:BYTE_1 dst_unused:UNUSED_PAD src0_sel:DWORD src1_sel:DWORD
	s_add_u32 s0, s10, s7
	v_lshlrev_b16 v5, 8, v9
	s_addc_u32 s1, s11, 0
	v_or_b32_sdwa v3, v3, v8 dst_sel:WORD_1 dst_unused:UNUSED_PAD src0_sel:BYTE_0 src1_sel:DWORD
	v_or_b32_sdwa v2, v2, v4 dst_sel:DWORD dst_unused:UNUSED_PAD src0_sel:BYTE_0 src1_sel:DWORD
	v_or_b32_sdwa v4, v10, v0 dst_sel:DWORD dst_unused:UNUSED_PAD src0_sel:BYTE_0 src1_sel:DWORD
	v_or_b32_sdwa v5, v17, v5 dst_sel:WORD_1 dst_unused:UNUSED_PAD src0_sel:BYTE_0 src1_sel:DWORD
	v_add_co_u32 v0, s0, s0, v1
	v_add_co_ci_u32_e64 v1, null, s1, 0, s0
	v_or_b32_sdwa v2, v2, v3 dst_sel:DWORD dst_unused:UNUSED_PAD src0_sel:WORD_0 src1_sel:DWORD
	v_or_b32_sdwa v3, v4, v5 dst_sel:DWORD dst_unused:UNUSED_PAD src0_sel:WORD_0 src1_sel:DWORD
	global_store_dwordx2 v[0:1], v[2:3], off
	s_endpgm
	.section	.rodata,"a",@progbits
	.p2align	6, 0x0
	.amdhsa_kernel _Z9sort_keysILj256ELj64ELj8EaN10test_utils4lessEEvPKT2_PS2_T3_
		.amdhsa_group_segment_fixed_size 2052
		.amdhsa_private_segment_fixed_size 0
		.amdhsa_kernarg_size 20
		.amdhsa_user_sgpr_count 6
		.amdhsa_user_sgpr_private_segment_buffer 1
		.amdhsa_user_sgpr_dispatch_ptr 0
		.amdhsa_user_sgpr_queue_ptr 0
		.amdhsa_user_sgpr_kernarg_segment_ptr 1
		.amdhsa_user_sgpr_dispatch_id 0
		.amdhsa_user_sgpr_flat_scratch_init 0
		.amdhsa_user_sgpr_private_segment_size 0
		.amdhsa_wavefront_size32 1
		.amdhsa_uses_dynamic_stack 0
		.amdhsa_system_sgpr_private_segment_wavefront_offset 0
		.amdhsa_system_sgpr_workgroup_id_x 1
		.amdhsa_system_sgpr_workgroup_id_y 0
		.amdhsa_system_sgpr_workgroup_id_z 0
		.amdhsa_system_sgpr_workgroup_info 0
		.amdhsa_system_vgpr_workitem_id 0
		.amdhsa_next_free_vgpr 26
		.amdhsa_next_free_sgpr 12
		.amdhsa_reserve_vcc 1
		.amdhsa_reserve_flat_scratch 0
		.amdhsa_float_round_mode_32 0
		.amdhsa_float_round_mode_16_64 0
		.amdhsa_float_denorm_mode_32 3
		.amdhsa_float_denorm_mode_16_64 3
		.amdhsa_dx10_clamp 1
		.amdhsa_ieee_mode 1
		.amdhsa_fp16_overflow 0
		.amdhsa_workgroup_processor_mode 1
		.amdhsa_memory_ordered 1
		.amdhsa_forward_progress 1
		.amdhsa_shared_vgpr_count 0
		.amdhsa_exception_fp_ieee_invalid_op 0
		.amdhsa_exception_fp_denorm_src 0
		.amdhsa_exception_fp_ieee_div_zero 0
		.amdhsa_exception_fp_ieee_overflow 0
		.amdhsa_exception_fp_ieee_underflow 0
		.amdhsa_exception_fp_ieee_inexact 0
		.amdhsa_exception_int_div_zero 0
	.end_amdhsa_kernel
	.section	.text._Z9sort_keysILj256ELj64ELj8EaN10test_utils4lessEEvPKT2_PS2_T3_,"axG",@progbits,_Z9sort_keysILj256ELj64ELj8EaN10test_utils4lessEEvPKT2_PS2_T3_,comdat
.Lfunc_end92:
	.size	_Z9sort_keysILj256ELj64ELj8EaN10test_utils4lessEEvPKT2_PS2_T3_, .Lfunc_end92-_Z9sort_keysILj256ELj64ELj8EaN10test_utils4lessEEvPKT2_PS2_T3_
                                        ; -- End function
	.set _Z9sort_keysILj256ELj64ELj8EaN10test_utils4lessEEvPKT2_PS2_T3_.num_vgpr, 26
	.set _Z9sort_keysILj256ELj64ELj8EaN10test_utils4lessEEvPKT2_PS2_T3_.num_agpr, 0
	.set _Z9sort_keysILj256ELj64ELj8EaN10test_utils4lessEEvPKT2_PS2_T3_.numbered_sgpr, 12
	.set _Z9sort_keysILj256ELj64ELj8EaN10test_utils4lessEEvPKT2_PS2_T3_.num_named_barrier, 0
	.set _Z9sort_keysILj256ELj64ELj8EaN10test_utils4lessEEvPKT2_PS2_T3_.private_seg_size, 0
	.set _Z9sort_keysILj256ELj64ELj8EaN10test_utils4lessEEvPKT2_PS2_T3_.uses_vcc, 1
	.set _Z9sort_keysILj256ELj64ELj8EaN10test_utils4lessEEvPKT2_PS2_T3_.uses_flat_scratch, 0
	.set _Z9sort_keysILj256ELj64ELj8EaN10test_utils4lessEEvPKT2_PS2_T3_.has_dyn_sized_stack, 0
	.set _Z9sort_keysILj256ELj64ELj8EaN10test_utils4lessEEvPKT2_PS2_T3_.has_recursion, 0
	.set _Z9sort_keysILj256ELj64ELj8EaN10test_utils4lessEEvPKT2_PS2_T3_.has_indirect_call, 0
	.section	.AMDGPU.csdata,"",@progbits
; Kernel info:
; codeLenInByte = 9408
; TotalNumSgprs: 14
; NumVgprs: 26
; ScratchSize: 0
; MemoryBound: 0
; FloatMode: 240
; IeeeMode: 1
; LDSByteSize: 2052 bytes/workgroup (compile time only)
; SGPRBlocks: 0
; VGPRBlocks: 3
; NumSGPRsForWavesPerEU: 14
; NumVGPRsForWavesPerEU: 26
; Occupancy: 16
; WaveLimiterHint : 0
; COMPUTE_PGM_RSRC2:SCRATCH_EN: 0
; COMPUTE_PGM_RSRC2:USER_SGPR: 6
; COMPUTE_PGM_RSRC2:TRAP_HANDLER: 0
; COMPUTE_PGM_RSRC2:TGID_X_EN: 1
; COMPUTE_PGM_RSRC2:TGID_Y_EN: 0
; COMPUTE_PGM_RSRC2:TGID_Z_EN: 0
; COMPUTE_PGM_RSRC2:TIDIG_COMP_CNT: 0
	.section	.text._Z10sort_pairsILj256ELj64ELj8EaN10test_utils4lessEEvPKT2_PS2_T3_,"axG",@progbits,_Z10sort_pairsILj256ELj64ELj8EaN10test_utils4lessEEvPKT2_PS2_T3_,comdat
	.protected	_Z10sort_pairsILj256ELj64ELj8EaN10test_utils4lessEEvPKT2_PS2_T3_ ; -- Begin function _Z10sort_pairsILj256ELj64ELj8EaN10test_utils4lessEEvPKT2_PS2_T3_
	.globl	_Z10sort_pairsILj256ELj64ELj8EaN10test_utils4lessEEvPKT2_PS2_T3_
	.p2align	8
	.type	_Z10sort_pairsILj256ELj64ELj8EaN10test_utils4lessEEvPKT2_PS2_T3_,@function
_Z10sort_pairsILj256ELj64ELj8EaN10test_utils4lessEEvPKT2_PS2_T3_: ; @_Z10sort_pairsILj256ELj64ELj8EaN10test_utils4lessEEvPKT2_PS2_T3_
; %bb.0:
	s_load_dwordx4 s[36:39], s[4:5], 0x0
	s_lshl_b32 s40, s6, 11
	v_lshlrev_b32_e32 v3, 3, v0
	v_mbcnt_lo_u32_b32 v17, -1, 0
	v_lshrrev_b32_e32 v0, 6, v0
	s_mov_b32 s28, 0
	s_mov_b32 s29, exec_lo
	s_waitcnt lgkmcnt(0)
	s_add_u32 s0, s36, s40
	s_addc_u32 s1, s37, 0
	global_load_dwordx2 v[1:2], v3, s[0:1]
	; wave barrier
	s_waitcnt vmcnt(0)
	v_lshrrev_b32_e32 v10, 8, v1
	v_lshrrev_b32_e32 v7, 16, v1
	;; [unrolled: 1-line block ×3, first 2 shown]
	v_perm_b32 v13, v2, v2, 0x7060405
	v_lshlrev_b16 v4, 8, v10
	v_perm_b32 v5, 0, v7, 0xc0c0001
	v_lshlrev_b16 v8, 8, v11
	v_or_b32_sdwa v6, v1, v4 dst_sel:DWORD dst_unused:UNUSED_PAD src0_sel:BYTE_0 src1_sel:DWORD
	v_perm_b32 v4, 0, v1, 0xc0c0001
	v_lshlrev_b32_e32 v12, 16, v5
	v_lshrrev_b32_e32 v5, 8, v2
	v_or_b32_sdwa v9, v7, v8 dst_sel:DWORD dst_unused:UNUSED_PAD src0_sel:BYTE_0 src1_sel:DWORD
	v_cmp_lt_i16_sdwa s0, sext(v10), sext(v6) src0_sel:BYTE_0 src1_sel:BYTE_0
	v_cmp_lt_i16_sdwa s3, sext(v5), sext(v2) src0_sel:BYTE_0 src1_sel:BYTE_0
	;; [unrolled: 1-line block ×3, first 2 shown]
	v_cndmask_b32_e64 v4, v1, v4, s0
	v_cndmask_b32_e64 v7, v2, v13, s3
	v_bfi_b32 v1, 0xffff, v4, v1
	v_and_or_b32 v4, 0xffff, v4, v12
	v_lshrrev_b32_e32 v8, 24, v7
	v_lshrrev_b32_e32 v12, 16, v7
	v_perm_b32 v13, v7, v7, 0x6070504
	v_cndmask_b32_e64 v4, v1, v4, s4
	v_mov_b32_e32 v1, 0xff
	v_cmp_lt_i16_sdwa s8, sext(v8), sext(v12) src0_sel:BYTE_0 src1_sel:BYTE_0
	v_lshrrev_b32_e32 v14, 16, v4
	v_lshrrev_b32_e32 v15, 8, v4
	v_perm_b32 v16, v4, v4, 0x7050604
	v_cndmask_b32_e64 v7, v7, v13, s8
	v_cmp_lt_i16_sdwa s9, sext(v14), sext(v15) src0_sel:BYTE_0 src1_sel:BYTE_0
	v_lshlrev_b16 v8, 8, v7
	v_cndmask_b32_e64 v4, v4, v16, s9
	v_and_b32_sdwa v12, v4, v1 dst_sel:DWORD dst_unused:UNUSED_PAD src0_sel:WORD_1 src1_sel:DWORD
	v_or_b32_sdwa v8, v12, v8 dst_sel:WORD_1 dst_unused:UNUSED_PAD src0_sel:DWORD src1_sel:DWORD
	v_lshrrev_b32_e32 v12, 24, v4
	v_and_or_b32 v8, 0xffff, v4, v8
	v_cmp_lt_i16_sdwa s7, sext(v7), sext(v12) src0_sel:BYTE_0 src1_sel:BYTE_0
	v_cndmask_b32_e64 v8, v4, v8, s7
	v_perm_b32 v4, v4, v7, 0x3020107
	v_perm_b32 v12, 0, v8, 0xc0c0001
	v_lshrrev_b32_e32 v13, 8, v8
	v_cndmask_b32_e64 v4, v7, v4, s7
	v_and_or_b32 v12, 0xffff0000, v8, v12
	v_cmp_lt_i16_sdwa s10, sext(v13), sext(v8) src0_sel:BYTE_0 src1_sel:BYTE_0
	v_lshrrev_b32_e32 v13, 8, v4
	v_perm_b32 v14, v4, v4, 0x7050604
	v_cndmask_b32_e64 v7, v8, v12, s10
	v_lshrrev_b32_e32 v8, 16, v4
	v_lshrrev_b32_e32 v12, 16, v7
	v_cmp_lt_i16_sdwa s12, sext(v8), sext(v13) src0_sel:BYTE_0 src1_sel:BYTE_0
	v_perm_b32 v15, 0, v12, 0xc0c0001
	v_cndmask_b32_e64 v4, v4, v14, s12
	v_lshlrev_b32_e32 v8, 16, v15
	v_lshrrev_b32_e32 v13, 8, v4
	v_lshrrev_b32_e32 v15, 24, v7
	v_perm_b32 v14, v4, v4, 0x7060405
	v_and_or_b32 v8, 0xffff, v7, v8
	v_cmp_lt_i16_sdwa s13, sext(v13), sext(v4) src0_sel:BYTE_0 src1_sel:BYTE_0
	v_cmp_lt_i16_sdwa s14, sext(v15), sext(v12) src0_sel:BYTE_0 src1_sel:BYTE_0
	v_cndmask_b32_e64 v4, v4, v14, s13
	v_cndmask_b32_e64 v7, v7, v8, s14
	v_lshrrev_b32_e32 v8, 24, v4
	v_lshrrev_b32_e32 v12, 16, v4
	;; [unrolled: 1-line block ×4, first 2 shown]
	v_perm_b32 v13, v4, v4, 0x6070504
	v_perm_b32 v16, v7, v7, 0x7050604
	v_cmp_lt_i16_sdwa s16, sext(v8), sext(v12) src0_sel:BYTE_0 src1_sel:BYTE_0
	v_cmp_lt_i16_sdwa s17, sext(v14), sext(v15) src0_sel:BYTE_0 src1_sel:BYTE_0
	v_cndmask_b32_e64 v4, v4, v13, s16
	v_cndmask_b32_e64 v7, v7, v16, s17
	v_lshlrev_b16 v8, 8, v4
	v_and_b32_sdwa v12, v7, v1 dst_sel:DWORD dst_unused:UNUSED_PAD src0_sel:WORD_1 src1_sel:DWORD
	v_or_b32_sdwa v8, v12, v8 dst_sel:WORD_1 dst_unused:UNUSED_PAD src0_sel:DWORD src1_sel:DWORD
	v_lshrrev_b32_e32 v12, 24, v7
	v_and_or_b32 v8, 0xffff, v7, v8
	v_cmp_lt_i16_sdwa s15, sext(v4), sext(v12) src0_sel:BYTE_0 src1_sel:BYTE_0
	v_cndmask_b32_e64 v8, v7, v8, s15
	v_perm_b32 v7, v7, v4, 0x3020107
	v_perm_b32 v12, 0, v8, 0xc0c0001
	v_lshrrev_b32_e32 v13, 8, v8
	v_cndmask_b32_e64 v4, v4, v7, s15
	v_and_or_b32 v12, 0xffff0000, v8, v12
	v_cmp_lt_i16_sdwa s19, sext(v13), sext(v8) src0_sel:BYTE_0 src1_sel:BYTE_0
	v_lshrrev_b32_e32 v13, 8, v4
	v_perm_b32 v14, v4, v4, 0x7050604
	v_cndmask_b32_e64 v7, v8, v12, s19
	v_lshrrev_b32_e32 v8, 16, v4
	v_lshrrev_b32_e32 v12, 16, v7
	v_cmp_lt_i16_sdwa s20, sext(v8), sext(v13) src0_sel:BYTE_0 src1_sel:BYTE_0
	v_perm_b32 v15, 0, v12, 0xc0c0001
	v_cndmask_b32_e64 v4, v4, v14, s20
	v_lshlrev_b32_e32 v8, 16, v15
	v_lshrrev_b32_e32 v13, 8, v4
	v_lshrrev_b32_e32 v15, 24, v7
	v_perm_b32 v14, v4, v4, 0x7060405
	v_and_or_b32 v8, 0xffff, v7, v8
	v_cmp_lt_i16_sdwa s22, sext(v13), sext(v4) src0_sel:BYTE_0 src1_sel:BYTE_0
	v_cmp_lt_i16_sdwa s23, sext(v15), sext(v12) src0_sel:BYTE_0 src1_sel:BYTE_0
	v_cndmask_b32_e64 v4, v4, v14, s22
	v_cndmask_b32_e64 v7, v7, v8, s23
	v_lshrrev_b32_e32 v8, 24, v4
	v_lshrrev_b32_e32 v12, 16, v4
	;; [unrolled: 1-line block ×4, first 2 shown]
	v_perm_b32 v13, v4, v4, 0x6070504
	v_perm_b32 v16, v7, v7, 0x7050604
	v_cmp_lt_i16_sdwa s25, sext(v8), sext(v12) src0_sel:BYTE_0 src1_sel:BYTE_0
	v_cmp_lt_i16_sdwa s26, sext(v14), sext(v15) src0_sel:BYTE_0 src1_sel:BYTE_0
	v_cndmask_b32_e64 v4, v4, v13, s25
	v_cndmask_b32_e64 v7, v7, v16, s26
	v_lshlrev_b16 v8, 8, v4
	v_and_b32_sdwa v12, v7, v1 dst_sel:DWORD dst_unused:UNUSED_PAD src0_sel:WORD_1 src1_sel:DWORD
	v_or_b32_sdwa v8, v12, v8 dst_sel:WORD_1 dst_unused:UNUSED_PAD src0_sel:DWORD src1_sel:DWORD
	v_lshrrev_b32_e32 v12, 24, v7
	v_and_or_b32 v8, 0xffff, v7, v8
	v_cmp_lt_i16_sdwa s21, sext(v4), sext(v12) src0_sel:BYTE_0 src1_sel:BYTE_0
	v_cndmask_b32_e64 v8, v7, v8, s21
	v_perm_b32 v7, v7, v4, 0x3020107
	v_perm_b32 v12, 0, v8, 0xc0c0001
	v_lshrrev_b32_e32 v13, 8, v8
	v_cndmask_b32_e64 v4, v4, v7, s21
	v_and_or_b32 v12, 0xffff0000, v8, v12
	v_cmp_lt_i16_sdwa s27, sext(v13), sext(v8) src0_sel:BYTE_0 src1_sel:BYTE_0
	v_lshrrev_b32_e32 v13, 8, v4
	v_perm_b32 v14, v4, v4, 0x7050604
	v_cndmask_b32_e64 v7, v8, v12, s27
	v_lshrrev_b32_e32 v8, 16, v4
	v_lshrrev_b32_e32 v12, 16, v7
	v_cmp_lt_i16_sdwa s24, sext(v8), sext(v13) src0_sel:BYTE_0 src1_sel:BYTE_0
	v_perm_b32 v15, 0, v12, 0xc0c0001
	v_cndmask_b32_e64 v4, v4, v14, s24
	v_lshlrev_b32_e32 v8, 16, v15
	v_lshrrev_b32_e32 v15, 24, v7
	v_lshrrev_b32_e32 v13, 8, v4
	v_perm_b32 v14, v4, v4, 0x7060405
	v_and_or_b32 v8, 0xffff, v7, v8
	v_cmp_lt_i16_sdwa s2, sext(v15), sext(v12) src0_sel:BYTE_0 src1_sel:BYTE_0
	v_cmp_lt_i16_sdwa s1, sext(v13), sext(v4) src0_sel:BYTE_0 src1_sel:BYTE_0
	v_cndmask_b32_e64 v7, v7, v8, s2
	v_cndmask_b32_e64 v4, v4, v14, s1
	v_lshrrev_b32_e32 v14, 16, v7
	v_lshrrev_b32_e32 v15, 8, v7
	;; [unrolled: 1-line block ×4, first 2 shown]
	v_perm_b32 v16, v7, v7, 0x7050604
	v_perm_b32 v13, v4, v4, 0x6070504
	v_cmp_lt_i16_sdwa s6, sext(v14), sext(v15) src0_sel:BYTE_0 src1_sel:BYTE_0
	v_cmp_lt_i16_sdwa s5, sext(v8), sext(v12) src0_sel:BYTE_0 src1_sel:BYTE_0
	v_cndmask_b32_e64 v14, v7, v16, s6
	v_cndmask_b32_e64 v18, v4, v13, s5
	v_lshlrev_b32_e32 v4, 3, v17
	v_lshrrev_b32_e32 v15, 24, v14
	v_and_b32_sdwa v8, v14, v1 dst_sel:DWORD dst_unused:UNUSED_PAD src0_sel:WORD_1 src1_sel:DWORD
	v_lshlrev_b16 v7, 8, v18
	v_and_b32_e32 v12, 0xf0, v4
	v_perm_b32 v17, v14, v18, 0x3020107
	v_cmp_lt_i16_sdwa s11, sext(v18), sext(v15) src0_sel:BYTE_0 src1_sel:BYTE_0
	v_or_b32_sdwa v13, v8, v7 dst_sel:WORD_1 dst_unused:UNUSED_PAD src0_sel:DWORD src1_sel:DWORD
	v_or_b32_e32 v8, 8, v12
	v_add_nc_u32_e32 v7, 16, v12
	v_cndmask_b32_e64 v17, v18, v17, s11
	v_mad_u32_u24 v18, 0x201, v0, v4
	v_and_or_b32 v16, 0xffff, v14, v13
	v_and_b32_e32 v13, 8, v4
	v_sub_nc_u32_e32 v19, v7, v8
	v_lshrrev_b32_e32 v21, 16, v17
	v_lshrrev_b32_e32 v22, 8, v17
	v_cndmask_b32_e64 v16, v14, v16, s11
	v_sub_nc_u32_e32 v14, v8, v12
	v_sub_nc_u32_e32 v20, v13, v19
	v_perm_b32 v23, v17, v17, 0x7050604
	v_cmp_ge_i32_e32 vcc_lo, v13, v19
	v_cmp_lt_i16_sdwa s18, sext(v21), sext(v22) src0_sel:BYTE_0 src1_sel:BYTE_0
	v_min_i32_e32 v15, v13, v14
	v_mul_u32_u24_e32 v0, 0x201, v0
	v_cndmask_b32_e32 v14, 0, v20, vcc_lo
	v_cndmask_b32_e64 v17, v17, v23, s18
	ds_write_b64 v18, v[16:17]
	; wave barrier
	v_cmpx_lt_i32_e64 v14, v15
	s_cbranch_execz .LBB93_4
; %bb.1:
	v_add_nc_u32_e32 v16, v0, v12
	v_add3_u32 v17, v0, v8, v13
	.p2align	6
.LBB93_2:                               ; =>This Inner Loop Header: Depth=1
	v_sub_nc_u32_e32 v18, v15, v14
	v_lshrrev_b32_e32 v18, 1, v18
	v_add_nc_u32_e32 v18, v18, v14
	v_add_nc_u32_e32 v19, v16, v18
	v_xad_u32 v20, v18, -1, v17
	v_add_nc_u32_e32 v21, 1, v18
	ds_read_i8 v19, v19
	ds_read_i8 v20, v20
	s_waitcnt lgkmcnt(0)
	v_cmp_lt_i16_e32 vcc_lo, v20, v19
	v_cndmask_b32_e32 v15, v15, v18, vcc_lo
	v_cndmask_b32_e32 v14, v21, v14, vcc_lo
	v_cmp_ge_i32_e32 vcc_lo, v14, v15
	s_or_b32 s28, vcc_lo, s28
	s_andn2_b32 exec_lo, exec_lo, s28
	s_cbranch_execnz .LBB93_2
; %bb.3:
	s_or_b32 exec_lo, exec_lo, s28
.LBB93_4:
	s_or_b32 exec_lo, exec_lo, s29
	v_and_b32_e32 v28, 0xff, v10
	v_add_nc_u32_e32 v10, v8, v13
	v_and_b32_sdwa v24, v11, v1 dst_sel:BYTE_1 dst_unused:UNUSED_PAD src0_sel:DWORD src1_sel:DWORD
	v_add_nc_u32_e32 v1, v14, v12
	v_mov_b32_e32 v15, 24
	v_lshrrev_b32_e32 v26, 16, v2
	v_sub_nc_u32_e32 v10, v10, v14
                                        ; implicit-def: $vgpr13
	v_add_nc_u32_e32 v14, v0, v1
	v_lshrrev_b32_sdwa v23, v15, v2 dst_sel:BYTE_1 dst_unused:UNUSED_PAD src0_sel:DWORD src1_sel:DWORD
	v_cmp_le_i32_e32 vcc_lo, v8, v1
	v_add_nc_u32_e32 v15, v0, v10
	v_cmp_gt_i32_e64 s29, v7, v10
	ds_read_u8 v11, v14
	ds_read_u8 v12, v15
	s_waitcnt lgkmcnt(1)
	v_bfe_i32 v11, v11, 0, 8
	s_waitcnt lgkmcnt(0)
	v_bfe_i32 v12, v12, 0, 8
	v_cmp_lt_i16_e64 s28, v12, v11
	s_or_b32 s28, vcc_lo, s28
	s_and_b32 s28, s29, s28
	s_xor_b32 s29, s28, -1
	s_and_saveexec_b32 s30, s29
	s_xor_b32 s29, exec_lo, s30
; %bb.5:
	ds_read_u8 v13, v14 offset:1
                                        ; implicit-def: $vgpr15
; %bb.6:
	s_or_saveexec_b32 s29, s29
	v_mov_b32_e32 v14, v12
	s_xor_b32 exec_lo, exec_lo, s29
	s_cbranch_execz .LBB93_8
; %bb.7:
	ds_read_u8 v14, v15 offset:1
	s_waitcnt lgkmcnt(1)
	v_mov_b32_e32 v13, v11
.LBB93_8:
	s_or_b32 exec_lo, exec_lo, s29
	v_add_nc_u32_e32 v15, 1, v1
	v_add_nc_u32_e32 v16, 1, v10
	s_waitcnt lgkmcnt(0)
	v_cmp_lt_i16_sdwa s30, sext(v14), sext(v13) src0_sel:BYTE_0 src1_sel:BYTE_0
                                        ; implicit-def: $vgpr17
	v_cndmask_b32_e64 v15, v15, v1, s28
	v_cndmask_b32_e64 v16, v10, v16, s28
	v_cmp_ge_i32_e32 vcc_lo, v15, v8
	v_cmp_lt_i32_e64 s29, v16, v7
	s_or_b32 s30, vcc_lo, s30
	s_and_b32 s29, s29, s30
	s_xor_b32 s30, s29, -1
	s_and_saveexec_b32 s31, s30
	s_xor_b32 s30, exec_lo, s31
; %bb.9:
	v_add_nc_u32_e32 v17, v0, v15
	ds_read_u8 v17, v17 offset:1
; %bb.10:
	s_or_saveexec_b32 s30, s30
	v_mov_b32_e32 v18, v14
	s_xor_b32 exec_lo, exec_lo, s30
	s_cbranch_execz .LBB93_12
; %bb.11:
	s_waitcnt lgkmcnt(0)
	v_add_nc_u32_e32 v17, v0, v16
	ds_read_u8 v18, v17 offset:1
	v_mov_b32_e32 v17, v13
.LBB93_12:
	s_or_b32 exec_lo, exec_lo, s30
	v_add_nc_u32_e32 v19, 1, v15
	v_add_nc_u32_e32 v20, 1, v16
	s_waitcnt lgkmcnt(0)
	v_cmp_lt_i16_sdwa s31, sext(v18), sext(v17) src0_sel:BYTE_0 src1_sel:BYTE_0
                                        ; implicit-def: $vgpr22
	v_cndmask_b32_e64 v19, v19, v15, s29
	v_cndmask_b32_e64 v20, v16, v20, s29
	v_cmp_ge_i32_e32 vcc_lo, v19, v8
	v_cmp_lt_i32_e64 s30, v20, v7
	s_or_b32 s31, vcc_lo, s31
	s_and_b32 s30, s30, s31
	s_xor_b32 s31, s30, -1
	s_and_saveexec_b32 s33, s31
	s_xor_b32 s31, exec_lo, s33
; %bb.13:
	v_add_nc_u32_e32 v21, v0, v19
	ds_read_u8 v22, v21 offset:1
; %bb.14:
	s_or_saveexec_b32 s31, s31
	v_mov_b32_e32 v27, v18
	s_xor_b32 exec_lo, exec_lo, s31
	s_cbranch_execz .LBB93_16
; %bb.15:
	v_add_nc_u32_e32 v21, v0, v20
	s_waitcnt lgkmcnt(0)
	v_mov_b32_e32 v22, v17
	ds_read_u8 v27, v21 offset:1
.LBB93_16:
	s_or_b32 exec_lo, exec_lo, s31
	v_add_nc_u32_e32 v21, 1, v19
	v_add_nc_u32_e32 v25, 1, v20
	s_waitcnt lgkmcnt(0)
	v_cmp_lt_i16_sdwa s33, sext(v27), sext(v22) src0_sel:BYTE_0 src1_sel:BYTE_0
                                        ; implicit-def: $vgpr31
	v_cndmask_b32_e64 v29, v21, v19, s30
	v_cndmask_b32_e64 v30, v20, v25, s30
	v_cmp_ge_i32_e32 vcc_lo, v29, v8
	v_cmp_lt_i32_e64 s31, v30, v7
	s_or_b32 s33, vcc_lo, s33
	s_and_b32 s31, s31, s33
	s_xor_b32 s33, s31, -1
	s_and_saveexec_b32 s34, s33
	s_xor_b32 s33, exec_lo, s34
; %bb.17:
	v_add_nc_u32_e32 v21, v0, v29
	ds_read_u8 v31, v21 offset:1
; %bb.18:
	s_or_saveexec_b32 s33, s33
	v_mov_b32_e32 v33, v27
	s_xor_b32 exec_lo, exec_lo, s33
	s_cbranch_execz .LBB93_20
; %bb.19:
	v_add_nc_u32_e32 v21, v0, v30
	s_waitcnt lgkmcnt(0)
	v_mov_b32_e32 v31, v22
	ds_read_u8 v33, v21 offset:1
.LBB93_20:
	s_or_b32 exec_lo, exec_lo, s33
	v_add_nc_u32_e32 v21, 1, v29
	v_add_nc_u32_e32 v25, 1, v30
	s_waitcnt lgkmcnt(0)
	v_cmp_lt_i16_sdwa s34, sext(v33), sext(v31) src0_sel:BYTE_0 src1_sel:BYTE_0
	v_cndmask_b32_e64 v37, v21, v29, s31
	v_cndmask_b32_e64 v38, v30, v25, s31
                                        ; implicit-def: $vgpr21
	v_cmp_ge_i32_e32 vcc_lo, v37, v8
	v_cmp_lt_i32_e64 s33, v38, v7
	s_or_b32 s34, vcc_lo, s34
	s_and_b32 s34, s33, s34
	s_xor_b32 s33, s34, -1
	s_and_saveexec_b32 s35, s33
	s_xor_b32 s33, exec_lo, s35
; %bb.21:
	v_add_nc_u32_e32 v21, v0, v37
	ds_read_u8 v21, v21 offset:1
; %bb.22:
	s_or_saveexec_b32 s33, s33
	v_mov_b32_e32 v25, v33
	s_xor_b32 exec_lo, exec_lo, s33
	s_cbranch_execz .LBB93_24
; %bb.23:
	s_waitcnt lgkmcnt(0)
	v_add_nc_u32_e32 v21, v0, v38
	ds_read_u8 v25, v21 offset:1
	v_mov_b32_e32 v21, v31
.LBB93_24:
	s_or_b32 exec_lo, exec_lo, s33
	v_add_nc_u32_e32 v32, 1, v37
	v_add_nc_u32_e32 v34, 1, v38
	s_waitcnt lgkmcnt(0)
	v_cmp_lt_i16_sdwa s35, sext(v25), sext(v21) src0_sel:BYTE_0 src1_sel:BYTE_0
                                        ; implicit-def: $vgpr41
	v_cndmask_b32_e64 v39, v32, v37, s34
	v_cndmask_b32_e64 v40, v38, v34, s34
	v_cmp_ge_i32_e32 vcc_lo, v39, v8
	v_cmp_lt_i32_e64 s33, v40, v7
	s_or_b32 s35, vcc_lo, s35
	s_and_b32 vcc_lo, s33, s35
	s_xor_b32 s33, vcc_lo, -1
	s_and_saveexec_b32 s35, s33
	s_xor_b32 s33, exec_lo, s35
; %bb.25:
	v_add_nc_u32_e32 v32, v0, v39
	ds_read_u8 v41, v32 offset:1
; %bb.26:
	s_or_saveexec_b32 s33, s33
	v_mov_b32_e32 v42, v25
	s_xor_b32 exec_lo, exec_lo, s33
	s_cbranch_execz .LBB93_28
; %bb.27:
	v_add_nc_u32_e32 v32, v0, v40
	s_waitcnt lgkmcnt(0)
	v_mov_b32_e32 v41, v21
	ds_read_u8 v42, v32 offset:1
.LBB93_28:
	s_or_b32 exec_lo, exec_lo, s33
	v_add_nc_u32_e32 v32, 1, v39
	v_add_nc_u32_e32 v35, 1, v40
	s_waitcnt lgkmcnt(0)
	v_cmp_lt_i16_sdwa s36, sext(v42), sext(v41) src0_sel:BYTE_0 src1_sel:BYTE_0
	v_cndmask_b32_e32 v34, v32, v39, vcc_lo
	v_cndmask_b32_e32 v36, v40, v35, vcc_lo
                                        ; implicit-def: $vgpr32
	v_cmp_ge_i32_e64 s33, v34, v8
	v_cmp_lt_i32_e64 s35, v36, v7
	s_or_b32 s33, s33, s36
	s_and_b32 s33, s35, s33
	s_xor_b32 s35, s33, -1
	s_and_saveexec_b32 s36, s35
	s_xor_b32 s35, exec_lo, s36
; %bb.29:
	v_add_nc_u32_e32 v32, v0, v34
	ds_read_u8 v32, v32 offset:1
; %bb.30:
	s_or_saveexec_b32 s35, s35
	v_mov_b32_e32 v35, v42
	s_xor_b32 exec_lo, exec_lo, s35
	s_cbranch_execz .LBB93_32
; %bb.31:
	s_waitcnt lgkmcnt(0)
	v_add_nc_u32_e32 v32, v0, v36
	ds_read_u8 v35, v32 offset:1
	v_mov_b32_e32 v32, v41
.LBB93_32:
	s_or_b32 exec_lo, exec_lo, s35
	v_add_nc_u16 v9, v9, 1
	v_add_nc_u16 v28, v28, 1
	;; [unrolled: 1-line block ×5, first 2 shown]
	v_or_b32_sdwa v9, v24, v9 dst_sel:DWORD dst_unused:UNUSED_PAD src0_sel:DWORD src1_sel:BYTE_0
	v_lshlrev_b16 v24, 8, v28
	v_lshlrev_b16 v43, 8, v6
	v_lshlrev_b16 v5, 8, v5
	v_or_b32_sdwa v23, v23, v26 dst_sel:DWORD dst_unused:UNUSED_PAD src0_sel:DWORD src1_sel:BYTE_0
	v_add_nc_u16 v9, 0x100, v9
	v_or_b32_sdwa v6, v6, v24 dst_sel:DWORD dst_unused:UNUSED_PAD src0_sel:BYTE_0 src1_sel:DWORD
	v_or_b32_sdwa v24, v28, v43 dst_sel:DWORD dst_unused:UNUSED_PAD src0_sel:BYTE_0 src1_sel:DWORD
	v_or_b32_sdwa v2, v5, v2 dst_sel:DWORD dst_unused:UNUSED_PAD src0_sel:DWORD src1_sel:BYTE_0
	v_add_nc_u16 v5, 0x100, v23
	v_cndmask_b32_e64 v13, v13, v14, s29
	v_and_b32_e32 v6, 0xffff, v6
	v_and_b32_e32 v23, 0xffff, v24
	v_lshlrev_b32_e32 v24, 16, v9
	v_add_nc_u16 v2, 0x100, v2
	v_lshlrev_b32_e32 v5, 16, v5
	v_perm_b32 v9, 0, v9, 0xc0c0001
	v_cndmask_b32_e64 v6, v6, v23, s0
	v_mov_b32_e32 v23, 0xff
	v_cndmask_b32_e64 v10, v1, v10, s28
	v_or_b32_sdwa v2, v2, v5 dst_sel:DWORD dst_unused:UNUSED_PAD src0_sel:WORD_0 src1_sel:DWORD
	v_lshlrev_b32_e32 v5, 16, v9
	v_or_b32_e32 v6, v6, v24
	v_cndmask_b32_e64 v17, v17, v18, s30
	v_cndmask_b32_e64 v18, v19, v20, s30
	v_perm_b32 v9, v2, v2, 0x7060405
	v_cndmask_b32_e64 v19, v11, v12, s28
	v_and_or_b32 v5, 0xffff, v6, v5
	v_cndmask_b32_sdwa v20, v21, v25, vcc_lo dst_sel:BYTE_1 dst_unused:UNUSED_PAD src0_sel:DWORD src1_sel:DWORD
	v_add_nc_u32_e32 v28, 1, v34
	v_cndmask_b32_e64 v2, v2, v9, s3
	v_cndmask_b32_e64 v22, v22, v27, s31
	;; [unrolled: 1-line block ×4, first 2 shown]
	v_add_nc_u32_e32 v26, 1, v36
	v_perm_b32 v6, v2, v2, 0x6070504
	v_cndmask_b32_e32 v39, v39, v40, vcc_lo
	v_perm_b32 v9, v5, v5, 0x7050604
	s_waitcnt lgkmcnt(0)
	v_cmp_lt_i16_sdwa s3, sext(v35), sext(v32) src0_sel:BYTE_0 src1_sel:BYTE_0
	v_cndmask_b32_e64 v16, v15, v16, s29
	v_cndmask_b32_e64 v2, v2, v6, s8
	;; [unrolled: 1-line block ×5, first 2 shown]
	v_add_nc_u32_e32 v10, v0, v10
	v_lshlrev_b16 v6, 8, v2
	v_add_nc_u32_e32 v16, v0, v16
	v_and_b32_sdwa v9, v5, v23 dst_sel:DWORD dst_unused:UNUSED_PAD src0_sel:WORD_1 src1_sel:DWORD
	v_add_nc_u32_e32 v18, v0, v18
	; wave barrier
	v_cndmask_b32_e64 v31, v31, v33, s34
	v_or_b32_sdwa v6, v9, v6 dst_sel:WORD_1 dst_unused:UNUSED_PAD src0_sel:DWORD src1_sel:DWORD
	v_and_b32_e32 v15, 24, v4
	v_lshlrev_b16 v22, 8, v22
	v_or_b32_sdwa v20, v31, v20 dst_sel:DWORD dst_unused:UNUSED_PAD src0_sel:BYTE_0 src1_sel:DWORD
	v_and_or_b32 v6, 0xffff, v5, v6
	v_cndmask_b32_e64 v6, v5, v6, s7
	v_perm_b32 v5, v5, v2, 0x3020107
	v_perm_b32 v9, 0, v6, 0xc0c0001
	v_cndmask_b32_e64 v2, v2, v5, s7
	v_and_or_b32 v9, 0xffff0000, v6, v9
	v_cndmask_b32_e64 v6, v6, v9, s10
	v_perm_b32 v9, v2, v2, 0x7050604
	v_lshrrev_b32_e32 v5, 16, v6
	v_cndmask_b32_e64 v2, v2, v9, s12
	v_perm_b32 v5, 0, v5, 0xc0c0001
	v_perm_b32 v9, v2, v2, 0x7060405
	v_lshlrev_b32_e32 v5, 16, v5
	v_cndmask_b32_e64 v2, v2, v9, s13
	v_and_or_b32 v5, 0xffff, v6, v5
	v_cndmask_b32_e64 v5, v6, v5, s14
	v_perm_b32 v6, v2, v2, 0x6070504
	v_perm_b32 v9, v5, v5, 0x7050604
	v_cndmask_b32_e64 v2, v2, v6, s16
	v_cndmask_b32_e64 v5, v5, v9, s17
	v_lshlrev_b16 v6, 8, v2
	v_and_b32_sdwa v9, v5, v23 dst_sel:DWORD dst_unused:UNUSED_PAD src0_sel:WORD_1 src1_sel:DWORD
	v_or_b32_sdwa v6, v9, v6 dst_sel:WORD_1 dst_unused:UNUSED_PAD src0_sel:DWORD src1_sel:DWORD
	v_and_or_b32 v6, 0xffff, v5, v6
	v_cndmask_b32_e64 v6, v5, v6, s15
	v_perm_b32 v5, v5, v2, 0x3020107
	v_perm_b32 v9, 0, v6, 0xc0c0001
	v_cndmask_b32_e64 v2, v2, v5, s15
	v_and_or_b32 v9, 0xffff0000, v6, v9
	v_cndmask_b32_e64 v6, v6, v9, s19
	v_perm_b32 v9, v2, v2, 0x7050604
	v_lshrrev_b32_e32 v5, 16, v6
	v_cndmask_b32_e64 v2, v2, v9, s20
	v_perm_b32 v5, 0, v5, 0xc0c0001
	v_perm_b32 v9, v2, v2, 0x7060405
	v_lshlrev_b32_e32 v5, 16, v5
	v_cndmask_b32_e64 v2, v2, v9, s22
	v_and_or_b32 v5, 0xffff, v6, v5
	v_cndmask_b32_e64 v5, v6, v5, s23
	v_perm_b32 v6, v2, v2, 0x6070504
	v_perm_b32 v9, v5, v5, 0x7050604
	v_cndmask_b32_e64 v2, v2, v6, s25
	v_cndmask_b32_e64 v5, v5, v9, s26
	v_lshlrev_b16 v6, 8, v2
	v_and_b32_sdwa v9, v5, v23 dst_sel:DWORD dst_unused:UNUSED_PAD src0_sel:WORD_1 src1_sel:DWORD
	v_or_b32_sdwa v6, v9, v6 dst_sel:WORD_1 dst_unused:UNUSED_PAD src0_sel:DWORD src1_sel:DWORD
	v_and_or_b32 v6, 0xffff, v5, v6
	v_cndmask_b32_e64 v6, v5, v6, s21
	v_perm_b32 v5, v5, v2, 0x3020107
	v_perm_b32 v9, 0, v6, 0xc0c0001
	v_cndmask_b32_e64 v2, v2, v5, s21
	v_and_or_b32 v9, 0xffff0000, v6, v9
	v_perm_b32 v14, v2, v2, 0x7050604
	v_cndmask_b32_e64 v6, v6, v9, s27
	v_cndmask_b32_e64 v2, v2, v14, s24
	;; [unrolled: 1-line block ×3, first 2 shown]
	v_and_b32_e32 v14, 0xe0, v4
	v_lshrrev_b32_e32 v5, 16, v6
	v_add_nc_u32_e32 v25, v0, v9
	v_perm_b32 v5, 0, v5, 0xc0c0001
	v_lshlrev_b32_e32 v1, 16, v5
	v_perm_b32 v5, v2, v2, 0x7060405
	v_and_or_b32 v11, 0xffff, v6, v1
	v_cndmask_b32_e64 v2, v2, v5, s1
	v_add_nc_u32_e32 v1, v0, v4
	v_cndmask_b32_e64 v5, v6, v11, s2
	v_perm_b32 v12, v2, v2, 0x6070504
	v_cndmask_b32_e64 v11, v28, v34, s33
	v_cndmask_b32_e64 v6, v36, v26, s33
	v_add_nc_u32_e32 v26, v0, v39
	v_perm_b32 v21, v5, v5, 0x7050604
	v_cndmask_b32_e64 v2, v2, v12, s5
	v_cmp_ge_i32_e32 vcc_lo, v11, v8
	v_cmp_lt_i32_e64 s0, v6, v7
	v_add_nc_u32_e32 v28, v0, v41
	v_cndmask_b32_e64 v12, v5, v21, s6
	v_add_nc_u32_e32 v21, v0, v27
	v_lshlrev_b16 v9, 8, v2
	s_or_b32 s1, vcc_lo, s3
	v_or_b32_e32 v5, 16, v14
	v_and_b32_sdwa v23, v12, v23 dst_sel:DWORD dst_unused:UNUSED_PAD src0_sel:WORD_1 src1_sel:DWORD
	v_perm_b32 v27, v12, v2, 0x3020107
	s_and_b32 vcc_lo, s0, s1
	s_mov_b32 s0, 0
	v_cndmask_b32_e32 v11, v11, v6, vcc_lo
	v_or_b32_sdwa v8, v23, v9 dst_sel:WORD_1 dst_unused:UNUSED_PAD src0_sel:DWORD src1_sel:DWORD
	v_cndmask_b32_e64 v9, v2, v27, s11
	v_lshlrev_b16 v27, 8, v13
	v_add_nc_u32_e32 v2, 32, v14
	v_add_nc_u32_e32 v13, v0, v11
	v_and_or_b32 v7, 0xffff, v12, v8
	v_perm_b32 v8, v9, v9, 0x7050604
	v_cndmask_b32_e32 v23, v32, v35, vcc_lo
	v_sub_nc_u32_e32 v29, v2, v5
	s_mov_b32 s1, exec_lo
	v_cndmask_b32_e64 v6, v12, v7, s11
	v_cndmask_b32_e64 v7, v9, v8, s18
	v_cmp_ge_i32_e32 vcc_lo, v15, v29
	ds_write_b64 v1, v[6:7]
	; wave barrier
	ds_read_u8 v6, v10
	ds_read_u8 v7, v16
	;; [unrolled: 1-line block ×8, first 2 shown]
	v_lshlrev_b16 v16, 8, v23
	v_or_b32_sdwa v18, v19, v27 dst_sel:DWORD dst_unused:UNUSED_PAD src0_sel:BYTE_0 src1_sel:DWORD
	v_or_b32_sdwa v19, v17, v22 dst_sel:WORD_1 dst_unused:UNUSED_PAD src0_sel:BYTE_0 src1_sel:DWORD
	v_sub_nc_u32_e32 v17, v15, v29
	v_sub_nc_u32_e32 v21, v5, v14
	v_or_b32_sdwa v22, v24, v16 dst_sel:WORD_1 dst_unused:UNUSED_PAD src0_sel:BYTE_0 src1_sel:DWORD
	v_or_b32_sdwa v18, v18, v19 dst_sel:DWORD dst_unused:UNUSED_PAD src0_sel:WORD_0 src1_sel:DWORD
	v_cndmask_b32_e32 v16, 0, v17, vcc_lo
	v_min_i32_e32 v17, v15, v21
	v_or_b32_sdwa v19, v20, v22 dst_sel:DWORD dst_unused:UNUSED_PAD src0_sel:WORD_0 src1_sel:DWORD
	; wave barrier
	ds_write_b64 v1, v[18:19]
	; wave barrier
	v_cmpx_lt_i32_e64 v16, v17
	s_cbranch_execz .LBB93_36
; %bb.33:
	v_add_nc_u32_e32 v18, v0, v14
	v_add3_u32 v19, v0, v5, v15
	.p2align	6
.LBB93_34:                              ; =>This Inner Loop Header: Depth=1
	v_sub_nc_u32_e32 v20, v17, v16
	v_lshrrev_b32_e32 v20, 1, v20
	v_add_nc_u32_e32 v20, v20, v16
	v_add_nc_u32_e32 v21, v18, v20
	v_xad_u32 v22, v20, -1, v19
	v_add_nc_u32_e32 v23, 1, v20
	ds_read_i8 v21, v21
	ds_read_i8 v22, v22
	s_waitcnt lgkmcnt(0)
	v_cmp_lt_i16_e32 vcc_lo, v22, v21
	v_cndmask_b32_e32 v17, v17, v20, vcc_lo
	v_cndmask_b32_e32 v16, v23, v16, vcc_lo
	v_cmp_ge_i32_e32 vcc_lo, v16, v17
	s_or_b32 s0, vcc_lo, s0
	s_andn2_b32 exec_lo, exec_lo, s0
	s_cbranch_execnz .LBB93_34
; %bb.35:
	s_or_b32 exec_lo, exec_lo, s0
.LBB93_36:
	s_or_b32 exec_lo, exec_lo, s1
	v_add_nc_u32_e32 v15, v5, v15
	v_add_nc_u32_e32 v14, v16, v14
                                        ; implicit-def: $vgpr18
	v_sub_nc_u32_e32 v15, v15, v16
	v_add_nc_u32_e32 v19, v0, v14
	v_cmp_le_i32_e32 vcc_lo, v5, v14
	v_add_nc_u32_e32 v20, v0, v15
	v_cmp_gt_i32_e64 s1, v2, v15
	ds_read_u8 v16, v19
	ds_read_u8 v17, v20
	s_waitcnt lgkmcnt(1)
	v_bfe_i32 v16, v16, 0, 8
	s_waitcnt lgkmcnt(0)
	v_bfe_i32 v17, v17, 0, 8
	v_cmp_lt_i16_e64 s0, v17, v16
	s_or_b32 s0, vcc_lo, s0
	s_and_b32 s0, s1, s0
	s_xor_b32 s1, s0, -1
	s_and_saveexec_b32 s2, s1
	s_xor_b32 s1, exec_lo, s2
; %bb.37:
	ds_read_u8 v18, v19 offset:1
                                        ; implicit-def: $vgpr20
; %bb.38:
	s_or_saveexec_b32 s1, s1
	v_mov_b32_e32 v19, v17
	s_xor_b32 exec_lo, exec_lo, s1
	s_cbranch_execz .LBB93_40
; %bb.39:
	ds_read_u8 v19, v20 offset:1
	s_waitcnt lgkmcnt(1)
	v_mov_b32_e32 v18, v16
.LBB93_40:
	s_or_b32 exec_lo, exec_lo, s1
	v_add_nc_u32_e32 v20, 1, v14
	v_add_nc_u32_e32 v21, 1, v15
	s_waitcnt lgkmcnt(0)
	v_cmp_lt_i16_sdwa s2, sext(v19), sext(v18) src0_sel:BYTE_0 src1_sel:BYTE_0
                                        ; implicit-def: $vgpr22
	v_cndmask_b32_e64 v20, v20, v14, s0
	v_cndmask_b32_e64 v21, v15, v21, s0
	v_cmp_ge_i32_e32 vcc_lo, v20, v5
	v_cmp_lt_i32_e64 s1, v21, v2
	s_or_b32 s2, vcc_lo, s2
	s_and_b32 s1, s1, s2
	s_xor_b32 s2, s1, -1
	s_and_saveexec_b32 s3, s2
	s_xor_b32 s2, exec_lo, s3
; %bb.41:
	v_add_nc_u32_e32 v22, v0, v20
	ds_read_u8 v22, v22 offset:1
; %bb.42:
	s_or_saveexec_b32 s2, s2
	v_mov_b32_e32 v23, v19
	s_xor_b32 exec_lo, exec_lo, s2
	s_cbranch_execz .LBB93_44
; %bb.43:
	s_waitcnt lgkmcnt(0)
	v_add_nc_u32_e32 v22, v0, v21
	ds_read_u8 v23, v22 offset:1
	v_mov_b32_e32 v22, v18
.LBB93_44:
	s_or_b32 exec_lo, exec_lo, s2
	v_add_nc_u32_e32 v24, 1, v20
	v_add_nc_u32_e32 v25, 1, v21
	s_waitcnt lgkmcnt(0)
	v_cmp_lt_i16_sdwa s3, sext(v23), sext(v22) src0_sel:BYTE_0 src1_sel:BYTE_0
                                        ; implicit-def: $vgpr26
	v_cndmask_b32_e64 v24, v24, v20, s1
	v_cndmask_b32_e64 v25, v21, v25, s1
	v_cmp_ge_i32_e32 vcc_lo, v24, v5
	v_cmp_lt_i32_e64 s2, v25, v2
	s_or_b32 s3, vcc_lo, s3
	s_and_b32 s2, s2, s3
	s_xor_b32 s3, s2, -1
	s_and_saveexec_b32 s4, s3
	s_xor_b32 s3, exec_lo, s4
; %bb.45:
	v_add_nc_u32_e32 v26, v0, v24
	ds_read_u8 v26, v26 offset:1
; %bb.46:
	s_or_saveexec_b32 s3, s3
	v_mov_b32_e32 v27, v23
	s_xor_b32 exec_lo, exec_lo, s3
	s_cbranch_execz .LBB93_48
; %bb.47:
	s_waitcnt lgkmcnt(0)
	v_add_nc_u32_e32 v26, v0, v25
	ds_read_u8 v27, v26 offset:1
	v_mov_b32_e32 v26, v22
.LBB93_48:
	s_or_b32 exec_lo, exec_lo, s3
	v_add_nc_u32_e32 v28, 1, v24
	v_add_nc_u32_e32 v29, 1, v25
	s_waitcnt lgkmcnt(0)
	v_cmp_lt_i16_sdwa s4, sext(v27), sext(v26) src0_sel:BYTE_0 src1_sel:BYTE_0
                                        ; implicit-def: $vgpr30
	v_cndmask_b32_e64 v28, v28, v24, s2
	v_cndmask_b32_e64 v29, v25, v29, s2
	v_cmp_ge_i32_e32 vcc_lo, v28, v5
	v_cmp_lt_i32_e64 s3, v29, v2
	s_or_b32 s4, vcc_lo, s4
	s_and_b32 s3, s3, s4
	s_xor_b32 s4, s3, -1
	s_and_saveexec_b32 s5, s4
	s_xor_b32 s4, exec_lo, s5
; %bb.49:
	v_add_nc_u32_e32 v30, v0, v28
	ds_read_u8 v30, v30 offset:1
; %bb.50:
	s_or_saveexec_b32 s4, s4
	v_mov_b32_e32 v31, v27
	s_xor_b32 exec_lo, exec_lo, s4
	s_cbranch_execz .LBB93_52
; %bb.51:
	s_waitcnt lgkmcnt(0)
	v_add_nc_u32_e32 v30, v0, v29
	ds_read_u8 v31, v30 offset:1
	v_mov_b32_e32 v30, v26
.LBB93_52:
	s_or_b32 exec_lo, exec_lo, s4
	v_add_nc_u32_e32 v32, 1, v28
	v_add_nc_u32_e32 v33, 1, v29
	s_waitcnt lgkmcnt(0)
	v_cmp_lt_i16_sdwa s5, sext(v31), sext(v30) src0_sel:BYTE_0 src1_sel:BYTE_0
                                        ; implicit-def: $vgpr34
	v_cndmask_b32_e64 v32, v32, v28, s3
	v_cndmask_b32_e64 v33, v29, v33, s3
	v_cmp_ge_i32_e32 vcc_lo, v32, v5
	v_cmp_lt_i32_e64 s4, v33, v2
	s_or_b32 s5, vcc_lo, s5
	s_and_b32 s4, s4, s5
	s_xor_b32 s5, s4, -1
	s_and_saveexec_b32 s6, s5
	s_xor_b32 s5, exec_lo, s6
; %bb.53:
	v_add_nc_u32_e32 v34, v0, v32
	ds_read_u8 v34, v34 offset:1
; %bb.54:
	s_or_saveexec_b32 s5, s5
	v_mov_b32_e32 v35, v31
	s_xor_b32 exec_lo, exec_lo, s5
	s_cbranch_execz .LBB93_56
; %bb.55:
	s_waitcnt lgkmcnt(0)
	v_add_nc_u32_e32 v34, v0, v33
	ds_read_u8 v35, v34 offset:1
	v_mov_b32_e32 v34, v30
.LBB93_56:
	s_or_b32 exec_lo, exec_lo, s5
	v_add_nc_u32_e32 v36, 1, v32
	v_add_nc_u32_e32 v37, 1, v33
	s_waitcnt lgkmcnt(0)
	v_cmp_lt_i16_sdwa s6, sext(v35), sext(v34) src0_sel:BYTE_0 src1_sel:BYTE_0
                                        ; implicit-def: $vgpr38
	v_cndmask_b32_e64 v36, v36, v32, s4
	v_cndmask_b32_e64 v37, v33, v37, s4
	v_cmp_ge_i32_e32 vcc_lo, v36, v5
	v_cmp_lt_i32_e64 s5, v37, v2
	s_or_b32 s6, vcc_lo, s6
	s_and_b32 vcc_lo, s5, s6
	s_xor_b32 s5, vcc_lo, -1
	s_and_saveexec_b32 s6, s5
	s_xor_b32 s5, exec_lo, s6
; %bb.57:
	v_add_nc_u32_e32 v38, v0, v36
	ds_read_u8 v38, v38 offset:1
; %bb.58:
	s_or_saveexec_b32 s5, s5
	v_mov_b32_e32 v40, v35
	s_xor_b32 exec_lo, exec_lo, s5
	s_cbranch_execz .LBB93_60
; %bb.59:
	s_waitcnt lgkmcnt(0)
	v_add_nc_u32_e32 v38, v0, v37
	ds_read_u8 v40, v38 offset:1
	v_mov_b32_e32 v38, v34
.LBB93_60:
	s_or_b32 exec_lo, exec_lo, s5
	v_add_nc_u32_e32 v39, 1, v36
	v_add_nc_u32_e32 v41, 1, v37
	s_waitcnt lgkmcnt(0)
	v_cmp_lt_i16_sdwa s7, sext(v40), sext(v38) src0_sel:BYTE_0 src1_sel:BYTE_0
	v_cndmask_b32_e32 v42, v39, v36, vcc_lo
	v_cndmask_b32_e32 v43, v37, v41, vcc_lo
                                        ; implicit-def: $vgpr39
	v_cmp_ge_i32_e64 s5, v42, v5
	v_cmp_lt_i32_e64 s6, v43, v2
	s_or_b32 s5, s5, s7
	s_and_b32 s5, s6, s5
	s_xor_b32 s6, s5, -1
	s_and_saveexec_b32 s7, s6
	s_xor_b32 s6, exec_lo, s7
; %bb.61:
	v_add_nc_u32_e32 v39, v0, v42
	ds_read_u8 v39, v39 offset:1
; %bb.62:
	s_or_saveexec_b32 s6, s6
	v_mov_b32_e32 v41, v40
	s_xor_b32 exec_lo, exec_lo, s6
	s_cbranch_execz .LBB93_64
; %bb.63:
	s_waitcnt lgkmcnt(0)
	v_add_nc_u32_e32 v39, v0, v43
	ds_read_u8 v41, v39 offset:1
	v_mov_b32_e32 v39, v38
.LBB93_64:
	s_or_b32 exec_lo, exec_lo, s6
	v_add_nc_u32_e32 v44, 1, v43
	v_add_nc_u32_e32 v45, 1, v42
	v_cndmask_b32_e64 v38, v38, v40, s5
	v_cndmask_b32_sdwa v34, v34, v35, vcc_lo dst_sel:BYTE_1 dst_unused:UNUSED_PAD src0_sel:DWORD src1_sel:DWORD
	v_cndmask_b32_e32 v35, v36, v37, vcc_lo
	v_cndmask_b32_e64 v40, v43, v44, s5
	v_cndmask_b32_e64 v44, v45, v42, s5
	v_perm_b32 v7, v6, v7, 0xc0c0004
	v_perm_b32 v8, v8, v9, 0xc0c0004
	v_cndmask_b32_e64 v22, v22, v23, s2
	v_cndmask_b32_e64 v23, v24, v25, s2
	v_cmp_ge_i32_e32 vcc_lo, v44, v5
	v_perm_b32 v5, v10, v11, 0xc0c0004
	v_perm_b32 v10, v12, v13, 0xc0c0004
	s_waitcnt lgkmcnt(0)
	v_cmp_lt_i16_sdwa s2, sext(v41), sext(v39) src0_sel:BYTE_0 src1_sel:BYTE_0
	v_cndmask_b32_e64 v18, v18, v19, s1
	v_cndmask_b32_e64 v19, v20, v21, s1
	v_cmp_lt_i32_e64 s1, v40, v2
	v_cndmask_b32_e64 v2, v14, v15, s0
	v_lshl_or_b32 v6, v10, 16, v5
	v_lshl_or_b32 v5, v8, 16, v7
	v_cndmask_b32_e64 v16, v16, v17, s0
	s_or_b32 s0, vcc_lo, s2
	v_cndmask_b32_e64 v26, v26, v27, s3
	v_cndmask_b32_e64 v27, v28, v29, s3
	s_and_b32 vcc_lo, s1, s0
	v_cndmask_b32_e64 v42, v42, v43, s5
	v_cndmask_b32_e64 v30, v30, v31, s4
	;; [unrolled: 1-line block ×3, first 2 shown]
	v_cndmask_b32_e32 v7, v44, v40, vcc_lo
	; wave barrier
	ds_write_b64 v1, v[5:6]
	v_add_nc_u32_e32 v5, v0, v2
	v_add_nc_u32_e32 v6, v0, v19
	;; [unrolled: 1-line block ×7, first 2 shown]
	; wave barrier
	v_add_nc_u32_e32 v15, v0, v7
	ds_read_u8 v5, v5
	ds_read_u8 v6, v6
	;; [unrolled: 1-line block ×8, first 2 shown]
	v_and_b32_e32 v14, 0xc0, v4
	v_cndmask_b32_e32 v17, v39, v41, vcc_lo
	v_lshlrev_b16 v18, 8, v18
	v_lshlrev_b16 v19, 8, v26
	v_and_b32_e32 v15, 56, v4
	v_or_b32_e32 v13, 32, v14
	v_add_nc_u32_e32 v2, 64, v14
	v_lshlrev_b16 v17, 8, v17
	v_or_b32_sdwa v16, v16, v18 dst_sel:DWORD dst_unused:UNUSED_PAD src0_sel:BYTE_0 src1_sel:DWORD
	v_or_b32_sdwa v18, v22, v19 dst_sel:WORD_1 dst_unused:UNUSED_PAD src0_sel:BYTE_0 src1_sel:DWORD
	v_or_b32_sdwa v19, v30, v34 dst_sel:DWORD dst_unused:UNUSED_PAD src0_sel:BYTE_0 src1_sel:DWORD
	v_sub_nc_u32_e32 v20, v2, v13
	v_sub_nc_u32_e32 v22, v13, v14
	v_or_b32_sdwa v23, v38, v17 dst_sel:WORD_1 dst_unused:UNUSED_PAD src0_sel:BYTE_0 src1_sel:DWORD
	v_or_b32_sdwa v18, v16, v18 dst_sel:DWORD dst_unused:UNUSED_PAD src0_sel:WORD_0 src1_sel:DWORD
	s_mov_b32 s1, 0
	v_sub_nc_u32_e32 v21, v15, v20
	v_cmp_ge_i32_e32 vcc_lo, v15, v20
	v_min_i32_e32 v17, v15, v22
	v_or_b32_sdwa v19, v19, v23 dst_sel:DWORD dst_unused:UNUSED_PAD src0_sel:WORD_0 src1_sel:DWORD
	s_mov_b32 s0, exec_lo
	v_cndmask_b32_e32 v16, 0, v21, vcc_lo
	; wave barrier
	ds_write_b64 v1, v[18:19]
	; wave barrier
	v_cmpx_lt_i32_e64 v16, v17
	s_cbranch_execz .LBB93_68
; %bb.65:
	v_add_nc_u32_e32 v18, v0, v14
	v_add3_u32 v19, v0, v13, v15
	.p2align	6
.LBB93_66:                              ; =>This Inner Loop Header: Depth=1
	v_sub_nc_u32_e32 v20, v17, v16
	v_lshrrev_b32_e32 v20, 1, v20
	v_add_nc_u32_e32 v20, v20, v16
	v_add_nc_u32_e32 v21, v18, v20
	v_xad_u32 v22, v20, -1, v19
	v_add_nc_u32_e32 v23, 1, v20
	ds_read_i8 v21, v21
	ds_read_i8 v22, v22
	s_waitcnt lgkmcnt(0)
	v_cmp_lt_i16_e32 vcc_lo, v22, v21
	v_cndmask_b32_e32 v17, v17, v20, vcc_lo
	v_cndmask_b32_e32 v16, v23, v16, vcc_lo
	v_cmp_ge_i32_e32 vcc_lo, v16, v17
	s_or_b32 s1, vcc_lo, s1
	s_andn2_b32 exec_lo, exec_lo, s1
	s_cbranch_execnz .LBB93_66
; %bb.67:
	s_or_b32 exec_lo, exec_lo, s1
.LBB93_68:
	s_or_b32 exec_lo, exec_lo, s0
	v_add_nc_u32_e32 v15, v13, v15
	v_add_nc_u32_e32 v14, v16, v14
                                        ; implicit-def: $vgpr18
	v_sub_nc_u32_e32 v15, v15, v16
	v_add_nc_u32_e32 v19, v0, v14
	v_cmp_le_i32_e32 vcc_lo, v13, v14
	v_add_nc_u32_e32 v20, v0, v15
	v_cmp_gt_i32_e64 s1, v2, v15
	ds_read_u8 v16, v19
	ds_read_u8 v17, v20
	s_waitcnt lgkmcnt(1)
	v_bfe_i32 v16, v16, 0, 8
	s_waitcnt lgkmcnt(0)
	v_bfe_i32 v17, v17, 0, 8
	v_cmp_lt_i16_e64 s0, v17, v16
	s_or_b32 s0, vcc_lo, s0
	s_and_b32 s0, s1, s0
	s_xor_b32 s1, s0, -1
	s_and_saveexec_b32 s2, s1
	s_xor_b32 s1, exec_lo, s2
; %bb.69:
	ds_read_u8 v18, v19 offset:1
                                        ; implicit-def: $vgpr20
; %bb.70:
	s_or_saveexec_b32 s1, s1
	v_mov_b32_e32 v19, v17
	s_xor_b32 exec_lo, exec_lo, s1
	s_cbranch_execz .LBB93_72
; %bb.71:
	ds_read_u8 v19, v20 offset:1
	s_waitcnt lgkmcnt(1)
	v_mov_b32_e32 v18, v16
.LBB93_72:
	s_or_b32 exec_lo, exec_lo, s1
	v_add_nc_u32_e32 v20, 1, v14
	v_add_nc_u32_e32 v21, 1, v15
	s_waitcnt lgkmcnt(0)
	v_cmp_lt_i16_sdwa s2, sext(v19), sext(v18) src0_sel:BYTE_0 src1_sel:BYTE_0
                                        ; implicit-def: $vgpr22
	v_cndmask_b32_e64 v20, v20, v14, s0
	v_cndmask_b32_e64 v21, v15, v21, s0
	v_cmp_ge_i32_e32 vcc_lo, v20, v13
	v_cmp_lt_i32_e64 s1, v21, v2
	s_or_b32 s2, vcc_lo, s2
	s_and_b32 s1, s1, s2
	s_xor_b32 s2, s1, -1
	s_and_saveexec_b32 s3, s2
	s_xor_b32 s2, exec_lo, s3
; %bb.73:
	v_add_nc_u32_e32 v22, v0, v20
	ds_read_u8 v22, v22 offset:1
; %bb.74:
	s_or_saveexec_b32 s2, s2
	v_mov_b32_e32 v23, v19
	s_xor_b32 exec_lo, exec_lo, s2
	s_cbranch_execz .LBB93_76
; %bb.75:
	s_waitcnt lgkmcnt(0)
	v_add_nc_u32_e32 v22, v0, v21
	ds_read_u8 v23, v22 offset:1
	v_mov_b32_e32 v22, v18
.LBB93_76:
	s_or_b32 exec_lo, exec_lo, s2
	v_add_nc_u32_e32 v24, 1, v20
	v_add_nc_u32_e32 v25, 1, v21
	s_waitcnt lgkmcnt(0)
	v_cmp_lt_i16_sdwa s3, sext(v23), sext(v22) src0_sel:BYTE_0 src1_sel:BYTE_0
                                        ; implicit-def: $vgpr26
	v_cndmask_b32_e64 v24, v24, v20, s1
	v_cndmask_b32_e64 v25, v21, v25, s1
	v_cmp_ge_i32_e32 vcc_lo, v24, v13
	v_cmp_lt_i32_e64 s2, v25, v2
	s_or_b32 s3, vcc_lo, s3
	s_and_b32 s2, s2, s3
	s_xor_b32 s3, s2, -1
	s_and_saveexec_b32 s4, s3
	s_xor_b32 s3, exec_lo, s4
; %bb.77:
	v_add_nc_u32_e32 v26, v0, v24
	ds_read_u8 v26, v26 offset:1
; %bb.78:
	s_or_saveexec_b32 s3, s3
	v_mov_b32_e32 v27, v23
	s_xor_b32 exec_lo, exec_lo, s3
	s_cbranch_execz .LBB93_80
; %bb.79:
	s_waitcnt lgkmcnt(0)
	v_add_nc_u32_e32 v26, v0, v25
	ds_read_u8 v27, v26 offset:1
	v_mov_b32_e32 v26, v22
.LBB93_80:
	s_or_b32 exec_lo, exec_lo, s3
	v_add_nc_u32_e32 v28, 1, v24
	v_add_nc_u32_e32 v29, 1, v25
	s_waitcnt lgkmcnt(0)
	v_cmp_lt_i16_sdwa s4, sext(v27), sext(v26) src0_sel:BYTE_0 src1_sel:BYTE_0
                                        ; implicit-def: $vgpr30
	v_cndmask_b32_e64 v28, v28, v24, s2
	v_cndmask_b32_e64 v29, v25, v29, s2
	v_cmp_ge_i32_e32 vcc_lo, v28, v13
	v_cmp_lt_i32_e64 s3, v29, v2
	s_or_b32 s4, vcc_lo, s4
	s_and_b32 s3, s3, s4
	s_xor_b32 s4, s3, -1
	s_and_saveexec_b32 s5, s4
	s_xor_b32 s4, exec_lo, s5
; %bb.81:
	v_add_nc_u32_e32 v30, v0, v28
	ds_read_u8 v30, v30 offset:1
; %bb.82:
	s_or_saveexec_b32 s4, s4
	v_mov_b32_e32 v31, v27
	s_xor_b32 exec_lo, exec_lo, s4
	s_cbranch_execz .LBB93_84
; %bb.83:
	s_waitcnt lgkmcnt(0)
	v_add_nc_u32_e32 v30, v0, v29
	ds_read_u8 v31, v30 offset:1
	v_mov_b32_e32 v30, v26
.LBB93_84:
	s_or_b32 exec_lo, exec_lo, s4
	v_add_nc_u32_e32 v32, 1, v28
	v_add_nc_u32_e32 v33, 1, v29
	s_waitcnt lgkmcnt(0)
	v_cmp_lt_i16_sdwa s5, sext(v31), sext(v30) src0_sel:BYTE_0 src1_sel:BYTE_0
                                        ; implicit-def: $vgpr34
	v_cndmask_b32_e64 v32, v32, v28, s3
	v_cndmask_b32_e64 v33, v29, v33, s3
	v_cmp_ge_i32_e32 vcc_lo, v32, v13
	v_cmp_lt_i32_e64 s4, v33, v2
	s_or_b32 s5, vcc_lo, s5
	s_and_b32 s4, s4, s5
	s_xor_b32 s5, s4, -1
	s_and_saveexec_b32 s6, s5
	s_xor_b32 s5, exec_lo, s6
; %bb.85:
	v_add_nc_u32_e32 v34, v0, v32
	ds_read_u8 v34, v34 offset:1
; %bb.86:
	s_or_saveexec_b32 s5, s5
	v_mov_b32_e32 v35, v31
	s_xor_b32 exec_lo, exec_lo, s5
	s_cbranch_execz .LBB93_88
; %bb.87:
	s_waitcnt lgkmcnt(0)
	v_add_nc_u32_e32 v34, v0, v33
	ds_read_u8 v35, v34 offset:1
	v_mov_b32_e32 v34, v30
.LBB93_88:
	s_or_b32 exec_lo, exec_lo, s5
	v_add_nc_u32_e32 v36, 1, v32
	v_add_nc_u32_e32 v37, 1, v33
	s_waitcnt lgkmcnt(0)
	v_cmp_lt_i16_sdwa s6, sext(v35), sext(v34) src0_sel:BYTE_0 src1_sel:BYTE_0
                                        ; implicit-def: $vgpr38
	v_cndmask_b32_e64 v36, v36, v32, s4
	v_cndmask_b32_e64 v37, v33, v37, s4
	v_cmp_ge_i32_e32 vcc_lo, v36, v13
	v_cmp_lt_i32_e64 s5, v37, v2
	s_or_b32 s6, vcc_lo, s6
	s_and_b32 vcc_lo, s5, s6
	s_xor_b32 s5, vcc_lo, -1
	s_and_saveexec_b32 s6, s5
	s_xor_b32 s5, exec_lo, s6
; %bb.89:
	v_add_nc_u32_e32 v38, v0, v36
	ds_read_u8 v38, v38 offset:1
; %bb.90:
	s_or_saveexec_b32 s5, s5
	v_mov_b32_e32 v40, v35
	s_xor_b32 exec_lo, exec_lo, s5
	s_cbranch_execz .LBB93_92
; %bb.91:
	s_waitcnt lgkmcnt(0)
	v_add_nc_u32_e32 v38, v0, v37
	ds_read_u8 v40, v38 offset:1
	v_mov_b32_e32 v38, v34
.LBB93_92:
	s_or_b32 exec_lo, exec_lo, s5
	v_add_nc_u32_e32 v39, 1, v36
	v_add_nc_u32_e32 v41, 1, v37
	s_waitcnt lgkmcnt(0)
	v_cmp_lt_i16_sdwa s7, sext(v40), sext(v38) src0_sel:BYTE_0 src1_sel:BYTE_0
	v_cndmask_b32_e32 v42, v39, v36, vcc_lo
	v_cndmask_b32_e32 v43, v37, v41, vcc_lo
                                        ; implicit-def: $vgpr39
	v_cmp_ge_i32_e64 s5, v42, v13
	v_cmp_lt_i32_e64 s6, v43, v2
	s_or_b32 s5, s5, s7
	s_and_b32 s5, s6, s5
	s_xor_b32 s6, s5, -1
	s_and_saveexec_b32 s7, s6
	s_xor_b32 s6, exec_lo, s7
; %bb.93:
	v_add_nc_u32_e32 v39, v0, v42
	ds_read_u8 v39, v39 offset:1
; %bb.94:
	s_or_saveexec_b32 s6, s6
	v_mov_b32_e32 v41, v40
	s_xor_b32 exec_lo, exec_lo, s6
	s_cbranch_execz .LBB93_96
; %bb.95:
	s_waitcnt lgkmcnt(0)
	v_add_nc_u32_e32 v39, v0, v43
	ds_read_u8 v41, v39 offset:1
	v_mov_b32_e32 v39, v38
.LBB93_96:
	s_or_b32 exec_lo, exec_lo, s6
	v_add_nc_u32_e32 v44, 1, v43
	v_add_nc_u32_e32 v45, 1, v42
	v_cndmask_b32_e64 v38, v38, v40, s5
	v_perm_b32 v9, v9, v10, 0xc0c0004
	v_perm_b32 v10, v11, v12, 0xc0c0004
	v_cndmask_b32_e64 v40, v43, v44, s5
	v_cndmask_b32_e64 v44, v45, v42, s5
	v_perm_b32 v5, v5, v6, 0xc0c0004
	v_perm_b32 v7, v7, v8, 0xc0c0004
	v_cndmask_b32_sdwa v34, v34, v35, vcc_lo dst_sel:BYTE_1 dst_unused:UNUSED_PAD src0_sel:DWORD src1_sel:DWORD
	v_cndmask_b32_e32 v35, v36, v37, vcc_lo
	v_cndmask_b32_e64 v22, v22, v23, s2
	v_cndmask_b32_e64 v23, v24, v25, s2
	v_cmp_ge_i32_e32 vcc_lo, v44, v13
	s_waitcnt lgkmcnt(0)
	v_cmp_lt_i16_sdwa s2, sext(v41), sext(v39) src0_sel:BYTE_0 src1_sel:BYTE_0
	v_cndmask_b32_e64 v18, v18, v19, s1
	v_cndmask_b32_e64 v19, v20, v21, s1
	v_cmp_lt_i32_e64 s1, v40, v2
	v_cndmask_b32_e64 v2, v14, v15, s0
	v_lshl_or_b32 v6, v10, 16, v9
	v_lshl_or_b32 v5, v7, 16, v5
	v_cndmask_b32_e64 v16, v16, v17, s0
	s_or_b32 s0, vcc_lo, s2
	v_cndmask_b32_e64 v26, v26, v27, s3
	v_cndmask_b32_e64 v27, v28, v29, s3
	s_and_b32 vcc_lo, s1, s0
	v_cndmask_b32_e64 v42, v42, v43, s5
	v_cndmask_b32_e64 v30, v30, v31, s4
	;; [unrolled: 1-line block ×3, first 2 shown]
	v_cndmask_b32_e32 v7, v44, v40, vcc_lo
	; wave barrier
	ds_write_b64 v1, v[5:6]
	v_add_nc_u32_e32 v5, v0, v2
	v_add_nc_u32_e32 v6, v0, v19
	;; [unrolled: 1-line block ×7, first 2 shown]
	; wave barrier
	v_add_nc_u32_e32 v15, v0, v7
	ds_read_u8 v5, v5
	ds_read_u8 v6, v6
	;; [unrolled: 1-line block ×8, first 2 shown]
	v_and_b32_e32 v14, 0x80, v4
	v_cndmask_b32_e32 v17, v39, v41, vcc_lo
	v_lshlrev_b16 v18, 8, v18
	v_lshlrev_b16 v19, 8, v26
	v_and_b32_e32 v15, 0x78, v4
	v_or_b32_e32 v13, 64, v14
	v_add_nc_u32_e32 v2, 0x80, v14
	v_lshlrev_b16 v17, 8, v17
	v_or_b32_sdwa v16, v16, v18 dst_sel:DWORD dst_unused:UNUSED_PAD src0_sel:BYTE_0 src1_sel:DWORD
	v_or_b32_sdwa v18, v22, v19 dst_sel:WORD_1 dst_unused:UNUSED_PAD src0_sel:BYTE_0 src1_sel:DWORD
	v_or_b32_sdwa v19, v30, v34 dst_sel:DWORD dst_unused:UNUSED_PAD src0_sel:BYTE_0 src1_sel:DWORD
	v_sub_nc_u32_e32 v20, v2, v13
	v_sub_nc_u32_e32 v22, v13, v14
	v_or_b32_sdwa v23, v38, v17 dst_sel:WORD_1 dst_unused:UNUSED_PAD src0_sel:BYTE_0 src1_sel:DWORD
	v_or_b32_sdwa v18, v16, v18 dst_sel:DWORD dst_unused:UNUSED_PAD src0_sel:WORD_0 src1_sel:DWORD
	s_mov_b32 s1, 0
	v_sub_nc_u32_e32 v21, v15, v20
	v_cmp_ge_i32_e32 vcc_lo, v15, v20
	v_min_i32_e32 v17, v15, v22
	v_or_b32_sdwa v19, v19, v23 dst_sel:DWORD dst_unused:UNUSED_PAD src0_sel:WORD_0 src1_sel:DWORD
	s_mov_b32 s0, exec_lo
	v_cndmask_b32_e32 v16, 0, v21, vcc_lo
	; wave barrier
	ds_write_b64 v1, v[18:19]
	; wave barrier
	v_cmpx_lt_i32_e64 v16, v17
	s_cbranch_execz .LBB93_100
; %bb.97:
	v_add_nc_u32_e32 v18, v0, v14
	v_add3_u32 v19, v0, v13, v15
	.p2align	6
.LBB93_98:                              ; =>This Inner Loop Header: Depth=1
	v_sub_nc_u32_e32 v20, v17, v16
	v_lshrrev_b32_e32 v20, 1, v20
	v_add_nc_u32_e32 v20, v20, v16
	v_add_nc_u32_e32 v21, v18, v20
	v_xad_u32 v22, v20, -1, v19
	v_add_nc_u32_e32 v23, 1, v20
	ds_read_i8 v21, v21
	ds_read_i8 v22, v22
	s_waitcnt lgkmcnt(0)
	v_cmp_lt_i16_e32 vcc_lo, v22, v21
	v_cndmask_b32_e32 v17, v17, v20, vcc_lo
	v_cndmask_b32_e32 v16, v23, v16, vcc_lo
	v_cmp_ge_i32_e32 vcc_lo, v16, v17
	s_or_b32 s1, vcc_lo, s1
	s_andn2_b32 exec_lo, exec_lo, s1
	s_cbranch_execnz .LBB93_98
; %bb.99:
	s_or_b32 exec_lo, exec_lo, s1
.LBB93_100:
	s_or_b32 exec_lo, exec_lo, s0
	v_add_nc_u32_e32 v15, v13, v15
	v_add_nc_u32_e32 v14, v16, v14
                                        ; implicit-def: $vgpr18
	v_sub_nc_u32_e32 v15, v15, v16
	v_add_nc_u32_e32 v19, v0, v14
	v_cmp_le_i32_e32 vcc_lo, v13, v14
	v_add_nc_u32_e32 v20, v0, v15
	v_cmp_gt_i32_e64 s1, v2, v15
	ds_read_u8 v16, v19
	ds_read_u8 v17, v20
	s_waitcnt lgkmcnt(1)
	v_bfe_i32 v16, v16, 0, 8
	s_waitcnt lgkmcnt(0)
	v_bfe_i32 v17, v17, 0, 8
	v_cmp_lt_i16_e64 s0, v17, v16
	s_or_b32 s0, vcc_lo, s0
	s_and_b32 s0, s1, s0
	s_xor_b32 s1, s0, -1
	s_and_saveexec_b32 s2, s1
	s_xor_b32 s1, exec_lo, s2
; %bb.101:
	ds_read_u8 v18, v19 offset:1
                                        ; implicit-def: $vgpr20
; %bb.102:
	s_or_saveexec_b32 s1, s1
	v_mov_b32_e32 v19, v17
	s_xor_b32 exec_lo, exec_lo, s1
	s_cbranch_execz .LBB93_104
; %bb.103:
	ds_read_u8 v19, v20 offset:1
	s_waitcnt lgkmcnt(1)
	v_mov_b32_e32 v18, v16
.LBB93_104:
	s_or_b32 exec_lo, exec_lo, s1
	v_add_nc_u32_e32 v20, 1, v14
	v_add_nc_u32_e32 v21, 1, v15
	s_waitcnt lgkmcnt(0)
	v_cmp_lt_i16_sdwa s2, sext(v19), sext(v18) src0_sel:BYTE_0 src1_sel:BYTE_0
                                        ; implicit-def: $vgpr22
	v_cndmask_b32_e64 v20, v20, v14, s0
	v_cndmask_b32_e64 v21, v15, v21, s0
	v_cmp_ge_i32_e32 vcc_lo, v20, v13
	v_cmp_lt_i32_e64 s1, v21, v2
	s_or_b32 s2, vcc_lo, s2
	s_and_b32 s1, s1, s2
	s_xor_b32 s2, s1, -1
	s_and_saveexec_b32 s3, s2
	s_xor_b32 s2, exec_lo, s3
; %bb.105:
	v_add_nc_u32_e32 v22, v0, v20
	ds_read_u8 v22, v22 offset:1
; %bb.106:
	s_or_saveexec_b32 s2, s2
	v_mov_b32_e32 v24, v19
	s_xor_b32 exec_lo, exec_lo, s2
	s_cbranch_execz .LBB93_108
; %bb.107:
	s_waitcnt lgkmcnt(0)
	v_add_nc_u32_e32 v22, v0, v21
	ds_read_u8 v24, v22 offset:1
	v_mov_b32_e32 v22, v18
.LBB93_108:
	s_or_b32 exec_lo, exec_lo, s2
	v_add_nc_u32_e32 v23, 1, v20
	v_add_nc_u32_e32 v25, 1, v21
	s_waitcnt lgkmcnt(0)
	v_cmp_lt_i16_sdwa s3, sext(v24), sext(v22) src0_sel:BYTE_0 src1_sel:BYTE_0
                                        ; implicit-def: $vgpr28
	v_cndmask_b32_e64 v26, v23, v20, s1
	v_cndmask_b32_e64 v27, v21, v25, s1
	v_cmp_ge_i32_e32 vcc_lo, v26, v13
	v_cmp_lt_i32_e64 s2, v27, v2
	s_or_b32 s3, vcc_lo, s3
	s_and_b32 s2, s2, s3
	s_xor_b32 s3, s2, -1
	s_and_saveexec_b32 s4, s3
	s_xor_b32 s3, exec_lo, s4
; %bb.109:
	v_add_nc_u32_e32 v23, v0, v26
	ds_read_u8 v28, v23 offset:1
; %bb.110:
	s_or_saveexec_b32 s3, s3
	v_mov_b32_e32 v29, v24
	s_xor_b32 exec_lo, exec_lo, s3
	s_cbranch_execz .LBB93_112
; %bb.111:
	v_add_nc_u32_e32 v23, v0, v27
	s_waitcnt lgkmcnt(0)
	v_mov_b32_e32 v28, v22
	ds_read_u8 v29, v23 offset:1
.LBB93_112:
	s_or_b32 exec_lo, exec_lo, s3
	v_add_nc_u32_e32 v23, 1, v26
	v_add_nc_u32_e32 v25, 1, v27
	s_waitcnt lgkmcnt(0)
	v_cmp_lt_i16_sdwa s4, sext(v29), sext(v28) src0_sel:BYTE_0 src1_sel:BYTE_0
	v_cndmask_b32_e64 v30, v23, v26, s2
	v_cndmask_b32_e64 v31, v27, v25, s2
                                        ; implicit-def: $vgpr23
	v_cmp_ge_i32_e32 vcc_lo, v30, v13
	v_cmp_lt_i32_e64 s3, v31, v2
	s_or_b32 s4, vcc_lo, s4
	s_and_b32 s4, s3, s4
	s_xor_b32 s3, s4, -1
	s_and_saveexec_b32 s5, s3
	s_xor_b32 s3, exec_lo, s5
; %bb.113:
	v_add_nc_u32_e32 v23, v0, v30
	ds_read_u8 v23, v23 offset:1
; %bb.114:
	s_or_saveexec_b32 s3, s3
	v_mov_b32_e32 v25, v29
	s_xor_b32 exec_lo, exec_lo, s3
	s_cbranch_execz .LBB93_116
; %bb.115:
	s_waitcnt lgkmcnt(0)
	v_add_nc_u32_e32 v23, v0, v31
	ds_read_u8 v25, v23 offset:1
	v_mov_b32_e32 v23, v28
.LBB93_116:
	s_or_b32 exec_lo, exec_lo, s3
	v_add_nc_u32_e32 v32, 1, v30
	v_add_nc_u32_e32 v33, 1, v31
	s_waitcnt lgkmcnt(0)
	v_cmp_lt_i16_sdwa s5, sext(v25), sext(v23) src0_sel:BYTE_0 src1_sel:BYTE_0
                                        ; implicit-def: $vgpr34
	v_cndmask_b32_e64 v32, v32, v30, s4
	v_cndmask_b32_e64 v33, v31, v33, s4
	v_cmp_ge_i32_e32 vcc_lo, v32, v13
	v_cmp_lt_i32_e64 s3, v33, v2
	s_or_b32 s5, vcc_lo, s5
	s_and_b32 s3, s3, s5
	s_xor_b32 s5, s3, -1
	s_and_saveexec_b32 s6, s5
	s_xor_b32 s5, exec_lo, s6
; %bb.117:
	v_add_nc_u32_e32 v34, v0, v32
	ds_read_u8 v34, v34 offset:1
; %bb.118:
	s_or_saveexec_b32 s5, s5
	v_mov_b32_e32 v35, v25
	s_xor_b32 exec_lo, exec_lo, s5
	s_cbranch_execz .LBB93_120
; %bb.119:
	s_waitcnt lgkmcnt(0)
	v_add_nc_u32_e32 v34, v0, v33
	ds_read_u8 v35, v34 offset:1
	v_mov_b32_e32 v34, v23
.LBB93_120:
	s_or_b32 exec_lo, exec_lo, s5
	v_add_nc_u32_e32 v36, 1, v32
	v_add_nc_u32_e32 v37, 1, v33
	s_waitcnt lgkmcnt(0)
	v_cmp_lt_i16_sdwa s6, sext(v35), sext(v34) src0_sel:BYTE_0 src1_sel:BYTE_0
                                        ; implicit-def: $vgpr38
	v_cndmask_b32_e64 v36, v36, v32, s3
	v_cndmask_b32_e64 v37, v33, v37, s3
	v_cmp_ge_i32_e32 vcc_lo, v36, v13
	v_cmp_lt_i32_e64 s5, v37, v2
	s_or_b32 s6, vcc_lo, s6
	s_and_b32 vcc_lo, s5, s6
	s_xor_b32 s5, vcc_lo, -1
	s_and_saveexec_b32 s6, s5
	s_xor_b32 s5, exec_lo, s6
; %bb.121:
	v_add_nc_u32_e32 v38, v0, v36
	ds_read_u8 v38, v38 offset:1
; %bb.122:
	s_or_saveexec_b32 s5, s5
	v_mov_b32_e32 v40, v35
	s_xor_b32 exec_lo, exec_lo, s5
	s_cbranch_execz .LBB93_124
; %bb.123:
	s_waitcnt lgkmcnt(0)
	v_add_nc_u32_e32 v38, v0, v37
	ds_read_u8 v40, v38 offset:1
	v_mov_b32_e32 v38, v34
.LBB93_124:
	s_or_b32 exec_lo, exec_lo, s5
	v_add_nc_u32_e32 v39, 1, v36
	v_add_nc_u32_e32 v41, 1, v37
	s_waitcnt lgkmcnt(0)
	v_cmp_lt_i16_sdwa s7, sext(v40), sext(v38) src0_sel:BYTE_0 src1_sel:BYTE_0
	v_cndmask_b32_e32 v42, v39, v36, vcc_lo
	v_cndmask_b32_e32 v43, v37, v41, vcc_lo
                                        ; implicit-def: $vgpr39
	v_cmp_ge_i32_e64 s5, v42, v13
	v_cmp_lt_i32_e64 s6, v43, v2
	s_or_b32 s5, s5, s7
	s_and_b32 s5, s6, s5
	s_xor_b32 s6, s5, -1
	s_and_saveexec_b32 s7, s6
	s_xor_b32 s6, exec_lo, s7
; %bb.125:
	v_add_nc_u32_e32 v39, v0, v42
	ds_read_u8 v39, v39 offset:1
; %bb.126:
	s_or_saveexec_b32 s6, s6
	v_mov_b32_e32 v41, v40
	s_xor_b32 exec_lo, exec_lo, s6
	s_cbranch_execz .LBB93_128
; %bb.127:
	s_waitcnt lgkmcnt(0)
	v_add_nc_u32_e32 v39, v0, v43
	ds_read_u8 v41, v39 offset:1
	v_mov_b32_e32 v39, v38
.LBB93_128:
	s_or_b32 exec_lo, exec_lo, s6
	v_add_nc_u32_e32 v44, 1, v43
	v_add_nc_u32_e32 v45, 1, v42
	v_cndmask_b32_e64 v38, v38, v40, s5
	v_cndmask_b32_sdwa v34, v34, v35, vcc_lo dst_sel:BYTE_1 dst_unused:UNUSED_PAD src0_sel:DWORD src1_sel:DWORD
	v_cndmask_b32_e32 v35, v36, v37, vcc_lo
	v_cndmask_b32_e64 v40, v43, v44, s5
	v_cndmask_b32_e64 v44, v45, v42, s5
	;; [unrolled: 1-line block ×4, first 2 shown]
	s_waitcnt lgkmcnt(0)
	v_cmp_lt_i16_sdwa s2, sext(v41), sext(v39) src0_sel:BYTE_0 src1_sel:BYTE_0
	v_perm_b32 v9, v9, v10, 0xc0c0004
	v_cmp_ge_i32_e32 vcc_lo, v44, v13
	v_perm_b32 v10, v11, v12, 0xc0c0004
	v_perm_b32 v5, v5, v6, 0xc0c0004
	;; [unrolled: 1-line block ×3, first 2 shown]
	v_cndmask_b32_e64 v18, v18, v19, s1
	v_cndmask_b32_e64 v19, v20, v21, s1
	v_cmp_lt_i32_e64 s1, v40, v2
	v_cndmask_b32_e64 v2, v14, v15, s0
	v_cndmask_b32_e64 v16, v16, v17, s0
	s_or_b32 s0, vcc_lo, s2
	v_lshl_or_b32 v6, v10, 16, v9
	v_lshl_or_b32 v5, v7, 16, v5
	v_cndmask_b32_e64 v28, v28, v29, s4
	v_cndmask_b32_e64 v29, v30, v31, s4
	s_and_b32 vcc_lo, s1, s0
	v_cndmask_b32_e64 v42, v42, v43, s5
	v_cndmask_b32_e64 v32, v32, v33, s3
	v_cndmask_b32_e32 v7, v44, v40, vcc_lo
	v_add_nc_u32_e32 v2, v0, v2
	; wave barrier
	ds_write_b64 v1, v[5:6]
	v_add_nc_u32_e32 v6, v0, v19
	v_add_nc_u32_e32 v8, v0, v24
	;; [unrolled: 1-line block ×6, first 2 shown]
	; wave barrier
	v_add_nc_u32_e32 v14, v0, v7
	ds_read_u8 v5, v2
	ds_read_u8 v6, v6
	ds_read_u8 v7, v8
	ds_read_u8 v8, v9
	ds_read_u8 v9, v10
	ds_read_u8 v10, v11
	ds_read_u8 v11, v12
	ds_read_u8 v12, v14
	v_cndmask_b32_e32 v13, v39, v41, vcc_lo
	v_lshlrev_b16 v14, 8, v18
	v_and_b32_e32 v2, 0xf8, v4
	v_lshlrev_b16 v4, 8, v28
	v_cndmask_b32_e64 v15, v23, v25, s3
	v_lshlrev_b16 v13, 8, v13
	v_or_b32_sdwa v14, v16, v14 dst_sel:DWORD dst_unused:UNUSED_PAD src0_sel:BYTE_0 src1_sel:DWORD
	v_add_nc_u32_e32 v16, 0xffffff80, v2
	v_or_b32_sdwa v17, v22, v4 dst_sel:WORD_1 dst_unused:UNUSED_PAD src0_sel:BYTE_0 src1_sel:DWORD
	v_or_b32_sdwa v15, v15, v34 dst_sel:DWORD dst_unused:UNUSED_PAD src0_sel:BYTE_0 src1_sel:DWORD
	v_or_b32_sdwa v18, v38, v13 dst_sel:WORD_1 dst_unused:UNUSED_PAD src0_sel:BYTE_0 src1_sel:DWORD
	v_cmp_lt_i32_e32 vcc_lo, 0x7f, v2
	v_min_i32_e32 v13, 0x80, v2
	v_or_b32_sdwa v14, v14, v17 dst_sel:DWORD dst_unused:UNUSED_PAD src0_sel:WORD_0 src1_sel:DWORD
	s_mov_b32 s0, exec_lo
	v_or_b32_sdwa v15, v15, v18 dst_sel:DWORD dst_unused:UNUSED_PAD src0_sel:WORD_0 src1_sel:DWORD
	v_cndmask_b32_e32 v4, 0, v16, vcc_lo
	; wave barrier
	ds_write_b64 v1, v[14:15]
	; wave barrier
	v_cmpx_lt_i32_e64 v4, v13
	s_cbranch_execz .LBB93_132
; %bb.129:
	v_add3_u32 v14, 0x80, v0, v2
	s_mov_b32 s1, 0
	.p2align	6
.LBB93_130:                             ; =>This Inner Loop Header: Depth=1
	v_sub_nc_u32_e32 v15, v13, v4
	v_lshrrev_b32_e32 v15, 1, v15
	v_add_nc_u32_e32 v15, v15, v4
	v_add_nc_u32_e32 v16, v0, v15
	v_xad_u32 v17, v15, -1, v14
	v_add_nc_u32_e32 v18, 1, v15
	ds_read_i8 v16, v16
	ds_read_i8 v17, v17
	s_waitcnt lgkmcnt(0)
	v_cmp_lt_i16_e32 vcc_lo, v17, v16
	v_cndmask_b32_e32 v13, v13, v15, vcc_lo
	v_cndmask_b32_e32 v4, v18, v4, vcc_lo
	v_cmp_ge_i32_e32 vcc_lo, v4, v13
	s_or_b32 s1, vcc_lo, s1
	s_andn2_b32 exec_lo, exec_lo, s1
	s_cbranch_execnz .LBB93_130
; %bb.131:
	s_or_b32 exec_lo, exec_lo, s1
.LBB93_132:
	s_or_b32 exec_lo, exec_lo, s0
	v_add_nc_u32_e32 v13, 0x80, v2
	v_add_nc_u32_e32 v17, v0, v4
	v_cmp_le_i32_e32 vcc_lo, 0x80, v4
                                        ; implicit-def: $vgpr16
	v_sub_nc_u32_e32 v13, v13, v4
	v_add_nc_u32_e32 v18, v0, v13
	v_cmp_gt_i32_e64 s1, 0x100, v13
	ds_read_u8 v14, v17
	ds_read_u8 v15, v18
	s_waitcnt lgkmcnt(1)
	v_bfe_i32 v14, v14, 0, 8
	s_waitcnt lgkmcnt(0)
	v_bfe_i32 v15, v15, 0, 8
	v_cmp_lt_i16_e64 s0, v15, v14
	s_or_b32 s0, vcc_lo, s0
	s_and_b32 s0, s1, s0
	s_xor_b32 s1, s0, -1
	s_and_saveexec_b32 s2, s1
	s_xor_b32 s1, exec_lo, s2
; %bb.133:
	ds_read_u8 v16, v17 offset:1
                                        ; implicit-def: $vgpr18
; %bb.134:
	s_or_saveexec_b32 s1, s1
	v_mov_b32_e32 v17, v15
	s_xor_b32 exec_lo, exec_lo, s1
	s_cbranch_execz .LBB93_136
; %bb.135:
	ds_read_u8 v17, v18 offset:1
	s_waitcnt lgkmcnt(1)
	v_mov_b32_e32 v16, v14
.LBB93_136:
	s_or_b32 exec_lo, exec_lo, s1
	v_add_nc_u32_e32 v18, 1, v4
	v_add_nc_u32_e32 v19, 1, v13
	s_waitcnt lgkmcnt(0)
	v_cmp_lt_i16_sdwa s2, sext(v17), sext(v16) src0_sel:BYTE_0 src1_sel:BYTE_0
                                        ; implicit-def: $vgpr20
	v_cndmask_b32_e64 v18, v18, v4, s0
	v_cndmask_b32_e64 v19, v13, v19, s0
	v_cmp_le_i32_e32 vcc_lo, 0x80, v18
	v_cmp_gt_i32_e64 s1, 0x100, v19
	s_or_b32 s2, vcc_lo, s2
	s_and_b32 s1, s1, s2
	s_xor_b32 s2, s1, -1
	s_and_saveexec_b32 s3, s2
	s_xor_b32 s2, exec_lo, s3
; %bb.137:
	v_add_nc_u32_e32 v20, v0, v18
	ds_read_u8 v20, v20 offset:1
; %bb.138:
	s_or_saveexec_b32 s2, s2
	v_mov_b32_e32 v21, v17
	s_xor_b32 exec_lo, exec_lo, s2
	s_cbranch_execz .LBB93_140
; %bb.139:
	s_waitcnt lgkmcnt(0)
	v_add_nc_u32_e32 v20, v0, v19
	ds_read_u8 v21, v20 offset:1
	v_mov_b32_e32 v20, v16
.LBB93_140:
	s_or_b32 exec_lo, exec_lo, s2
	v_add_nc_u32_e32 v22, 1, v18
	v_add_nc_u32_e32 v24, 1, v19
	s_waitcnt lgkmcnt(0)
	v_cmp_lt_i16_sdwa s3, sext(v21), sext(v20) src0_sel:BYTE_0 src1_sel:BYTE_0
                                        ; implicit-def: $vgpr26
	v_cndmask_b32_e64 v23, v22, v18, s1
	v_cndmask_b32_e64 v24, v19, v24, s1
	v_cmp_le_i32_e32 vcc_lo, 0x80, v23
	v_cmp_gt_i32_e64 s2, 0x100, v24
	s_or_b32 s3, vcc_lo, s3
	s_and_b32 s2, s2, s3
	s_xor_b32 s3, s2, -1
	s_and_saveexec_b32 s4, s3
	s_xor_b32 s3, exec_lo, s4
; %bb.141:
	v_add_nc_u32_e32 v22, v0, v23
	ds_read_u8 v26, v22 offset:1
; %bb.142:
	s_or_saveexec_b32 s3, s3
	v_mov_b32_e32 v27, v21
	s_xor_b32 exec_lo, exec_lo, s3
	s_cbranch_execz .LBB93_144
; %bb.143:
	v_add_nc_u32_e32 v22, v0, v24
	s_waitcnt lgkmcnt(0)
	v_mov_b32_e32 v26, v20
	ds_read_u8 v27, v22 offset:1
.LBB93_144:
	s_or_b32 exec_lo, exec_lo, s3
	v_add_nc_u32_e32 v22, 1, v23
	v_add_nc_u32_e32 v25, 1, v24
	s_waitcnt lgkmcnt(0)
	v_cmp_lt_i16_sdwa s4, sext(v27), sext(v26) src0_sel:BYTE_0 src1_sel:BYTE_0
	v_cndmask_b32_e64 v28, v22, v23, s2
	v_cndmask_b32_e64 v29, v24, v25, s2
                                        ; implicit-def: $vgpr22
	v_cmp_le_i32_e32 vcc_lo, 0x80, v28
	v_cmp_gt_i32_e64 s3, 0x100, v29
	s_or_b32 s4, vcc_lo, s4
	s_and_b32 s4, s3, s4
	s_xor_b32 s3, s4, -1
	s_and_saveexec_b32 s5, s3
	s_xor_b32 s3, exec_lo, s5
; %bb.145:
	v_add_nc_u32_e32 v22, v0, v28
	ds_read_u8 v22, v22 offset:1
; %bb.146:
	s_or_saveexec_b32 s3, s3
	v_mov_b32_e32 v25, v27
	s_xor_b32 exec_lo, exec_lo, s3
	s_cbranch_execz .LBB93_148
; %bb.147:
	s_waitcnt lgkmcnt(0)
	v_add_nc_u32_e32 v22, v0, v29
	ds_read_u8 v25, v22 offset:1
	v_mov_b32_e32 v22, v26
.LBB93_148:
	s_or_b32 exec_lo, exec_lo, s3
	v_add_nc_u32_e32 v30, 1, v28
	v_add_nc_u32_e32 v31, 1, v29
	s_waitcnt lgkmcnt(0)
	v_cmp_lt_i16_sdwa s5, sext(v25), sext(v22) src0_sel:BYTE_0 src1_sel:BYTE_0
                                        ; implicit-def: $vgpr32
	v_cndmask_b32_e64 v30, v30, v28, s4
	v_cndmask_b32_e64 v31, v29, v31, s4
	v_cmp_le_i32_e32 vcc_lo, 0x80, v30
	v_cmp_gt_i32_e64 s3, 0x100, v31
	s_or_b32 s5, vcc_lo, s5
	s_and_b32 s3, s3, s5
	s_xor_b32 s5, s3, -1
	s_and_saveexec_b32 s6, s5
	s_xor_b32 s5, exec_lo, s6
; %bb.149:
	v_add_nc_u32_e32 v32, v0, v30
	ds_read_u8 v32, v32 offset:1
; %bb.150:
	s_or_saveexec_b32 s5, s5
	v_mov_b32_e32 v33, v25
	s_xor_b32 exec_lo, exec_lo, s5
	s_cbranch_execz .LBB93_152
; %bb.151:
	s_waitcnt lgkmcnt(0)
	v_add_nc_u32_e32 v32, v0, v31
	ds_read_u8 v33, v32 offset:1
	v_mov_b32_e32 v32, v22
.LBB93_152:
	s_or_b32 exec_lo, exec_lo, s5
	v_add_nc_u32_e32 v34, 1, v30
	v_add_nc_u32_e32 v35, 1, v31
	s_waitcnt lgkmcnt(0)
	v_cmp_lt_i16_sdwa s6, sext(v33), sext(v32) src0_sel:BYTE_0 src1_sel:BYTE_0
                                        ; implicit-def: $vgpr36
	v_cndmask_b32_e64 v34, v34, v30, s3
	v_cndmask_b32_e64 v35, v31, v35, s3
	v_cmp_le_i32_e32 vcc_lo, 0x80, v34
	v_cmp_gt_i32_e64 s5, 0x100, v35
	s_or_b32 s6, vcc_lo, s6
	s_and_b32 vcc_lo, s5, s6
	s_xor_b32 s5, vcc_lo, -1
	s_and_saveexec_b32 s6, s5
	s_xor_b32 s5, exec_lo, s6
; %bb.153:
	v_add_nc_u32_e32 v36, v0, v34
	ds_read_u8 v36, v36 offset:1
; %bb.154:
	s_or_saveexec_b32 s5, s5
	v_mov_b32_e32 v38, v33
	s_xor_b32 exec_lo, exec_lo, s5
	s_cbranch_execz .LBB93_156
; %bb.155:
	s_waitcnt lgkmcnt(0)
	v_add_nc_u32_e32 v36, v0, v35
	ds_read_u8 v38, v36 offset:1
	v_mov_b32_e32 v36, v32
.LBB93_156:
	s_or_b32 exec_lo, exec_lo, s5
	v_add_nc_u32_e32 v37, 1, v34
	v_add_nc_u32_e32 v39, 1, v35
	s_waitcnt lgkmcnt(0)
	v_cmp_lt_i16_sdwa s7, sext(v38), sext(v36) src0_sel:BYTE_0 src1_sel:BYTE_0
	v_cndmask_b32_e32 v40, v37, v34, vcc_lo
	v_cndmask_b32_e32 v41, v35, v39, vcc_lo
                                        ; implicit-def: $vgpr37
	v_cmp_le_i32_e64 s5, 0x80, v40
	v_cmp_gt_i32_e64 s6, 0x100, v41
	s_or_b32 s5, s5, s7
	s_and_b32 s5, s6, s5
	s_xor_b32 s6, s5, -1
	s_and_saveexec_b32 s7, s6
	s_xor_b32 s6, exec_lo, s7
; %bb.157:
	v_add_nc_u32_e32 v37, v0, v40
	ds_read_u8 v37, v37 offset:1
; %bb.158:
	s_or_saveexec_b32 s6, s6
	v_mov_b32_e32 v39, v38
	s_xor_b32 exec_lo, exec_lo, s6
	s_cbranch_execz .LBB93_160
; %bb.159:
	s_waitcnt lgkmcnt(0)
	v_add_nc_u32_e32 v37, v0, v41
	ds_read_u8 v39, v37 offset:1
	v_mov_b32_e32 v37, v36
.LBB93_160:
	s_or_b32 exec_lo, exec_lo, s6
	v_add_nc_u32_e32 v42, 1, v41
	v_add_nc_u32_e32 v43, 1, v40
	v_cndmask_b32_e64 v36, v36, v38, s5
	v_perm_b32 v9, v9, v10, 0xc0c0004
	v_perm_b32 v10, v11, v12, 0xc0c0004
	v_cndmask_b32_e64 v38, v41, v42, s5
	v_cndmask_b32_e64 v42, v43, v40, s5
	v_perm_b32 v6, v5, v6, 0xc0c0004
	v_perm_b32 v7, v7, v8, 0xc0c0004
	v_cndmask_b32_sdwa v32, v32, v33, vcc_lo dst_sel:BYTE_1 dst_unused:UNUSED_PAD src0_sel:DWORD src1_sel:DWORD
	v_cndmask_b32_e32 v33, v34, v35, vcc_lo
	v_cndmask_b32_e64 v20, v20, v21, s2
	v_cndmask_b32_e64 v21, v23, v24, s2
	v_cmp_le_i32_e32 vcc_lo, 0x80, v42
	s_waitcnt lgkmcnt(0)
	v_cmp_lt_i16_sdwa s2, sext(v39), sext(v37) src0_sel:BYTE_0 src1_sel:BYTE_0
	v_cndmask_b32_e64 v16, v16, v17, s1
	v_cndmask_b32_e64 v17, v18, v19, s1
	v_cmp_gt_i32_e64 s1, 0x100, v38
	v_cndmask_b32_e64 v8, v4, v13, s0
	v_lshl_or_b32 v5, v10, 16, v9
	v_lshl_or_b32 v4, v7, 16, v6
	v_cndmask_b32_e64 v14, v14, v15, s0
	s_or_b32 s0, vcc_lo, s2
	v_cndmask_b32_e64 v26, v26, v27, s4
	v_cndmask_b32_e64 v27, v28, v29, s4
	s_and_b32 vcc_lo, s1, s0
	v_cndmask_b32_e64 v40, v40, v41, s5
	v_cndmask_b32_e64 v30, v30, v31, s3
	v_cndmask_b32_e32 v6, v42, v38, vcc_lo
	; wave barrier
	ds_write_b64 v1, v[4:5]
	v_add_nc_u32_e32 v4, v0, v8
	v_add_nc_u32_e32 v5, v0, v17
	;; [unrolled: 1-line block ×7, first 2 shown]
	; wave barrier
	v_add_nc_u32_e32 v13, v0, v6
	ds_read_u8 v4, v4
	ds_read_u8 v5, v5
	;; [unrolled: 1-line block ×8, first 2 shown]
	v_cndmask_b32_e32 v12, v37, v39, vcc_lo
	v_lshlrev_b16 v15, 8, v16
	v_lshlrev_b16 v16, 8, v26
	v_cndmask_b32_e64 v13, v22, v25, s3
	v_cmp_lt_i32_e32 vcc_lo, 0xff, v2
	v_lshlrev_b16 v12, 8, v12
	v_or_b32_sdwa v14, v14, v15 dst_sel:DWORD dst_unused:UNUSED_PAD src0_sel:BYTE_0 src1_sel:DWORD
	v_or_b32_sdwa v15, v20, v16 dst_sel:WORD_1 dst_unused:UNUSED_PAD src0_sel:BYTE_0 src1_sel:DWORD
	v_or_b32_e32 v16, 0xffffff00, v2
	v_or_b32_sdwa v17, v13, v32 dst_sel:DWORD dst_unused:UNUSED_PAD src0_sel:BYTE_0 src1_sel:DWORD
	v_or_b32_sdwa v18, v36, v12 dst_sel:WORD_1 dst_unused:UNUSED_PAD src0_sel:BYTE_0 src1_sel:DWORD
	s_mov_b32 s0, exec_lo
	v_or_b32_sdwa v13, v14, v15 dst_sel:DWORD dst_unused:UNUSED_PAD src0_sel:WORD_0 src1_sel:DWORD
	v_cndmask_b32_e32 v12, 0, v16, vcc_lo
	v_or_b32_sdwa v14, v17, v18 dst_sel:DWORD dst_unused:UNUSED_PAD src0_sel:WORD_0 src1_sel:DWORD
	; wave barrier
	ds_write_b64 v1, v[13:14]
	; wave barrier
	v_cmpx_lt_i32_e64 v12, v2
	s_cbranch_execz .LBB93_164
; %bb.161:
	v_add3_u32 v13, 0x100, v0, v2
	v_mov_b32_e32 v14, v2
	s_mov_b32 s1, 0
	.p2align	6
.LBB93_162:                             ; =>This Inner Loop Header: Depth=1
	v_sub_nc_u32_e32 v15, v14, v12
	v_lshrrev_b32_e32 v15, 1, v15
	v_add_nc_u32_e32 v15, v15, v12
	v_add_nc_u32_e32 v16, v0, v15
	v_xad_u32 v17, v15, -1, v13
	v_add_nc_u32_e32 v18, 1, v15
	ds_read_i8 v16, v16
	ds_read_i8 v17, v17
	s_waitcnt lgkmcnt(0)
	v_cmp_lt_i16_e32 vcc_lo, v17, v16
	v_cndmask_b32_e32 v14, v14, v15, vcc_lo
	v_cndmask_b32_e32 v12, v18, v12, vcc_lo
	v_cmp_ge_i32_e32 vcc_lo, v12, v14
	s_or_b32 s1, vcc_lo, s1
	s_andn2_b32 exec_lo, exec_lo, s1
	s_cbranch_execnz .LBB93_162
; %bb.163:
	s_or_b32 exec_lo, exec_lo, s1
.LBB93_164:
	s_or_b32 exec_lo, exec_lo, s0
	v_add_nc_u32_e32 v2, 0x100, v2
	v_add_nc_u32_e32 v15, v0, v12
	v_cmp_le_i32_e32 vcc_lo, 0x100, v12
                                        ; implicit-def: $vgpr14
	v_sub_nc_u32_e32 v16, v2, v12
	v_add_nc_u32_e32 v17, v0, v16
	v_cmp_gt_i32_e64 s1, 0x200, v16
	ds_read_u8 v2, v15
	ds_read_u8 v13, v17
	s_waitcnt lgkmcnt(1)
	v_bfe_i32 v2, v2, 0, 8
	s_waitcnt lgkmcnt(0)
	v_bfe_i32 v13, v13, 0, 8
	v_cmp_lt_i16_e64 s0, v13, v2
	s_or_b32 s0, vcc_lo, s0
	s_and_b32 vcc_lo, s1, s0
	s_xor_b32 s0, vcc_lo, -1
	s_and_saveexec_b32 s1, s0
	s_xor_b32 s0, exec_lo, s1
; %bb.165:
	ds_read_u8 v14, v15 offset:1
                                        ; implicit-def: $vgpr17
; %bb.166:
	s_or_saveexec_b32 s0, s0
	v_mov_b32_e32 v15, v13
	s_xor_b32 exec_lo, exec_lo, s0
	s_cbranch_execz .LBB93_168
; %bb.167:
	ds_read_u8 v15, v17 offset:1
	s_waitcnt lgkmcnt(1)
	v_mov_b32_e32 v14, v2
.LBB93_168:
	s_or_b32 exec_lo, exec_lo, s0
	v_add_nc_u32_e32 v17, 1, v12
	v_add_nc_u32_e32 v18, 1, v16
	s_waitcnt lgkmcnt(0)
	v_cmp_lt_i16_sdwa s2, sext(v15), sext(v14) src0_sel:BYTE_0 src1_sel:BYTE_0
	v_cndmask_b32_e32 v20, v17, v12, vcc_lo
	v_cndmask_b32_e32 v21, v16, v18, vcc_lo
                                        ; implicit-def: $vgpr17
	v_cmp_le_i32_e64 s0, 0x100, v20
	v_cmp_gt_i32_e64 s1, 0x200, v21
	s_or_b32 s0, s0, s2
	s_and_b32 s0, s1, s0
	s_xor_b32 s1, s0, -1
	s_and_saveexec_b32 s2, s1
	s_xor_b32 s1, exec_lo, s2
; %bb.169:
	v_add_nc_u32_e32 v17, v0, v20
	ds_read_u8 v17, v17 offset:1
; %bb.170:
	s_or_saveexec_b32 s1, s1
	v_mov_b32_e32 v18, v15
	s_xor_b32 exec_lo, exec_lo, s1
	s_cbranch_execz .LBB93_172
; %bb.171:
	s_waitcnt lgkmcnt(0)
	v_add_nc_u32_e32 v17, v0, v21
	ds_read_u8 v18, v17 offset:1
	v_mov_b32_e32 v17, v14
.LBB93_172:
	s_or_b32 exec_lo, exec_lo, s1
	v_add_nc_u32_e32 v19, 1, v20
	v_add_nc_u32_e32 v22, 1, v21
	s_waitcnt lgkmcnt(0)
	v_cmp_lt_i16_sdwa s3, sext(v18), sext(v17) src0_sel:BYTE_0 src1_sel:BYTE_0
	v_cndmask_b32_e64 v24, v19, v20, s0
	v_cndmask_b32_e64 v25, v21, v22, s0
                                        ; implicit-def: $vgpr19
	v_cmp_le_i32_e64 s1, 0x100, v24
	v_cmp_gt_i32_e64 s2, 0x200, v25
	s_or_b32 s1, s1, s3
	s_and_b32 s1, s2, s1
	s_xor_b32 s2, s1, -1
	s_and_saveexec_b32 s3, s2
	s_xor_b32 s2, exec_lo, s3
; %bb.173:
	v_add_nc_u32_e32 v19, v0, v24
	ds_read_u8 v19, v19 offset:1
; %bb.174:
	s_or_saveexec_b32 s2, s2
	v_mov_b32_e32 v22, v18
	s_xor_b32 exec_lo, exec_lo, s2
	s_cbranch_execz .LBB93_176
; %bb.175:
	s_waitcnt lgkmcnt(0)
	v_add_nc_u32_e32 v19, v0, v25
	ds_read_u8 v22, v19 offset:1
	v_mov_b32_e32 v19, v17
.LBB93_176:
	s_or_b32 exec_lo, exec_lo, s2
	v_add_nc_u32_e32 v23, 1, v24
	v_add_nc_u32_e32 v26, 1, v25
	s_waitcnt lgkmcnt(0)
	v_cmp_lt_i16_sdwa s4, sext(v22), sext(v19) src0_sel:BYTE_0 src1_sel:BYTE_0
	v_cndmask_b32_e64 v28, v23, v24, s1
	v_cndmask_b32_e64 v29, v25, v26, s1
                                        ; implicit-def: $vgpr23
	v_cmp_le_i32_e64 s2, 0x100, v28
	v_cmp_gt_i32_e64 s3, 0x200, v29
	s_or_b32 s2, s2, s4
	s_and_b32 s2, s3, s2
	s_xor_b32 s3, s2, -1
	s_and_saveexec_b32 s4, s3
	s_xor_b32 s3, exec_lo, s4
; %bb.177:
	v_add_nc_u32_e32 v23, v0, v28
	ds_read_u8 v23, v23 offset:1
; %bb.178:
	s_or_saveexec_b32 s3, s3
	v_mov_b32_e32 v26, v22
	s_xor_b32 exec_lo, exec_lo, s3
	s_cbranch_execz .LBB93_180
; %bb.179:
	s_waitcnt lgkmcnt(0)
	v_add_nc_u32_e32 v23, v0, v29
	ds_read_u8 v26, v23 offset:1
	v_mov_b32_e32 v23, v19
.LBB93_180:
	s_or_b32 exec_lo, exec_lo, s3
	v_add_nc_u32_e32 v27, 1, v28
	v_add_nc_u32_e32 v30, 1, v29
	s_waitcnt lgkmcnt(0)
	v_cmp_lt_i16_sdwa s5, sext(v26), sext(v23) src0_sel:BYTE_0 src1_sel:BYTE_0
	v_cndmask_b32_e64 v31, v27, v28, s2
	v_cndmask_b32_e64 v32, v29, v30, s2
                                        ; implicit-def: $vgpr27
	v_cmp_le_i32_e64 s3, 0x100, v31
	v_cmp_gt_i32_e64 s4, 0x200, v32
	s_or_b32 s3, s3, s5
	s_and_b32 s3, s4, s3
	s_xor_b32 s4, s3, -1
	s_and_saveexec_b32 s5, s4
	s_xor_b32 s4, exec_lo, s5
; %bb.181:
	v_add_nc_u32_e32 v27, v0, v31
	ds_read_u8 v27, v27 offset:1
; %bb.182:
	s_or_saveexec_b32 s4, s4
	v_mov_b32_e32 v30, v26
	s_xor_b32 exec_lo, exec_lo, s4
	s_cbranch_execz .LBB93_184
; %bb.183:
	s_waitcnt lgkmcnt(0)
	v_add_nc_u32_e32 v27, v0, v32
	ds_read_u8 v30, v27 offset:1
	v_mov_b32_e32 v27, v23
.LBB93_184:
	s_or_b32 exec_lo, exec_lo, s4
	v_add_nc_u32_e32 v33, 1, v31
	v_add_nc_u32_e32 v34, 1, v32
	s_waitcnt lgkmcnt(0)
	v_cmp_lt_i16_sdwa s6, sext(v30), sext(v27) src0_sel:BYTE_0 src1_sel:BYTE_0
                                        ; implicit-def: $vgpr39
	v_cndmask_b32_e64 v33, v33, v31, s3
	v_cndmask_b32_e64 v34, v32, v34, s3
	v_cmp_le_i32_e64 s4, 0x100, v33
	v_cmp_gt_i32_e64 s5, 0x200, v34
	s_or_b32 s4, s4, s6
	s_and_b32 s4, s5, s4
	s_xor_b32 s5, s4, -1
	s_and_saveexec_b32 s6, s5
	s_xor_b32 s5, exec_lo, s6
; %bb.185:
	v_add_nc_u32_e32 v35, v0, v33
	ds_read_u8 v39, v35 offset:1
; %bb.186:
	s_or_saveexec_b32 s5, s5
	v_mov_b32_e32 v36, v30
	s_xor_b32 exec_lo, exec_lo, s5
	s_cbranch_execz .LBB93_188
; %bb.187:
	v_add_nc_u32_e32 v35, v0, v34
	s_waitcnt lgkmcnt(0)
	v_mov_b32_e32 v39, v27
	ds_read_u8 v36, v35 offset:1
.LBB93_188:
	s_or_b32 exec_lo, exec_lo, s5
	v_add_nc_u32_e32 v35, 1, v33
	v_add_nc_u32_e32 v37, 1, v34
	s_waitcnt lgkmcnt(0)
	v_cmp_ge_i16_sdwa s7, sext(v36), sext(v39) src0_sel:BYTE_0 src1_sel:BYTE_0
                                        ; implicit-def: $vgpr41
                                        ; implicit-def: $vgpr40
	v_cndmask_b32_e64 v42, v35, v33, s4
	v_cndmask_b32_e64 v37, v34, v37, s4
	v_cmp_gt_i32_e64 s5, 0x100, v42
	v_cmp_le_i32_e64 s6, 0x200, v37
	s_and_b32 s5, s5, s7
	s_or_b32 s5, s6, s5
	s_and_saveexec_b32 s6, s5
	s_xor_b32 s5, exec_lo, s6
; %bb.189:
	v_add_nc_u32_e32 v35, v0, v42
	v_add_nc_u32_e32 v40, 1, v42
	ds_read_u8 v41, v35 offset:1
; %bb.190:
	s_or_saveexec_b32 s5, s5
	v_mov_b32_e32 v35, v39
	v_mov_b32_e32 v38, v42
	s_xor_b32 exec_lo, exec_lo, s5
	s_cbranch_execz .LBB93_192
; %bb.191:
	v_add_nc_u32_e32 v35, v0, v37
	s_waitcnt lgkmcnt(0)
	v_add_nc_u32_e32 v41, 1, v37
	v_mov_b32_e32 v38, v37
	v_mov_b32_e32 v40, v42
	ds_read_u8 v43, v35 offset:1
	v_mov_b32_e32 v35, v36
	v_mov_b32_e32 v37, v41
	;; [unrolled: 1-line block ×3, first 2 shown]
	s_waitcnt lgkmcnt(0)
	v_mov_b32_e32 v36, v43
.LBB93_192:
	s_or_b32 exec_lo, exec_lo, s5
	v_cmp_le_i32_e64 s5, 0x100, v40
	s_waitcnt lgkmcnt(0)
	v_cmp_lt_i16_sdwa s7, sext(v36), sext(v41) src0_sel:BYTE_0 src1_sel:BYTE_0
	v_perm_b32 v8, v8, v9, 0xc0c0004
	v_perm_b32 v9, v10, v11, 0xc0c0004
	;; [unrolled: 1-line block ×4, first 2 shown]
	v_cmp_gt_i32_e64 s6, 0x200, v37
	v_cndmask_b32_e32 v7, v12, v16, vcc_lo
	s_or_b32 s5, s5, s7
	v_lshl_or_b32 v5, v9, 16, v8
	v_lshl_or_b32 v4, v6, 16, v4
	v_cndmask_b32_e64 v20, v20, v21, s0
	v_cndmask_b32_e64 v24, v24, v25, s1
	s_and_b32 s5, s6, s5
	v_cndmask_b32_e64 v28, v28, v29, s2
	v_cndmask_b32_e64 v33, v33, v34, s4
	;; [unrolled: 1-line block ×4, first 2 shown]
	; wave barrier
	ds_write_b64 v1, v[4:5]
	v_add_nc_u32_e32 v1, v0, v7
	v_add_nc_u32_e32 v4, v0, v20
	;; [unrolled: 1-line block ×8, first 2 shown]
	; wave barrier
	ds_read_u8 v1, v1
	ds_read_u8 v4, v4
	;; [unrolled: 1-line block ×8, first 2 shown]
	v_cndmask_b32_e64 v6, v41, v36, s5
	v_cndmask_b32_e64 v11, v27, v30, s4
	v_cndmask_b32_e32 v2, v2, v13, vcc_lo
	v_cndmask_b32_e64 v12, v14, v15, s0
	v_cndmask_b32_e64 v13, v17, v18, s1
	;; [unrolled: 1-line block ×4, first 2 shown]
	s_add_u32 s0, s38, s40
	s_addc_u32 s1, s39, 0
	s_waitcnt lgkmcnt(7)
	v_add_nc_u16 v1, v1, v2
	s_waitcnt lgkmcnt(6)
	v_add_nc_u16 v2, v4, v12
	;; [unrolled: 2-line block ×8, first 2 shown]
	v_lshlrev_b16 v2, 8, v2
	v_lshlrev_b16 v5, 8, v5
	;; [unrolled: 1-line block ×4, first 2 shown]
	v_or_b32_sdwa v2, v1, v2 dst_sel:DWORD dst_unused:UNUSED_PAD src0_sel:BYTE_0 src1_sel:DWORD
	v_or_b32_sdwa v4, v4, v5 dst_sel:WORD_1 dst_unused:UNUSED_PAD src0_sel:BYTE_0 src1_sel:DWORD
	v_or_b32_sdwa v5, v7, v6 dst_sel:DWORD dst_unused:UNUSED_PAD src0_sel:BYTE_0 src1_sel:DWORD
	v_or_b32_sdwa v6, v9, v0 dst_sel:WORD_1 dst_unused:UNUSED_PAD src0_sel:BYTE_0 src1_sel:DWORD
	v_add_co_u32 v0, s0, s0, v3
	v_add_co_ci_u32_e64 v1, null, s1, 0, s0
	v_or_b32_sdwa v2, v2, v4 dst_sel:DWORD dst_unused:UNUSED_PAD src0_sel:WORD_0 src1_sel:DWORD
	v_or_b32_sdwa v3, v5, v6 dst_sel:DWORD dst_unused:UNUSED_PAD src0_sel:WORD_0 src1_sel:DWORD
	global_store_dwordx2 v[0:1], v[2:3], off
	s_endpgm
	.section	.rodata,"a",@progbits
	.p2align	6, 0x0
	.amdhsa_kernel _Z10sort_pairsILj256ELj64ELj8EaN10test_utils4lessEEvPKT2_PS2_T3_
		.amdhsa_group_segment_fixed_size 2052
		.amdhsa_private_segment_fixed_size 0
		.amdhsa_kernarg_size 20
		.amdhsa_user_sgpr_count 6
		.amdhsa_user_sgpr_private_segment_buffer 1
		.amdhsa_user_sgpr_dispatch_ptr 0
		.amdhsa_user_sgpr_queue_ptr 0
		.amdhsa_user_sgpr_kernarg_segment_ptr 1
		.amdhsa_user_sgpr_dispatch_id 0
		.amdhsa_user_sgpr_flat_scratch_init 0
		.amdhsa_user_sgpr_private_segment_size 0
		.amdhsa_wavefront_size32 1
		.amdhsa_uses_dynamic_stack 0
		.amdhsa_system_sgpr_private_segment_wavefront_offset 0
		.amdhsa_system_sgpr_workgroup_id_x 1
		.amdhsa_system_sgpr_workgroup_id_y 0
		.amdhsa_system_sgpr_workgroup_id_z 0
		.amdhsa_system_sgpr_workgroup_info 0
		.amdhsa_system_vgpr_workitem_id 0
		.amdhsa_next_free_vgpr 46
		.amdhsa_next_free_sgpr 41
		.amdhsa_reserve_vcc 1
		.amdhsa_reserve_flat_scratch 0
		.amdhsa_float_round_mode_32 0
		.amdhsa_float_round_mode_16_64 0
		.amdhsa_float_denorm_mode_32 3
		.amdhsa_float_denorm_mode_16_64 3
		.amdhsa_dx10_clamp 1
		.amdhsa_ieee_mode 1
		.amdhsa_fp16_overflow 0
		.amdhsa_workgroup_processor_mode 1
		.amdhsa_memory_ordered 1
		.amdhsa_forward_progress 1
		.amdhsa_shared_vgpr_count 0
		.amdhsa_exception_fp_ieee_invalid_op 0
		.amdhsa_exception_fp_denorm_src 0
		.amdhsa_exception_fp_ieee_div_zero 0
		.amdhsa_exception_fp_ieee_overflow 0
		.amdhsa_exception_fp_ieee_underflow 0
		.amdhsa_exception_fp_ieee_inexact 0
		.amdhsa_exception_int_div_zero 0
	.end_amdhsa_kernel
	.section	.text._Z10sort_pairsILj256ELj64ELj8EaN10test_utils4lessEEvPKT2_PS2_T3_,"axG",@progbits,_Z10sort_pairsILj256ELj64ELj8EaN10test_utils4lessEEvPKT2_PS2_T3_,comdat
.Lfunc_end93:
	.size	_Z10sort_pairsILj256ELj64ELj8EaN10test_utils4lessEEvPKT2_PS2_T3_, .Lfunc_end93-_Z10sort_pairsILj256ELj64ELj8EaN10test_utils4lessEEvPKT2_PS2_T3_
                                        ; -- End function
	.set _Z10sort_pairsILj256ELj64ELj8EaN10test_utils4lessEEvPKT2_PS2_T3_.num_vgpr, 46
	.set _Z10sort_pairsILj256ELj64ELj8EaN10test_utils4lessEEvPKT2_PS2_T3_.num_agpr, 0
	.set _Z10sort_pairsILj256ELj64ELj8EaN10test_utils4lessEEvPKT2_PS2_T3_.numbered_sgpr, 41
	.set _Z10sort_pairsILj256ELj64ELj8EaN10test_utils4lessEEvPKT2_PS2_T3_.num_named_barrier, 0
	.set _Z10sort_pairsILj256ELj64ELj8EaN10test_utils4lessEEvPKT2_PS2_T3_.private_seg_size, 0
	.set _Z10sort_pairsILj256ELj64ELj8EaN10test_utils4lessEEvPKT2_PS2_T3_.uses_vcc, 1
	.set _Z10sort_pairsILj256ELj64ELj8EaN10test_utils4lessEEvPKT2_PS2_T3_.uses_flat_scratch, 0
	.set _Z10sort_pairsILj256ELj64ELj8EaN10test_utils4lessEEvPKT2_PS2_T3_.has_dyn_sized_stack, 0
	.set _Z10sort_pairsILj256ELj64ELj8EaN10test_utils4lessEEvPKT2_PS2_T3_.has_recursion, 0
	.set _Z10sort_pairsILj256ELj64ELj8EaN10test_utils4lessEEvPKT2_PS2_T3_.has_indirect_call, 0
	.section	.AMDGPU.csdata,"",@progbits
; Kernel info:
; codeLenInByte = 11436
; TotalNumSgprs: 43
; NumVgprs: 46
; ScratchSize: 0
; MemoryBound: 0
; FloatMode: 240
; IeeeMode: 1
; LDSByteSize: 2052 bytes/workgroup (compile time only)
; SGPRBlocks: 0
; VGPRBlocks: 5
; NumSGPRsForWavesPerEU: 43
; NumVGPRsForWavesPerEU: 46
; Occupancy: 16
; WaveLimiterHint : 0
; COMPUTE_PGM_RSRC2:SCRATCH_EN: 0
; COMPUTE_PGM_RSRC2:USER_SGPR: 6
; COMPUTE_PGM_RSRC2:TRAP_HANDLER: 0
; COMPUTE_PGM_RSRC2:TGID_X_EN: 1
; COMPUTE_PGM_RSRC2:TGID_Y_EN: 0
; COMPUTE_PGM_RSRC2:TGID_Z_EN: 0
; COMPUTE_PGM_RSRC2:TIDIG_COMP_CNT: 0
	.section	.text._Z19sort_keys_segmentedILj256ELj64ELj8EaN10test_utils4lessEEvPKT2_PS2_PKjT3_,"axG",@progbits,_Z19sort_keys_segmentedILj256ELj64ELj8EaN10test_utils4lessEEvPKT2_PS2_PKjT3_,comdat
	.protected	_Z19sort_keys_segmentedILj256ELj64ELj8EaN10test_utils4lessEEvPKT2_PS2_PKjT3_ ; -- Begin function _Z19sort_keys_segmentedILj256ELj64ELj8EaN10test_utils4lessEEvPKT2_PS2_PKjT3_
	.globl	_Z19sort_keys_segmentedILj256ELj64ELj8EaN10test_utils4lessEEvPKT2_PS2_PKjT3_
	.p2align	8
	.type	_Z19sort_keys_segmentedILj256ELj64ELj8EaN10test_utils4lessEEvPKT2_PS2_PKjT3_,@function
_Z19sort_keys_segmentedILj256ELj64ELj8EaN10test_utils4lessEEvPKT2_PS2_PKjT3_: ; @_Z19sort_keys_segmentedILj256ELj64ELj8EaN10test_utils4lessEEvPKT2_PS2_PKjT3_
; %bb.0:
	s_clause 0x1
	s_load_dwordx2 s[0:1], s[4:5], 0x10
	s_load_dwordx4 s[16:19], s[4:5], 0x0
	v_lshrrev_b32_e32 v7, 6, v0
	v_mov_b32_e32 v1, 0
	v_mov_b32_e32 v8, 0
	v_mov_b32_e32 v12, 0
	v_mov_b32_e32 v10, 0
	v_lshl_or_b32 v0, s6, 2, v7
	v_mov_b32_e32 v11, 0
	v_mov_b32_e32 v9, 0
	v_lshlrev_b64 v[2:3], 2, v[0:1]
	v_lshlrev_b32_e32 v4, 9, v0
	v_mov_b32_e32 v0, 0
	s_waitcnt lgkmcnt(0)
	v_add_co_u32 v2, vcc_lo, s0, v2
	v_add_co_ci_u32_e64 v3, null, s1, v3, vcc_lo
	global_load_dword v6, v[2:3], off
	v_mbcnt_lo_u32_b32 v2, -1, 0
	v_lshlrev_b32_e32 v5, 3, v2
	v_add_co_u32 v2, s0, s16, v4
	v_add_co_ci_u32_e64 v3, null, s17, 0, s0
	v_add_co_u32 v2, vcc_lo, v2, v5
	v_add_co_ci_u32_e64 v3, null, 0, v3, vcc_lo
	s_waitcnt vmcnt(0)
	v_cmp_lt_u32_e64 s0, v5, v6
	s_and_saveexec_b32 s1, s0
	s_cbranch_execz .LBB94_2
; %bb.1:
	global_load_ubyte v8, v[2:3], off
	v_mov_b32_e32 v12, 0
	v_mov_b32_e32 v10, 0
	;; [unrolled: 1-line block ×5, first 2 shown]
.LBB94_2:
	s_or_b32 exec_lo, exec_lo, s1
	v_or_b32_e32 v13, 1, v5
	v_mov_b32_e32 v14, v1
	v_cmp_lt_u32_e64 s1, v13, v6
	s_and_saveexec_b32 s2, s1
	s_cbranch_execz .LBB94_4
; %bb.3:
	global_load_ubyte v14, v[2:3], off offset:1
.LBB94_4:
	s_or_b32 exec_lo, exec_lo, s2
	v_or_b32_e32 v15, 2, v5
	v_cmp_lt_u32_e64 s2, v15, v6
	s_and_saveexec_b32 s3, s2
	s_cbranch_execz .LBB94_6
; %bb.5:
	global_load_ubyte v1, v[2:3], off offset:2
.LBB94_6:
	s_or_b32 exec_lo, exec_lo, s3
	v_or_b32_e32 v16, 3, v5
	;; [unrolled: 8-line block ×6, first 2 shown]
	v_cmp_lt_u32_e64 s7, v20, v6
	s_and_saveexec_b32 s8, s7
	s_cbranch_execz .LBB94_16
; %bb.15:
	global_load_ubyte v9, v[2:3], off offset:7
.LBB94_16:
	s_or_b32 exec_lo, exec_lo, s8
	s_waitcnt vmcnt(0)
	v_perm_b32 v1, v1, v12, 0xc0c0004
	v_mov_b32_e32 v2, 0x7f00
	v_perm_b32 v3, v8, v14, 0xc0c0004
	v_cmp_lt_i32_e32 vcc_lo, v13, v6
	v_perm_b32 v10, v10, v11, 0xc0c0004
	v_lshlrev_b32_e32 v1, 16, v1
	v_or_b32_sdwa v8, v8, v2 dst_sel:DWORD dst_unused:UNUSED_PAD src0_sel:BYTE_0 src1_sel:DWORD
	v_mov_b32_e32 v11, 0x7f
	v_perm_b32 v0, v0, v9, 0xc0c0004
	v_and_b32_e32 v13, 0xffffff00, v10
	v_or_b32_e32 v12, v3, v1
	v_or_b32_sdwa v1, v8, v1 dst_sel:DWORD dst_unused:UNUSED_PAD src0_sel:WORD_0 src1_sel:DWORD
	v_mov_b32_e32 v8, 0xffffff00
	v_lshl_or_b32 v0, v0, 16, v10
	v_or_b32_e32 v9, 0x7f, v13
	v_cmp_lt_i32_e64 s8, v16, v6
	v_cndmask_b32_e32 v1, v1, v12, vcc_lo
	v_cmp_lt_i32_e32 vcc_lo, v15, v6
	s_mov_b32 s9, exec_lo
	v_and_b32_e32 v9, 0xffff, v9
	v_and_b32_sdwa v3, v1, v8 dst_sel:DWORD dst_unused:UNUSED_PAD src0_sel:WORD_1 src1_sel:DWORD
	v_and_or_b32 v9, 0xffff0000, v0, v9
	v_or_b32_sdwa v3, v3, v11 dst_sel:WORD_1 dst_unused:UNUSED_PAD src0_sel:DWORD src1_sel:DWORD
	v_and_or_b32 v1, 0xffff, v1, v3
	v_mov_b32_e32 v3, 0xff
	v_cndmask_b32_e32 v1, v1, v12, vcc_lo
	v_cmp_lt_i32_e32 vcc_lo, v17, v6
	v_and_b32_sdwa v10, v1, v3 dst_sel:DWORD dst_unused:UNUSED_PAD src0_sel:WORD_1 src1_sel:DWORD
	v_cndmask_b32_e32 v9, v9, v0, vcc_lo
	v_or_b32_sdwa v10, v10, v2 dst_sel:WORD_1 dst_unused:UNUSED_PAD src0_sel:DWORD src1_sel:DWORD
	v_or_b32_sdwa v13, v9, v2 dst_sel:DWORD dst_unused:UNUSED_PAD src0_sel:BYTE_0 src1_sel:DWORD
	v_and_or_b32 v1, 0xffff, v1, v10
	v_and_b32_e32 v10, 0xffff, v13
	v_cndmask_b32_e64 v1, v1, v12, s8
	v_and_or_b32 v9, 0xffff0000, v9, v10
	v_cmp_lt_i32_e64 s8, v20, v6
	v_cndmask_b32_e32 v1, v1, v12, vcc_lo
	v_cmp_lt_i32_e32 vcc_lo, v18, v6
	v_cndmask_b32_e32 v10, v1, v12, vcc_lo
	v_cndmask_b32_e32 v1, v9, v0, vcc_lo
	v_cmp_lt_i32_e32 vcc_lo, v19, v6
	v_and_b32_sdwa v8, v1, v8 dst_sel:DWORD dst_unused:UNUSED_PAD src0_sel:WORD_1 src1_sel:DWORD
	v_or_b32_sdwa v8, v8, v11 dst_sel:WORD_1 dst_unused:UNUSED_PAD src0_sel:DWORD src1_sel:DWORD
	v_and_or_b32 v1, 0xffff, v1, v8
	v_cndmask_b32_e32 v1, v1, v0, vcc_lo
	v_cndmask_b32_e32 v0, v10, v12, vcc_lo
	v_cmpx_ge_i32_e64 v20, v6
; %bb.17:
	v_and_b32_sdwa v3, v1, v3 dst_sel:DWORD dst_unused:UNUSED_PAD src0_sel:WORD_1 src1_sel:DWORD
	v_cmp_lt_i32_e32 vcc_lo, v5, v6
	s_andn2_b32 s8, s8, exec_lo
	v_or_b32_sdwa v2, v3, v2 dst_sel:WORD_1 dst_unused:UNUSED_PAD src0_sel:DWORD src1_sel:DWORD
	s_and_b32 s10, vcc_lo, exec_lo
	s_or_b32 s8, s8, s10
	v_and_or_b32 v1, 0xffff, v1, v2
; %bb.18:
	s_or_b32 exec_lo, exec_lo, s9
	s_and_saveexec_b32 s10, s8
	s_cbranch_execz .LBB94_22
; %bb.19:
	v_lshrrev_b32_e32 v2, 8, v0
	v_perm_b32 v3, 0, v0, 0xc0c0001
	v_bfe_i32 v8, v0, 0, 8
	v_bfe_i32 v15, v1, 0, 8
	v_perm_b32 v16, v1, v1, 0x7060405
	v_bfe_i32 v9, v2, 0, 8
	v_and_or_b32 v2, 0xffff0000, v0, v3
	v_mov_b32_e32 v17, 0xff
	v_cmp_lt_i16_e32 vcc_lo, v9, v8
	v_max_i16 v13, v9, v8
	v_min_i16 v8, v9, v8
	v_cndmask_b32_e32 v0, v0, v2, vcc_lo
	v_lshrrev_b32_e32 v2, 16, v0
	v_lshrrev_b32_e32 v3, 24, v0
	v_perm_b32 v10, 0, v2, 0xc0c0001
	v_bfe_i32 v3, v3, 0, 8
	v_bfe_i32 v11, v2, 0, 8
	v_lshlrev_b32_e32 v2, 16, v10
	v_min_i16 v10, v3, v11
	v_cmp_lt_i16_e32 vcc_lo, v3, v11
	v_max_i16 v3, v3, v11
	v_and_or_b32 v2, 0xffff, v0, v2
	v_lshlrev_b16 v12, 8, v10
	v_min_i16 v19, v10, v13
	v_cndmask_b32_e32 v0, v0, v2, vcc_lo
	v_cmp_lt_i16_e32 vcc_lo, v10, v13
	v_or_b32_sdwa v2, v0, v12 dst_sel:DWORD dst_unused:UNUSED_PAD src0_sel:BYTE_0 src1_sel:DWORD
	v_lshrrev_b32_e32 v12, 8, v1
	v_perm_b32 v14, v13, v0, 0xc0c0304
	v_max_i16 v13, v10, v13
	v_and_b32_e32 v2, 0xffff, v2
	v_bfe_i32 v12, v12, 0, 8
	v_lshl_or_b32 v14, v14, 16, v2
	v_min_i16 v18, v12, v15
	v_max_i16 v9, v12, v15
	v_mov_b32_e32 v2, 0xffffff00
	v_cndmask_b32_e32 v0, v0, v14, vcc_lo
	v_cmp_lt_i16_e32 vcc_lo, v12, v15
	v_lshlrev_b16 v12, 8, v18
	v_and_b32_sdwa v14, v0, v17 dst_sel:DWORD dst_unused:UNUSED_PAD src0_sel:WORD_1 src1_sel:DWORD
	v_cndmask_b32_e32 v1, v1, v16, vcc_lo
	v_lshlrev_b16 v16, 8, v8
	v_cmp_lt_i16_e32 vcc_lo, v18, v3
	v_or_b32_sdwa v12, v14, v12 dst_sel:WORD_1 dst_unused:UNUSED_PAD src0_sel:DWORD src1_sel:DWORD
	v_lshrrev_b32_e32 v15, 24, v1
	v_lshrrev_b32_e32 v20, 16, v1
	v_or_b32_sdwa v16, v19, v16 dst_sel:DWORD dst_unused:UNUSED_PAD src0_sel:BYTE_0 src1_sel:DWORD
	v_perm_b32 v14, v1, v1, 0x6070504
	v_and_or_b32 v11, 0xffff, v0, v12
	v_bfe_i32 v15, v15, 0, 8
	v_bfe_i32 v12, v20, 0, 8
	v_and_b32_e32 v16, 0xffff, v16
	v_lshlrev_b16 v20, 8, v13
	v_cndmask_b32_e32 v0, v0, v11, vcc_lo
	v_min_i16 v11, v18, v3
	v_cmp_lt_i16_e64 s8, v15, v12
	v_cmp_lt_i16_e64 s9, v11, v13
	v_cndmask_b32_e64 v1, v1, v14, s8
	v_and_or_b32 v14, 0xffff0000, v0, v16
	v_cmp_lt_i16_e64 s8, v10, v8
	v_max_i16 v16, v15, v12
	v_min_i16 v12, v15, v12
	v_or_b32_sdwa v15, v11, v20 dst_sel:WORD_1 dst_unused:UNUSED_PAD src0_sel:BYTE_0 src1_sel:DWORD
	v_perm_b32 v10, v3, v1, 0x3020104
	v_cndmask_b32_e64 v0, v0, v14, s8
	v_min_i16 v14, v11, v13
	v_max_i16 v3, v18, v3
	v_cndmask_b32_e64 v23, v19, v8, s8
	v_cndmask_b32_e32 v1, v1, v10, vcc_lo
	v_and_or_b32 v15, 0xffff, v0, v15
	v_lshlrev_b16 v22, 8, v14
	v_lshlrev_b16 v18, 8, v12
	v_min_i16 v21, v12, v9
	v_and_b32_sdwa v26, v1, v2 dst_sel:DWORD dst_unused:UNUSED_PAD src0_sel:WORD_1 src1_sel:DWORD
	v_cndmask_b32_e64 v0, v0, v15, s9
	v_lshlrev_b16 v15, 8, v3
	v_or_b32_sdwa v18, v1, v18 dst_sel:DWORD dst_unused:UNUSED_PAD src0_sel:BYTE_0 src1_sel:DWORD
	v_cmp_lt_i16_e32 vcc_lo, v14, v23
	v_or_b32_sdwa v26, v9, v26 dst_sel:WORD_1 dst_unused:UNUSED_PAD src0_sel:BYTE_0 src1_sel:DWORD
	v_or_b32_sdwa v22, v0, v22 dst_sel:DWORD dst_unused:UNUSED_PAD src0_sel:BYTE_0 src1_sel:DWORD
	v_perm_b32 v10, v23, v0, 0xc0c0304
	v_or_b32_sdwa v15, v21, v15 dst_sel:DWORD dst_unused:UNUSED_PAD src0_sel:BYTE_0 src1_sel:DWORD
	v_min_i16 v24, v21, v3
	v_max_i16 v20, v12, v9
	v_and_b32_e32 v22, 0xffff, v22
	v_cndmask_b32_e64 v8, v8, v19, s8
	v_max_i16 v11, v11, v13
	v_lshlrev_b16 v27, 8, v24
	v_lshlrev_b16 v25, 8, v20
	v_lshl_or_b32 v10, v10, 16, v22
	v_cmp_gt_i16_e64 s8, v9, v16
	v_max_i16 v13, v21, v3
	v_max_i16 v22, v24, v11
	v_or_b32_sdwa v25, v16, v25 dst_sel:WORD_1 dst_unused:UNUSED_PAD src0_sel:BYTE_0 src1_sel:DWORD
	v_cndmask_b32_e32 v0, v0, v10, vcc_lo
	v_and_b32_e32 v10, 0xffff, v15
	v_or_b32_sdwa v15, v18, v26 dst_sel:DWORD dst_unused:UNUSED_PAD src0_sel:WORD_0 src1_sel:DWORD
	v_cmp_lt_i16_e32 vcc_lo, v12, v9
	v_min_i16 v18, v14, v23
	v_and_b32_sdwa v19, v0, v17 dst_sel:DWORD dst_unused:UNUSED_PAD src0_sel:WORD_1 src1_sel:DWORD
	v_lshlrev_b16 v26, 8, v8
	v_max_i16 v14, v14, v23
	v_cndmask_b32_e32 v1, v1, v15, vcc_lo
	v_cmp_lt_i16_e32 vcc_lo, v21, v3
	v_or_b32_sdwa v15, v19, v27 dst_sel:WORD_1 dst_unused:UNUSED_PAD src0_sel:DWORD src1_sel:DWORD
	v_or_b32_sdwa v19, v18, v26 dst_sel:DWORD dst_unused:UNUSED_PAD src0_sel:BYTE_0 src1_sel:DWORD
	v_min_i16 v12, v24, v11
	v_and_or_b32 v10, 0xffff0000, v1, v10
	v_lshlrev_b16 v3, 8, v14
	v_and_or_b32 v15, 0xffff, v0, v15
	v_and_b32_e32 v19, 0xffff, v19
	v_cmp_lt_i16_e64 s9, v18, v8
	v_cndmask_b32_e32 v1, v1, v10, vcc_lo
	v_cmp_lt_i16_e32 vcc_lo, v24, v11
	v_or_b32_sdwa v3, v12, v3 dst_sel:WORD_1 dst_unused:UNUSED_PAD src0_sel:BYTE_0 src1_sel:DWORD
	v_min_i16 v21, v12, v14
	v_lshlrev_b16 v26, 8, v22
	v_max_i16 v10, v18, v8
	v_cndmask_b32_e32 v0, v0, v15, vcc_lo
	v_and_or_b32 v15, 0xffff, v1, v25
	v_lshlrev_b16 v9, 8, v21
	v_min_i16 v8, v18, v8
	v_min_i16 v18, v21, v10
	v_and_or_b32 v19, 0xffff0000, v0, v19
	v_cndmask_b32_e64 v1, v1, v15, s8
	v_max_i16 v15, v21, v10
	v_cndmask_b32_e64 v0, v0, v19, s9
	v_perm_b32 v11, v11, v1, 0x3020104
	v_cndmask_b32_e64 v19, v20, v16, s8
	v_cndmask_b32_e64 v16, v16, v20, s8
	v_and_or_b32 v3, 0xffff, v0, v3
	v_cndmask_b32_e32 v1, v1, v11, vcc_lo
	v_cmp_lt_i16_e32 vcc_lo, v12, v14
	v_lshlrev_b16 v11, 8, v19
	v_min_i16 v20, v19, v13
	v_and_b32_sdwa v23, v1, v2 dst_sel:DWORD dst_unused:UNUSED_PAD src0_sel:WORD_1 src1_sel:DWORD
	v_cndmask_b32_e32 v0, v0, v3, vcc_lo
	v_or_b32_sdwa v11, v1, v11 dst_sel:DWORD dst_unused:UNUSED_PAD src0_sel:BYTE_0 src1_sel:DWORD
	v_or_b32_sdwa v25, v20, v26 dst_sel:DWORD dst_unused:UNUSED_PAD src0_sel:BYTE_0 src1_sel:DWORD
	v_cmp_lt_i16_e32 vcc_lo, v19, v13
	v_or_b32_sdwa v23, v13, v23 dst_sel:WORD_1 dst_unused:UNUSED_PAD src0_sel:BYTE_0 src1_sel:DWORD
	v_or_b32_sdwa v9, v0, v9 dst_sel:DWORD dst_unused:UNUSED_PAD src0_sel:BYTE_0 src1_sel:DWORD
	v_perm_b32 v24, v10, v0, 0xc0c0304
	v_max_i16 v26, v19, v13
	v_lshlrev_b16 v3, 8, v8
	v_or_b32_sdwa v11, v11, v23 dst_sel:DWORD dst_unused:UNUSED_PAD src0_sel:WORD_0 src1_sel:DWORD
	v_and_b32_e32 v9, 0xffff, v9
	v_min_i16 v23, v20, v22
	v_or_b32_sdwa v3, v18, v3 dst_sel:DWORD dst_unused:UNUSED_PAD src0_sel:BYTE_0 src1_sel:DWORD
	v_cndmask_b32_e32 v1, v1, v11, vcc_lo
	v_lshl_or_b32 v9, v24, 16, v9
	v_and_b32_e32 v24, 0xffff, v25
	v_cmp_lt_i16_e32 vcc_lo, v21, v10
	v_lshlrev_b16 v11, 8, v23
	v_and_b32_e32 v3, 0xffff, v3
	v_and_or_b32 v10, 0xffff0000, v1, v24
	v_cndmask_b32_e32 v0, v0, v9, vcc_lo
	v_lshlrev_b16 v9, 8, v26
	v_cmp_lt_i16_e32 vcc_lo, v20, v22
	v_and_b32_sdwa v13, v0, v17 dst_sel:DWORD dst_unused:UNUSED_PAD src0_sel:WORD_1 src1_sel:DWORD
	v_or_b32_sdwa v9, v16, v9 dst_sel:WORD_1 dst_unused:UNUSED_PAD src0_sel:BYTE_0 src1_sel:DWORD
	v_cndmask_b32_e32 v1, v1, v10, vcc_lo
	v_max_i16 v10, v12, v14
	v_cmp_lt_i16_e32 vcc_lo, v16, v26
	v_or_b32_sdwa v11, v13, v11 dst_sel:WORD_1 dst_unused:UNUSED_PAD src0_sel:DWORD src1_sel:DWORD
	v_max_i16 v14, v16, v26
	v_and_or_b32 v9, 0xffff, v1, v9
	v_lshlrev_b16 v12, 8, v15
	v_max_i16 v13, v20, v22
	v_and_or_b32 v11, 0xffff, v0, v11
	v_cndmask_b32_e32 v1, v1, v9, vcc_lo
	v_cmp_lt_i16_e32 vcc_lo, v23, v10
	v_min_i16 v9, v16, v26
	v_perm_b32 v16, v10, v1, 0x3020104
	v_cndmask_b32_e32 v0, v0, v11, vcc_lo
	v_min_i16 v11, v23, v10
	v_max_i16 v10, v23, v10
	v_lshlrev_b16 v19, 8, v9
	v_cndmask_b32_e32 v1, v1, v16, vcc_lo
	v_and_or_b32 v3, 0xffff0000, v0, v3
	v_cmp_lt_i16_e32 vcc_lo, v21, v8
	v_or_b32_sdwa v12, v11, v12 dst_sel:WORD_1 dst_unused:UNUSED_PAD src0_sel:BYTE_0 src1_sel:DWORD
	v_min_i16 v16, v9, v13
	v_and_b32_sdwa v20, v1, v2 dst_sel:DWORD dst_unused:UNUSED_PAD src0_sel:WORD_1 src1_sel:DWORD
	v_lshlrev_b16 v21, 8, v10
	v_cndmask_b32_e32 v0, v0, v3, vcc_lo
	v_min_i16 v3, v11, v15
	v_or_b32_sdwa v19, v1, v19 dst_sel:DWORD dst_unused:UNUSED_PAD src0_sel:BYTE_0 src1_sel:DWORD
	v_or_b32_sdwa v20, v13, v20 dst_sel:WORD_1 dst_unused:UNUSED_PAD src0_sel:BYTE_0 src1_sel:DWORD
	v_cmp_lt_i16_e64 s8, v11, v15
	v_and_or_b32 v12, 0xffff, v0, v12
	v_lshlrev_b16 v22, 8, v3
	v_cndmask_b32_e32 v8, v18, v8, vcc_lo
	v_or_b32_sdwa v19, v19, v20 dst_sel:DWORD dst_unused:UNUSED_PAD src0_sel:WORD_0 src1_sel:DWORD
	v_cmp_lt_i16_e32 vcc_lo, v9, v13
	v_cndmask_b32_e64 v0, v0, v12, s8
	v_or_b32_sdwa v12, v16, v21 dst_sel:DWORD dst_unused:UNUSED_PAD src0_sel:BYTE_0 src1_sel:DWORD
	v_max_i16 v21, v9, v13
	v_min_i16 v20, v16, v10
	v_cndmask_b32_e32 v1, v1, v19, vcc_lo
	v_or_b32_sdwa v18, v0, v22 dst_sel:DWORD dst_unused:UNUSED_PAD src0_sel:BYTE_0 src1_sel:DWORD
	v_and_b32_e32 v12, 0xffff, v12
	v_perm_b32 v9, v8, v0, 0xc0c0304
	v_cmp_lt_i16_e32 vcc_lo, v16, v10
	v_lshlrev_b16 v19, 8, v21
	v_and_b32_e32 v18, 0xffff, v18
	v_and_or_b32 v12, 0xffff0000, v1, v12
	v_max_i16 v11, v11, v15
	v_lshl_or_b32 v9, v9, 16, v18
	v_cndmask_b32_e32 v1, v1, v12, vcc_lo
	v_cmp_lt_i16_e32 vcc_lo, v3, v8
	v_or_b32_sdwa v18, v14, v19 dst_sel:WORD_1 dst_unused:UNUSED_PAD src0_sel:BYTE_0 src1_sel:DWORD
	v_lshlrev_b16 v3, 8, v20
	v_cmp_lt_i16_e64 s8, v20, v11
	v_cndmask_b32_e32 v0, v0, v9, vcc_lo
	v_and_or_b32 v8, 0xffff, v1, v18
	v_cmp_gt_i16_e32 vcc_lo, v13, v14
	v_and_b32_sdwa v9, v0, v17 dst_sel:DWORD dst_unused:UNUSED_PAD src0_sel:WORD_1 src1_sel:DWORD
	v_cndmask_b32_e32 v1, v1, v8, vcc_lo
	v_or_b32_sdwa v8, v9, v3 dst_sel:WORD_1 dst_unused:UNUSED_PAD src0_sel:DWORD src1_sel:DWORD
	v_max_i16 v3, v16, v10
	v_perm_b32 v9, v11, v1, 0x3020104
	v_and_or_b32 v10, 0xffff, v0, v8
	v_cndmask_b32_e32 v8, v21, v14, vcc_lo
	v_cndmask_b32_e64 v1, v1, v9, s8
	v_cndmask_b32_e64 v0, v0, v10, s8
	s_mov_b32 s8, exec_lo
	v_cmpx_lt_i16_e64 v8, v3
; %bb.20:
	v_and_b32_sdwa v2, v1, v2 dst_sel:DWORD dst_unused:UNUSED_PAD src0_sel:WORD_1 src1_sel:DWORD
	v_lshlrev_b16 v8, 8, v8
	v_or_b32_sdwa v2, v3, v2 dst_sel:WORD_1 dst_unused:UNUSED_PAD src0_sel:BYTE_0 src1_sel:DWORD
	v_or_b32_sdwa v1, v1, v8 dst_sel:DWORD dst_unused:UNUSED_PAD src0_sel:BYTE_0 src1_sel:DWORD
	v_or_b32_sdwa v1, v1, v2 dst_sel:DWORD dst_unused:UNUSED_PAD src0_sel:WORD_0 src1_sel:DWORD
; %bb.21:
	s_or_b32 exec_lo, exec_lo, s8
.LBB94_22:
	s_or_b32 exec_lo, exec_lo, s10
	v_and_b32_e32 v2, 0xf0, v5
	v_and_b32_e32 v10, 8, v5
	v_mad_u32_u24 v13, 0x201, v7, v5
	s_mov_b32 s9, 0
	s_mov_b32 s8, exec_lo
	v_min_i32_e32 v9, v6, v2
	v_min_i32_e32 v10, v6, v10
	; wave barrier
	ds_write_b64 v13, v[0:1]
	v_add_nc_u32_e32 v2, 8, v9
	; wave barrier
	v_min_i32_e32 v3, v6, v2
	v_add_nc_u32_e32 v2, 8, v3
	v_sub_nc_u32_e32 v12, v3, v9
	v_min_i32_e32 v8, v6, v2
	v_min_i32_e32 v12, v10, v12
	v_sub_nc_u32_e32 v2, v8, v3
	v_sub_nc_u32_e32 v11, v10, v2
	v_cmp_ge_i32_e32 vcc_lo, v10, v2
	v_mul_u32_u24_e32 v2, 0x201, v7
	v_cndmask_b32_e32 v11, 0, v11, vcc_lo
	v_cmpx_lt_i32_e64 v11, v12
	s_cbranch_execz .LBB94_26
; %bb.23:
	v_add_nc_u32_e32 v0, v2, v9
	v_add3_u32 v1, v2, v3, v10
	.p2align	6
.LBB94_24:                              ; =>This Inner Loop Header: Depth=1
	v_sub_nc_u32_e32 v7, v12, v11
	v_lshrrev_b32_e32 v7, 1, v7
	v_add_nc_u32_e32 v7, v7, v11
	v_add_nc_u32_e32 v13, v0, v7
	v_xad_u32 v14, v7, -1, v1
	v_add_nc_u32_e32 v15, 1, v7
	ds_read_i8 v13, v13
	ds_read_i8 v14, v14
	s_waitcnt lgkmcnt(0)
	v_cmp_lt_i16_e32 vcc_lo, v14, v13
	v_cndmask_b32_e32 v12, v12, v7, vcc_lo
	v_cndmask_b32_e32 v11, v15, v11, vcc_lo
	v_cmp_ge_i32_e32 vcc_lo, v11, v12
	s_or_b32 s9, vcc_lo, s9
	s_andn2_b32 exec_lo, exec_lo, s9
	s_cbranch_execnz .LBB94_24
; %bb.25:
	s_or_b32 exec_lo, exec_lo, s9
.LBB94_26:
	s_or_b32 exec_lo, exec_lo, s8
	v_add_nc_u32_e32 v0, v3, v10
	v_add_nc_u32_e32 v10, v11, v9
                                        ; implicit-def: $vgpr7
	v_sub_nc_u32_e32 v11, v0, v11
	v_add_nc_u32_e32 v9, v2, v10
	v_cmp_le_i32_e32 vcc_lo, v3, v10
	v_add_nc_u32_e32 v12, v2, v11
	v_cmp_gt_i32_e64 s9, v8, v11
	ds_read_u8 v0, v9
	ds_read_u8 v1, v12
	s_waitcnt lgkmcnt(1)
	v_bfe_i32 v0, v0, 0, 8
	s_waitcnt lgkmcnt(0)
	v_bfe_i32 v1, v1, 0, 8
	v_cmp_lt_i16_e64 s8, v1, v0
	s_or_b32 s8, vcc_lo, s8
	s_and_b32 s8, s9, s8
	s_xor_b32 s9, s8, -1
	s_and_saveexec_b32 s10, s9
	s_xor_b32 s9, exec_lo, s10
; %bb.27:
	ds_read_u8 v7, v9 offset:1
                                        ; implicit-def: $vgpr12
; %bb.28:
	s_or_saveexec_b32 s9, s9
	v_mov_b32_e32 v9, v1
	s_xor_b32 exec_lo, exec_lo, s9
	s_cbranch_execz .LBB94_30
; %bb.29:
	ds_read_u8 v9, v12 offset:1
	s_waitcnt lgkmcnt(1)
	v_mov_b32_e32 v7, v0
.LBB94_30:
	s_or_b32 exec_lo, exec_lo, s9
	v_add_nc_u32_e32 v12, 1, v10
	v_add_nc_u32_e32 v14, 1, v11
	s_waitcnt lgkmcnt(0)
	v_cmp_lt_i16_sdwa s10, sext(v9), sext(v7) src0_sel:BYTE_0 src1_sel:BYTE_0
	v_cndmask_b32_e64 v13, v12, v10, s8
	v_cndmask_b32_e64 v12, v11, v14, s8
                                        ; implicit-def: $vgpr10
	v_cmp_ge_i32_e32 vcc_lo, v13, v3
	v_cmp_lt_i32_e64 s9, v12, v8
	s_or_b32 s10, vcc_lo, s10
	s_and_b32 s9, s9, s10
	s_xor_b32 s10, s9, -1
	s_and_saveexec_b32 s11, s10
	s_xor_b32 s10, exec_lo, s11
; %bb.31:
	v_add_nc_u32_e32 v10, v2, v13
	ds_read_u8 v10, v10 offset:1
; %bb.32:
	s_or_saveexec_b32 s10, s10
	v_mov_b32_e32 v11, v9
	s_xor_b32 exec_lo, exec_lo, s10
	s_cbranch_execz .LBB94_34
; %bb.33:
	s_waitcnt lgkmcnt(0)
	v_add_nc_u32_e32 v10, v2, v12
	ds_read_u8 v11, v10 offset:1
	v_mov_b32_e32 v10, v7
.LBB94_34:
	s_or_b32 exec_lo, exec_lo, s10
	v_add_nc_u32_e32 v14, 1, v13
	v_add_nc_u32_e32 v16, 1, v12
	s_waitcnt lgkmcnt(0)
	v_cmp_lt_i16_sdwa s11, sext(v11), sext(v10) src0_sel:BYTE_0 src1_sel:BYTE_0
	v_cndmask_b32_e64 v15, v14, v13, s9
	v_cndmask_b32_e64 v14, v12, v16, s9
                                        ; implicit-def: $vgpr12
	v_cmp_ge_i32_e32 vcc_lo, v15, v3
	v_cmp_lt_i32_e64 s10, v14, v8
	s_or_b32 s11, vcc_lo, s11
	s_and_b32 s10, s10, s11
	s_xor_b32 s11, s10, -1
	s_and_saveexec_b32 s12, s11
	s_xor_b32 s11, exec_lo, s12
; %bb.35:
	v_add_nc_u32_e32 v12, v2, v15
	ds_read_u8 v12, v12 offset:1
; %bb.36:
	s_or_saveexec_b32 s11, s11
	v_mov_b32_e32 v13, v11
	s_xor_b32 exec_lo, exec_lo, s11
	s_cbranch_execz .LBB94_38
; %bb.37:
	s_waitcnt lgkmcnt(0)
	v_add_nc_u32_e32 v12, v2, v14
	ds_read_u8 v13, v12 offset:1
	v_mov_b32_e32 v12, v10
.LBB94_38:
	s_or_b32 exec_lo, exec_lo, s11
	v_add_nc_u32_e32 v16, 1, v15
	v_add_nc_u32_e32 v18, 1, v14
	s_waitcnt lgkmcnt(0)
	v_cmp_lt_i16_sdwa s12, sext(v13), sext(v12) src0_sel:BYTE_0 src1_sel:BYTE_0
	v_cndmask_b32_e64 v17, v16, v15, s10
	v_cndmask_b32_e64 v16, v14, v18, s10
                                        ; implicit-def: $vgpr14
	v_cmp_ge_i32_e32 vcc_lo, v17, v3
	v_cmp_lt_i32_e64 s11, v16, v8
	s_or_b32 s12, vcc_lo, s12
	s_and_b32 s11, s11, s12
	s_xor_b32 s12, s11, -1
	s_and_saveexec_b32 s13, s12
	s_xor_b32 s12, exec_lo, s13
; %bb.39:
	v_add_nc_u32_e32 v14, v2, v17
	ds_read_u8 v14, v14 offset:1
; %bb.40:
	s_or_saveexec_b32 s12, s12
	v_mov_b32_e32 v15, v13
	s_xor_b32 exec_lo, exec_lo, s12
	s_cbranch_execz .LBB94_42
; %bb.41:
	s_waitcnt lgkmcnt(0)
	v_add_nc_u32_e32 v14, v2, v16
	ds_read_u8 v15, v14 offset:1
	v_mov_b32_e32 v14, v12
.LBB94_42:
	s_or_b32 exec_lo, exec_lo, s12
	v_add_nc_u32_e32 v18, 1, v17
	v_add_nc_u32_e32 v20, 1, v16
	s_waitcnt lgkmcnt(0)
	v_cmp_lt_i16_sdwa s13, sext(v15), sext(v14) src0_sel:BYTE_0 src1_sel:BYTE_0
	v_cndmask_b32_e64 v19, v18, v17, s11
	v_cndmask_b32_e64 v18, v16, v20, s11
                                        ; implicit-def: $vgpr16
	v_cmp_ge_i32_e32 vcc_lo, v19, v3
	v_cmp_lt_i32_e64 s12, v18, v8
	s_or_b32 s13, vcc_lo, s13
	s_and_b32 s12, s12, s13
	s_xor_b32 s13, s12, -1
	s_and_saveexec_b32 s14, s13
	s_xor_b32 s13, exec_lo, s14
; %bb.43:
	v_add_nc_u32_e32 v16, v2, v19
	ds_read_u8 v16, v16 offset:1
; %bb.44:
	s_or_saveexec_b32 s13, s13
	v_mov_b32_e32 v17, v15
	s_xor_b32 exec_lo, exec_lo, s13
	s_cbranch_execz .LBB94_46
; %bb.45:
	s_waitcnt lgkmcnt(0)
	v_add_nc_u32_e32 v16, v2, v18
	ds_read_u8 v17, v16 offset:1
	v_mov_b32_e32 v16, v14
.LBB94_46:
	s_or_b32 exec_lo, exec_lo, s13
	v_add_nc_u32_e32 v20, 1, v19
	v_add_nc_u32_e32 v21, 1, v18
	s_waitcnt lgkmcnt(0)
	v_cmp_lt_i16_sdwa s14, sext(v17), sext(v16) src0_sel:BYTE_0 src1_sel:BYTE_0
	v_cndmask_b32_e64 v20, v20, v19, s12
	v_cndmask_b32_e64 v21, v18, v21, s12
                                        ; implicit-def: $vgpr18
	v_cmp_ge_i32_e32 vcc_lo, v20, v3
	v_cmp_lt_i32_e64 s13, v21, v8
	s_or_b32 s14, vcc_lo, s14
	s_and_b32 vcc_lo, s13, s14
	s_xor_b32 s13, vcc_lo, -1
	s_and_saveexec_b32 s14, s13
	s_xor_b32 s13, exec_lo, s14
; %bb.47:
	v_add_nc_u32_e32 v18, v2, v20
	ds_read_u8 v18, v18 offset:1
; %bb.48:
	s_or_saveexec_b32 s13, s13
	v_mov_b32_e32 v19, v17
	s_xor_b32 exec_lo, exec_lo, s13
	s_cbranch_execz .LBB94_50
; %bb.49:
	s_waitcnt lgkmcnt(0)
	v_add_nc_u32_e32 v18, v2, v21
	ds_read_u8 v19, v18 offset:1
	v_mov_b32_e32 v18, v16
.LBB94_50:
	s_or_b32 exec_lo, exec_lo, s13
	v_add_nc_u32_e32 v22, 1, v20
	v_add_nc_u32_e32 v23, 1, v21
	s_waitcnt lgkmcnt(0)
	v_cmp_lt_i16_sdwa s15, sext(v19), sext(v18) src0_sel:BYTE_0 src1_sel:BYTE_0
	v_cndmask_b32_e32 v20, v22, v20, vcc_lo
	v_cndmask_b32_e32 v21, v21, v23, vcc_lo
                                        ; implicit-def: $vgpr22
	v_cmp_ge_i32_e64 s13, v20, v3
	v_cmp_lt_i32_e64 s14, v21, v8
	s_or_b32 s13, s13, s15
	s_and_b32 s13, s14, s13
	s_xor_b32 s14, s13, -1
	s_and_saveexec_b32 s15, s14
	s_xor_b32 s14, exec_lo, s15
; %bb.51:
	v_add_nc_u32_e32 v22, v2, v20
	ds_read_u8 v22, v22 offset:1
; %bb.52:
	s_or_saveexec_b32 s14, s14
	v_mov_b32_e32 v23, v19
	s_xor_b32 exec_lo, exec_lo, s14
	s_cbranch_execz .LBB94_54
; %bb.53:
	s_waitcnt lgkmcnt(0)
	v_add_nc_u32_e32 v22, v2, v21
	ds_read_u8 v23, v22 offset:1
	v_mov_b32_e32 v22, v18
.LBB94_54:
	s_or_b32 exec_lo, exec_lo, s14
	v_and_b32_e32 v24, 0xe0, v5
	v_cndmask_b32_e64 v19, v18, v19, s13
	v_add_nc_u32_e32 v26, 1, v20
	v_add_nc_u32_e32 v25, 1, v21
	v_cndmask_b32_e64 v10, v10, v11, s10
	v_min_i32_e32 v18, v6, v24
	v_cndmask_b32_e64 v11, v0, v1, s8
	v_cndmask_b32_e64 v14, v14, v15, s12
	;; [unrolled: 1-line block ×4, first 2 shown]
	v_add_nc_u32_e32 v1, 16, v18
	v_cndmask_b32_e64 v7, v21, v25, s13
	s_waitcnt lgkmcnt(0)
	v_cmp_lt_i16_sdwa s10, sext(v23), sext(v22) src0_sel:BYTE_0 src1_sel:BYTE_0
	v_cmp_ge_i32_e64 s9, v15, v3
	v_cndmask_b32_sdwa v16, v16, v17, vcc_lo dst_sel:BYTE_1 dst_unused:UNUSED_PAD src0_sel:DWORD src1_sel:DWORD
	v_min_i32_e32 v1, v6, v1
	v_cmp_lt_i32_e64 s8, v7, v8
	s_mov_b32 vcc_lo, s11
	s_or_b32 s9, s9, s10
	v_cndmask_b32_sdwa v8, v12, v13, vcc_lo dst_sel:BYTE_1 dst_unused:UNUSED_PAD src0_sel:DWORD src1_sel:DWORD
	v_add_nc_u32_e32 v3, 16, v1
	s_and_b32 vcc_lo, s8, s9
	v_and_b32_e32 v20, 24, v5
	v_cndmask_b32_e32 v12, v22, v23, vcc_lo
	v_lshlrev_b16 v9, 8, v9
	v_min_i32_e32 v7, v6, v3
	v_or_b32_sdwa v8, v10, v8 dst_sel:WORD_1 dst_unused:UNUSED_PAD src0_sel:BYTE_0 src1_sel:DWORD
	v_min_i32_e32 v3, v6, v20
	v_lshlrev_b16 v10, 8, v12
	v_or_b32_sdwa v9, v11, v9 dst_sel:DWORD dst_unused:UNUSED_PAD src0_sel:BYTE_0 src1_sel:DWORD
	v_sub_nc_u32_e32 v13, v7, v1
	v_or_b32_sdwa v11, v14, v16 dst_sel:DWORD dst_unused:UNUSED_PAD src0_sel:BYTE_0 src1_sel:DWORD
	v_sub_nc_u32_e32 v14, v1, v18
	v_or_b32_sdwa v15, v19, v10 dst_sel:WORD_1 dst_unused:UNUSED_PAD src0_sel:BYTE_0 src1_sel:DWORD
	v_add_nc_u32_e32 v0, v2, v5
	v_sub_nc_u32_e32 v12, v3, v13
	v_cmp_ge_i32_e32 vcc_lo, v3, v13
	v_or_b32_sdwa v10, v9, v8 dst_sel:DWORD dst_unused:UNUSED_PAD src0_sel:WORD_0 src1_sel:DWORD
	v_min_i32_e32 v9, v3, v14
	v_or_b32_sdwa v11, v11, v15 dst_sel:DWORD dst_unused:UNUSED_PAD src0_sel:WORD_0 src1_sel:DWORD
	s_mov_b32 s9, 0
	v_cndmask_b32_e32 v8, 0, v12, vcc_lo
	s_mov_b32 s8, exec_lo
	; wave barrier
	ds_write_b64 v0, v[10:11]
	; wave barrier
	v_cmpx_lt_i32_e64 v8, v9
	s_cbranch_execz .LBB94_58
; %bb.55:
	v_add_nc_u32_e32 v10, v2, v18
	v_add3_u32 v11, v2, v1, v3
	.p2align	6
.LBB94_56:                              ; =>This Inner Loop Header: Depth=1
	v_sub_nc_u32_e32 v12, v9, v8
	v_lshrrev_b32_e32 v12, 1, v12
	v_add_nc_u32_e32 v12, v12, v8
	v_add_nc_u32_e32 v13, v10, v12
	v_xad_u32 v14, v12, -1, v11
	v_add_nc_u32_e32 v15, 1, v12
	ds_read_i8 v13, v13
	ds_read_i8 v14, v14
	s_waitcnt lgkmcnt(0)
	v_cmp_lt_i16_e32 vcc_lo, v14, v13
	v_cndmask_b32_e32 v9, v9, v12, vcc_lo
	v_cndmask_b32_e32 v8, v15, v8, vcc_lo
	v_cmp_ge_i32_e32 vcc_lo, v8, v9
	s_or_b32 s9, vcc_lo, s9
	s_andn2_b32 exec_lo, exec_lo, s9
	s_cbranch_execnz .LBB94_56
; %bb.57:
	s_or_b32 exec_lo, exec_lo, s9
.LBB94_58:
	s_or_b32 exec_lo, exec_lo, s8
	v_add_nc_u32_e32 v3, v1, v3
	v_add_nc_u32_e32 v11, v8, v18
                                        ; implicit-def: $vgpr9
	v_sub_nc_u32_e32 v12, v3, v8
	v_add_nc_u32_e32 v10, v2, v11
	v_cmp_le_i32_e32 vcc_lo, v1, v11
	v_add_nc_u32_e32 v13, v2, v12
	v_cmp_gt_i32_e64 s9, v7, v12
	ds_read_u8 v3, v10
	ds_read_u8 v8, v13
	s_waitcnt lgkmcnt(1)
	v_bfe_i32 v3, v3, 0, 8
	s_waitcnt lgkmcnt(0)
	v_bfe_i32 v8, v8, 0, 8
	v_cmp_lt_i16_e64 s8, v8, v3
	s_or_b32 s8, vcc_lo, s8
	s_and_b32 s8, s9, s8
	s_xor_b32 s9, s8, -1
	s_and_saveexec_b32 s10, s9
	s_xor_b32 s9, exec_lo, s10
; %bb.59:
	ds_read_u8 v9, v10 offset:1
                                        ; implicit-def: $vgpr13
; %bb.60:
	s_or_saveexec_b32 s9, s9
	v_mov_b32_e32 v10, v8
	s_xor_b32 exec_lo, exec_lo, s9
	s_cbranch_execz .LBB94_62
; %bb.61:
	ds_read_u8 v10, v13 offset:1
	s_waitcnt lgkmcnt(1)
	v_mov_b32_e32 v9, v3
.LBB94_62:
	s_or_b32 exec_lo, exec_lo, s9
	v_add_nc_u32_e32 v13, 1, v11
	v_add_nc_u32_e32 v15, 1, v12
	s_waitcnt lgkmcnt(0)
	v_cmp_lt_i16_sdwa s10, sext(v10), sext(v9) src0_sel:BYTE_0 src1_sel:BYTE_0
	v_cndmask_b32_e64 v14, v13, v11, s8
	v_cndmask_b32_e64 v13, v12, v15, s8
                                        ; implicit-def: $vgpr11
	v_cmp_ge_i32_e32 vcc_lo, v14, v1
	v_cmp_lt_i32_e64 s9, v13, v7
	s_or_b32 s10, vcc_lo, s10
	s_and_b32 s9, s9, s10
	s_xor_b32 s10, s9, -1
	s_and_saveexec_b32 s11, s10
	s_xor_b32 s10, exec_lo, s11
; %bb.63:
	v_add_nc_u32_e32 v11, v2, v14
	ds_read_u8 v11, v11 offset:1
; %bb.64:
	s_or_saveexec_b32 s10, s10
	v_mov_b32_e32 v12, v10
	s_xor_b32 exec_lo, exec_lo, s10
	s_cbranch_execz .LBB94_66
; %bb.65:
	s_waitcnt lgkmcnt(0)
	v_add_nc_u32_e32 v11, v2, v13
	ds_read_u8 v12, v11 offset:1
	v_mov_b32_e32 v11, v9
.LBB94_66:
	s_or_b32 exec_lo, exec_lo, s10
	v_add_nc_u32_e32 v15, 1, v14
	v_add_nc_u32_e32 v17, 1, v13
	s_waitcnt lgkmcnt(0)
	v_cmp_lt_i16_sdwa s11, sext(v12), sext(v11) src0_sel:BYTE_0 src1_sel:BYTE_0
	v_cndmask_b32_e64 v16, v15, v14, s9
	v_cndmask_b32_e64 v15, v13, v17, s9
                                        ; implicit-def: $vgpr13
	v_cmp_ge_i32_e32 vcc_lo, v16, v1
	v_cmp_lt_i32_e64 s10, v15, v7
	s_or_b32 s11, vcc_lo, s11
	s_and_b32 s10, s10, s11
	s_xor_b32 s11, s10, -1
	s_and_saveexec_b32 s12, s11
	s_xor_b32 s11, exec_lo, s12
; %bb.67:
	v_add_nc_u32_e32 v13, v2, v16
	ds_read_u8 v13, v13 offset:1
; %bb.68:
	s_or_saveexec_b32 s11, s11
	v_mov_b32_e32 v14, v12
	s_xor_b32 exec_lo, exec_lo, s11
	s_cbranch_execz .LBB94_70
; %bb.69:
	s_waitcnt lgkmcnt(0)
	v_add_nc_u32_e32 v13, v2, v15
	ds_read_u8 v14, v13 offset:1
	v_mov_b32_e32 v13, v11
.LBB94_70:
	s_or_b32 exec_lo, exec_lo, s11
	v_add_nc_u32_e32 v17, 1, v16
	v_add_nc_u32_e32 v19, 1, v15
	s_waitcnt lgkmcnt(0)
	v_cmp_lt_i16_sdwa s12, sext(v14), sext(v13) src0_sel:BYTE_0 src1_sel:BYTE_0
	v_cndmask_b32_e64 v18, v17, v16, s10
	v_cndmask_b32_e64 v17, v15, v19, s10
                                        ; implicit-def: $vgpr15
	v_cmp_ge_i32_e32 vcc_lo, v18, v1
	v_cmp_lt_i32_e64 s11, v17, v7
	s_or_b32 s12, vcc_lo, s12
	s_and_b32 s11, s11, s12
	s_xor_b32 s12, s11, -1
	s_and_saveexec_b32 s13, s12
	s_xor_b32 s12, exec_lo, s13
; %bb.71:
	v_add_nc_u32_e32 v15, v2, v18
	ds_read_u8 v15, v15 offset:1
; %bb.72:
	s_or_saveexec_b32 s12, s12
	v_mov_b32_e32 v16, v14
	s_xor_b32 exec_lo, exec_lo, s12
	s_cbranch_execz .LBB94_74
; %bb.73:
	s_waitcnt lgkmcnt(0)
	v_add_nc_u32_e32 v15, v2, v17
	ds_read_u8 v16, v15 offset:1
	v_mov_b32_e32 v15, v13
.LBB94_74:
	s_or_b32 exec_lo, exec_lo, s12
	v_add_nc_u32_e32 v19, 1, v18
	v_add_nc_u32_e32 v21, 1, v17
	s_waitcnt lgkmcnt(0)
	v_cmp_lt_i16_sdwa s13, sext(v16), sext(v15) src0_sel:BYTE_0 src1_sel:BYTE_0
	v_cndmask_b32_e64 v20, v19, v18, s11
	v_cndmask_b32_e64 v19, v17, v21, s11
                                        ; implicit-def: $vgpr17
	v_cmp_ge_i32_e32 vcc_lo, v20, v1
	v_cmp_lt_i32_e64 s12, v19, v7
	s_or_b32 s13, vcc_lo, s13
	s_and_b32 s12, s12, s13
	s_xor_b32 s13, s12, -1
	s_and_saveexec_b32 s14, s13
	s_xor_b32 s13, exec_lo, s14
; %bb.75:
	v_add_nc_u32_e32 v17, v2, v20
	ds_read_u8 v17, v17 offset:1
; %bb.76:
	s_or_saveexec_b32 s13, s13
	v_mov_b32_e32 v18, v16
	s_xor_b32 exec_lo, exec_lo, s13
	s_cbranch_execz .LBB94_78
; %bb.77:
	s_waitcnt lgkmcnt(0)
	v_add_nc_u32_e32 v17, v2, v19
	ds_read_u8 v18, v17 offset:1
	v_mov_b32_e32 v17, v15
.LBB94_78:
	s_or_b32 exec_lo, exec_lo, s13
	v_add_nc_u32_e32 v21, 1, v20
	v_add_nc_u32_e32 v22, 1, v19
	s_waitcnt lgkmcnt(0)
	v_cmp_lt_i16_sdwa s14, sext(v18), sext(v17) src0_sel:BYTE_0 src1_sel:BYTE_0
	v_cndmask_b32_e64 v21, v21, v20, s12
	v_cndmask_b32_e64 v22, v19, v22, s12
                                        ; implicit-def: $vgpr19
	v_cmp_ge_i32_e32 vcc_lo, v21, v1
	v_cmp_lt_i32_e64 s13, v22, v7
	s_or_b32 s14, vcc_lo, s14
	s_and_b32 vcc_lo, s13, s14
	s_xor_b32 s13, vcc_lo, -1
	s_and_saveexec_b32 s14, s13
	s_xor_b32 s13, exec_lo, s14
; %bb.79:
	v_add_nc_u32_e32 v19, v2, v21
	ds_read_u8 v19, v19 offset:1
; %bb.80:
	s_or_saveexec_b32 s13, s13
	v_mov_b32_e32 v20, v18
	s_xor_b32 exec_lo, exec_lo, s13
	s_cbranch_execz .LBB94_82
; %bb.81:
	s_waitcnt lgkmcnt(0)
	v_add_nc_u32_e32 v19, v2, v22
	ds_read_u8 v20, v19 offset:1
	v_mov_b32_e32 v19, v17
.LBB94_82:
	s_or_b32 exec_lo, exec_lo, s13
	v_add_nc_u32_e32 v23, 1, v21
	v_add_nc_u32_e32 v24, 1, v22
	s_waitcnt lgkmcnt(0)
	v_cmp_lt_i16_sdwa s15, sext(v20), sext(v19) src0_sel:BYTE_0 src1_sel:BYTE_0
	v_cndmask_b32_e32 v21, v23, v21, vcc_lo
	v_cndmask_b32_e32 v22, v22, v24, vcc_lo
                                        ; implicit-def: $vgpr23
	v_cmp_ge_i32_e64 s13, v21, v1
	v_cmp_lt_i32_e64 s14, v22, v7
	s_or_b32 s13, s13, s15
	s_and_b32 s13, s14, s13
	s_xor_b32 s14, s13, -1
	s_and_saveexec_b32 s15, s14
	s_xor_b32 s14, exec_lo, s15
; %bb.83:
	v_add_nc_u32_e32 v23, v2, v21
	ds_read_u8 v23, v23 offset:1
; %bb.84:
	s_or_saveexec_b32 s14, s14
	v_mov_b32_e32 v24, v20
	s_xor_b32 exec_lo, exec_lo, s14
	s_cbranch_execz .LBB94_86
; %bb.85:
	s_waitcnt lgkmcnt(0)
	v_add_nc_u32_e32 v23, v2, v22
	ds_read_u8 v24, v23 offset:1
	v_mov_b32_e32 v23, v19
.LBB94_86:
	s_or_b32 exec_lo, exec_lo, s14
	v_and_b32_e32 v25, 0xc0, v5
	v_cndmask_b32_e64 v20, v19, v20, s13
	v_add_nc_u32_e32 v26, 1, v22
	v_cndmask_b32_e64 v9, v9, v10, s9
	v_cndmask_b32_e64 v15, v15, v16, s12
	v_min_i32_e32 v19, v6, v25
	v_add_nc_u32_e32 v25, 1, v21
	v_cndmask_b32_e64 v11, v11, v12, s10
	v_cndmask_b32_e64 v12, v22, v26, s13
	;; [unrolled: 1-line block ×3, first 2 shown]
	v_add_nc_u32_e32 v10, 32, v19
	v_cndmask_b32_e64 v16, v25, v21, s13
	s_waitcnt lgkmcnt(0)
	v_cmp_lt_i16_sdwa s10, sext(v24), sext(v23) src0_sel:BYTE_0 src1_sel:BYTE_0
	v_cmp_lt_i32_e64 s8, v12, v7
	v_cndmask_b32_sdwa v17, v17, v18, vcc_lo dst_sel:BYTE_1 dst_unused:UNUSED_PAD src0_sel:DWORD src1_sel:DWORD
	v_min_i32_e32 v3, v6, v10
	v_cmp_ge_i32_e64 s9, v16, v1
	s_mov_b32 vcc_lo, s11
	v_and_b32_e32 v10, 56, v5
	v_cndmask_b32_sdwa v12, v13, v14, vcc_lo dst_sel:BYTE_1 dst_unused:UNUSED_PAD src0_sel:DWORD src1_sel:DWORD
	v_add_nc_u32_e32 v1, 32, v3
	s_or_b32 s9, s9, s10
	v_lshlrev_b16 v9, 8, v9
	s_and_b32 vcc_lo, s8, s9
	v_min_i32_e32 v7, v6, v10
	v_min_i32_e32 v1, v6, v1
	v_cndmask_b32_e32 v13, v23, v24, vcc_lo
	v_or_b32_sdwa v10, v11, v12 dst_sel:WORD_1 dst_unused:UNUSED_PAD src0_sel:BYTE_0 src1_sel:DWORD
	v_or_b32_sdwa v8, v8, v9 dst_sel:DWORD dst_unused:UNUSED_PAD src0_sel:BYTE_0 src1_sel:DWORD
	v_or_b32_sdwa v12, v15, v17 dst_sel:DWORD dst_unused:UNUSED_PAD src0_sel:BYTE_0 src1_sel:DWORD
	v_sub_nc_u32_e32 v14, v1, v3
	v_lshlrev_b16 v11, 8, v13
	v_sub_nc_u32_e32 v13, v3, v19
	v_or_b32_sdwa v10, v8, v10 dst_sel:DWORD dst_unused:UNUSED_PAD src0_sel:WORD_0 src1_sel:DWORD
	s_mov_b32 s9, 0
	v_sub_nc_u32_e32 v9, v7, v14
	v_or_b32_sdwa v11, v20, v11 dst_sel:WORD_1 dst_unused:UNUSED_PAD src0_sel:BYTE_0 src1_sel:DWORD
	v_cmp_ge_i32_e32 vcc_lo, v7, v14
	s_mov_b32 s8, exec_lo
	; wave barrier
	v_or_b32_sdwa v11, v12, v11 dst_sel:DWORD dst_unused:UNUSED_PAD src0_sel:WORD_0 src1_sel:DWORD
	v_cndmask_b32_e32 v8, 0, v9, vcc_lo
	v_min_i32_e32 v9, v7, v13
	ds_write_b64 v0, v[10:11]
	; wave barrier
	v_cmpx_lt_i32_e64 v8, v9
	s_cbranch_execz .LBB94_90
; %bb.87:
	v_add_nc_u32_e32 v10, v2, v19
	v_add3_u32 v11, v2, v3, v7
	.p2align	6
.LBB94_88:                              ; =>This Inner Loop Header: Depth=1
	v_sub_nc_u32_e32 v12, v9, v8
	v_lshrrev_b32_e32 v12, 1, v12
	v_add_nc_u32_e32 v12, v12, v8
	v_add_nc_u32_e32 v13, v10, v12
	v_xad_u32 v14, v12, -1, v11
	v_add_nc_u32_e32 v15, 1, v12
	ds_read_i8 v13, v13
	ds_read_i8 v14, v14
	s_waitcnt lgkmcnt(0)
	v_cmp_lt_i16_e32 vcc_lo, v14, v13
	v_cndmask_b32_e32 v9, v9, v12, vcc_lo
	v_cndmask_b32_e32 v8, v15, v8, vcc_lo
	v_cmp_ge_i32_e32 vcc_lo, v8, v9
	s_or_b32 s9, vcc_lo, s9
	s_andn2_b32 exec_lo, exec_lo, s9
	s_cbranch_execnz .LBB94_88
; %bb.89:
	s_or_b32 exec_lo, exec_lo, s9
.LBB94_90:
	s_or_b32 exec_lo, exec_lo, s8
	v_add_nc_u32_e32 v7, v3, v7
	v_add_nc_u32_e32 v11, v8, v19
                                        ; implicit-def: $vgpr9
	v_sub_nc_u32_e32 v12, v7, v8
	v_add_nc_u32_e32 v10, v2, v11
	v_cmp_le_i32_e32 vcc_lo, v3, v11
	v_add_nc_u32_e32 v13, v2, v12
	v_cmp_gt_i32_e64 s9, v1, v12
	ds_read_u8 v7, v10
	ds_read_u8 v8, v13
	s_waitcnt lgkmcnt(1)
	v_bfe_i32 v7, v7, 0, 8
	s_waitcnt lgkmcnt(0)
	v_bfe_i32 v8, v8, 0, 8
	v_cmp_lt_i16_e64 s8, v8, v7
	s_or_b32 s8, vcc_lo, s8
	s_and_b32 s8, s9, s8
	s_xor_b32 s9, s8, -1
	s_and_saveexec_b32 s10, s9
	s_xor_b32 s9, exec_lo, s10
; %bb.91:
	ds_read_u8 v9, v10 offset:1
                                        ; implicit-def: $vgpr13
; %bb.92:
	s_or_saveexec_b32 s9, s9
	v_mov_b32_e32 v10, v8
	s_xor_b32 exec_lo, exec_lo, s9
	s_cbranch_execz .LBB94_94
; %bb.93:
	ds_read_u8 v10, v13 offset:1
	s_waitcnt lgkmcnt(1)
	v_mov_b32_e32 v9, v7
.LBB94_94:
	s_or_b32 exec_lo, exec_lo, s9
	v_add_nc_u32_e32 v13, 1, v11
	v_add_nc_u32_e32 v15, 1, v12
	s_waitcnt lgkmcnt(0)
	v_cmp_lt_i16_sdwa s10, sext(v10), sext(v9) src0_sel:BYTE_0 src1_sel:BYTE_0
	v_cndmask_b32_e64 v14, v13, v11, s8
	v_cndmask_b32_e64 v13, v12, v15, s8
                                        ; implicit-def: $vgpr11
	v_cmp_ge_i32_e32 vcc_lo, v14, v3
	v_cmp_lt_i32_e64 s9, v13, v1
	s_or_b32 s10, vcc_lo, s10
	s_and_b32 s9, s9, s10
	s_xor_b32 s10, s9, -1
	s_and_saveexec_b32 s11, s10
	s_xor_b32 s10, exec_lo, s11
; %bb.95:
	v_add_nc_u32_e32 v11, v2, v14
	ds_read_u8 v11, v11 offset:1
; %bb.96:
	s_or_saveexec_b32 s10, s10
	v_mov_b32_e32 v12, v10
	s_xor_b32 exec_lo, exec_lo, s10
	s_cbranch_execz .LBB94_98
; %bb.97:
	s_waitcnt lgkmcnt(0)
	v_add_nc_u32_e32 v11, v2, v13
	ds_read_u8 v12, v11 offset:1
	v_mov_b32_e32 v11, v9
.LBB94_98:
	s_or_b32 exec_lo, exec_lo, s10
	v_add_nc_u32_e32 v15, 1, v14
	v_add_nc_u32_e32 v17, 1, v13
	s_waitcnt lgkmcnt(0)
	v_cmp_lt_i16_sdwa s11, sext(v12), sext(v11) src0_sel:BYTE_0 src1_sel:BYTE_0
	v_cndmask_b32_e64 v16, v15, v14, s9
	v_cndmask_b32_e64 v15, v13, v17, s9
                                        ; implicit-def: $vgpr13
	v_cmp_ge_i32_e32 vcc_lo, v16, v3
	v_cmp_lt_i32_e64 s10, v15, v1
	s_or_b32 s11, vcc_lo, s11
	s_and_b32 s10, s10, s11
	s_xor_b32 s11, s10, -1
	s_and_saveexec_b32 s12, s11
	s_xor_b32 s11, exec_lo, s12
; %bb.99:
	v_add_nc_u32_e32 v13, v2, v16
	ds_read_u8 v13, v13 offset:1
; %bb.100:
	s_or_saveexec_b32 s11, s11
	v_mov_b32_e32 v14, v12
	s_xor_b32 exec_lo, exec_lo, s11
	s_cbranch_execz .LBB94_102
; %bb.101:
	s_waitcnt lgkmcnt(0)
	v_add_nc_u32_e32 v13, v2, v15
	ds_read_u8 v14, v13 offset:1
	v_mov_b32_e32 v13, v11
.LBB94_102:
	s_or_b32 exec_lo, exec_lo, s11
	v_add_nc_u32_e32 v17, 1, v16
	v_add_nc_u32_e32 v19, 1, v15
	s_waitcnt lgkmcnt(0)
	v_cmp_lt_i16_sdwa s12, sext(v14), sext(v13) src0_sel:BYTE_0 src1_sel:BYTE_0
	v_cndmask_b32_e64 v18, v17, v16, s10
	v_cndmask_b32_e64 v17, v15, v19, s10
                                        ; implicit-def: $vgpr15
	v_cmp_ge_i32_e32 vcc_lo, v18, v3
	v_cmp_lt_i32_e64 s11, v17, v1
	s_or_b32 s12, vcc_lo, s12
	s_and_b32 s11, s11, s12
	s_xor_b32 s12, s11, -1
	s_and_saveexec_b32 s13, s12
	s_xor_b32 s12, exec_lo, s13
; %bb.103:
	v_add_nc_u32_e32 v15, v2, v18
	ds_read_u8 v15, v15 offset:1
; %bb.104:
	s_or_saveexec_b32 s12, s12
	v_mov_b32_e32 v16, v14
	s_xor_b32 exec_lo, exec_lo, s12
	s_cbranch_execz .LBB94_106
; %bb.105:
	s_waitcnt lgkmcnt(0)
	v_add_nc_u32_e32 v15, v2, v17
	ds_read_u8 v16, v15 offset:1
	v_mov_b32_e32 v15, v13
.LBB94_106:
	s_or_b32 exec_lo, exec_lo, s12
	v_add_nc_u32_e32 v19, 1, v18
	v_add_nc_u32_e32 v21, 1, v17
	s_waitcnt lgkmcnt(0)
	v_cmp_lt_i16_sdwa s13, sext(v16), sext(v15) src0_sel:BYTE_0 src1_sel:BYTE_0
	v_cndmask_b32_e64 v20, v19, v18, s11
	v_cndmask_b32_e64 v19, v17, v21, s11
                                        ; implicit-def: $vgpr17
	v_cmp_ge_i32_e32 vcc_lo, v20, v3
	v_cmp_lt_i32_e64 s12, v19, v1
	s_or_b32 s13, vcc_lo, s13
	s_and_b32 s12, s12, s13
	s_xor_b32 s13, s12, -1
	s_and_saveexec_b32 s14, s13
	s_xor_b32 s13, exec_lo, s14
; %bb.107:
	v_add_nc_u32_e32 v17, v2, v20
	ds_read_u8 v17, v17 offset:1
; %bb.108:
	s_or_saveexec_b32 s13, s13
	v_mov_b32_e32 v18, v16
	s_xor_b32 exec_lo, exec_lo, s13
	s_cbranch_execz .LBB94_110
; %bb.109:
	s_waitcnt lgkmcnt(0)
	v_add_nc_u32_e32 v17, v2, v19
	ds_read_u8 v18, v17 offset:1
	v_mov_b32_e32 v17, v15
.LBB94_110:
	s_or_b32 exec_lo, exec_lo, s13
	v_add_nc_u32_e32 v21, 1, v20
	v_add_nc_u32_e32 v22, 1, v19
	s_waitcnt lgkmcnt(0)
	v_cmp_lt_i16_sdwa s14, sext(v18), sext(v17) src0_sel:BYTE_0 src1_sel:BYTE_0
	v_cndmask_b32_e64 v21, v21, v20, s12
	v_cndmask_b32_e64 v22, v19, v22, s12
                                        ; implicit-def: $vgpr19
	v_cmp_ge_i32_e32 vcc_lo, v21, v3
	v_cmp_lt_i32_e64 s13, v22, v1
	s_or_b32 s14, vcc_lo, s14
	s_and_b32 vcc_lo, s13, s14
	s_xor_b32 s13, vcc_lo, -1
	s_and_saveexec_b32 s14, s13
	s_xor_b32 s13, exec_lo, s14
; %bb.111:
	v_add_nc_u32_e32 v19, v2, v21
	ds_read_u8 v19, v19 offset:1
; %bb.112:
	s_or_saveexec_b32 s13, s13
	v_mov_b32_e32 v20, v18
	s_xor_b32 exec_lo, exec_lo, s13
	s_cbranch_execz .LBB94_114
; %bb.113:
	s_waitcnt lgkmcnt(0)
	v_add_nc_u32_e32 v19, v2, v22
	ds_read_u8 v20, v19 offset:1
	v_mov_b32_e32 v19, v17
.LBB94_114:
	s_or_b32 exec_lo, exec_lo, s13
	v_add_nc_u32_e32 v23, 1, v21
	v_add_nc_u32_e32 v24, 1, v22
	s_waitcnt lgkmcnt(0)
	v_cmp_lt_i16_sdwa s15, sext(v20), sext(v19) src0_sel:BYTE_0 src1_sel:BYTE_0
	v_cndmask_b32_e32 v21, v23, v21, vcc_lo
	v_cndmask_b32_e32 v22, v22, v24, vcc_lo
                                        ; implicit-def: $vgpr23
	v_cmp_ge_i32_e64 s13, v21, v3
	v_cmp_lt_i32_e64 s14, v22, v1
	s_or_b32 s13, s13, s15
	s_and_b32 s13, s14, s13
	s_xor_b32 s14, s13, -1
	s_and_saveexec_b32 s15, s14
	s_xor_b32 s14, exec_lo, s15
; %bb.115:
	v_add_nc_u32_e32 v23, v2, v21
	ds_read_u8 v23, v23 offset:1
; %bb.116:
	s_or_saveexec_b32 s14, s14
	v_mov_b32_e32 v24, v20
	s_xor_b32 exec_lo, exec_lo, s14
	s_cbranch_execz .LBB94_118
; %bb.117:
	s_waitcnt lgkmcnt(0)
	v_add_nc_u32_e32 v23, v2, v22
	ds_read_u8 v24, v23 offset:1
	v_mov_b32_e32 v23, v19
.LBB94_118:
	s_or_b32 exec_lo, exec_lo, s14
	v_and_b32_e32 v25, 0x80, v5
	v_cndmask_b32_e64 v20, v19, v20, s13
	v_add_nc_u32_e32 v26, 1, v22
	v_cndmask_b32_e64 v9, v9, v10, s9
	v_cndmask_b32_e64 v15, v15, v16, s12
	v_min_i32_e32 v19, v6, v25
	v_add_nc_u32_e32 v25, 1, v21
	v_cndmask_b32_e64 v11, v11, v12, s10
	v_cndmask_b32_e64 v12, v22, v26, s13
	;; [unrolled: 1-line block ×3, first 2 shown]
	v_add_nc_u32_e32 v10, 64, v19
	v_cndmask_b32_e64 v16, v25, v21, s13
	s_waitcnt lgkmcnt(0)
	v_cmp_lt_i16_sdwa s10, sext(v24), sext(v23) src0_sel:BYTE_0 src1_sel:BYTE_0
	v_cmp_lt_i32_e64 s8, v12, v1
	v_cndmask_b32_sdwa v17, v17, v18, vcc_lo dst_sel:BYTE_1 dst_unused:UNUSED_PAD src0_sel:DWORD src1_sel:DWORD
	v_min_i32_e32 v7, v6, v10
	v_cmp_ge_i32_e64 s9, v16, v3
	s_mov_b32 vcc_lo, s11
	v_and_b32_e32 v10, 0x78, v5
	v_cndmask_b32_sdwa v12, v13, v14, vcc_lo dst_sel:BYTE_1 dst_unused:UNUSED_PAD src0_sel:DWORD src1_sel:DWORD
	v_add_nc_u32_e32 v1, 64, v7
	s_or_b32 s9, s9, s10
	v_lshlrev_b16 v9, 8, v9
	s_and_b32 vcc_lo, s8, s9
	s_mov_b32 s9, 0
	v_min_i32_e32 v3, v6, v1
	v_cndmask_b32_e32 v13, v23, v24, vcc_lo
	v_min_i32_e32 v1, v6, v10
	v_or_b32_sdwa v10, v11, v12 dst_sel:WORD_1 dst_unused:UNUSED_PAD src0_sel:BYTE_0 src1_sel:DWORD
	v_or_b32_sdwa v8, v8, v9 dst_sel:DWORD dst_unused:UNUSED_PAD src0_sel:BYTE_0 src1_sel:DWORD
	v_sub_nc_u32_e32 v14, v3, v7
	v_lshlrev_b16 v11, 8, v13
	v_or_b32_sdwa v12, v15, v17 dst_sel:DWORD dst_unused:UNUSED_PAD src0_sel:BYTE_0 src1_sel:DWORD
	v_sub_nc_u32_e32 v13, v7, v19
	v_or_b32_sdwa v10, v8, v10 dst_sel:DWORD dst_unused:UNUSED_PAD src0_sel:WORD_0 src1_sel:DWORD
	v_sub_nc_u32_e32 v9, v1, v14
	v_or_b32_sdwa v11, v20, v11 dst_sel:WORD_1 dst_unused:UNUSED_PAD src0_sel:BYTE_0 src1_sel:DWORD
	v_cmp_ge_i32_e32 vcc_lo, v1, v14
	s_mov_b32 s8, exec_lo
	; wave barrier
	v_or_b32_sdwa v11, v12, v11 dst_sel:DWORD dst_unused:UNUSED_PAD src0_sel:WORD_0 src1_sel:DWORD
	v_cndmask_b32_e32 v8, 0, v9, vcc_lo
	v_min_i32_e32 v9, v1, v13
	ds_write_b64 v0, v[10:11]
	; wave barrier
	v_cmpx_lt_i32_e64 v8, v9
	s_cbranch_execz .LBB94_122
; %bb.119:
	v_add_nc_u32_e32 v10, v2, v19
	v_add3_u32 v11, v2, v7, v1
	.p2align	6
.LBB94_120:                             ; =>This Inner Loop Header: Depth=1
	v_sub_nc_u32_e32 v12, v9, v8
	v_lshrrev_b32_e32 v12, 1, v12
	v_add_nc_u32_e32 v12, v12, v8
	v_add_nc_u32_e32 v13, v10, v12
	v_xad_u32 v14, v12, -1, v11
	v_add_nc_u32_e32 v15, 1, v12
	ds_read_i8 v13, v13
	ds_read_i8 v14, v14
	s_waitcnt lgkmcnt(0)
	v_cmp_lt_i16_e32 vcc_lo, v14, v13
	v_cndmask_b32_e32 v9, v9, v12, vcc_lo
	v_cndmask_b32_e32 v8, v15, v8, vcc_lo
	v_cmp_ge_i32_e32 vcc_lo, v8, v9
	s_or_b32 s9, vcc_lo, s9
	s_andn2_b32 exec_lo, exec_lo, s9
	s_cbranch_execnz .LBB94_120
; %bb.121:
	s_or_b32 exec_lo, exec_lo, s9
.LBB94_122:
	s_or_b32 exec_lo, exec_lo, s8
	v_add_nc_u32_e32 v9, v7, v1
	v_add_nc_u32_e32 v1, v8, v19
                                        ; implicit-def: $vgpr11
	v_sub_nc_u32_e32 v8, v9, v8
	v_add_nc_u32_e32 v12, v2, v1
	v_cmp_le_i32_e32 vcc_lo, v7, v1
	v_add_nc_u32_e32 v13, v2, v8
	v_cmp_gt_i32_e64 s9, v3, v8
	ds_read_u8 v9, v12
	ds_read_u8 v10, v13
	s_waitcnt lgkmcnt(1)
	v_bfe_i32 v9, v9, 0, 8
	s_waitcnt lgkmcnt(0)
	v_bfe_i32 v10, v10, 0, 8
	v_cmp_lt_i16_e64 s8, v10, v9
	s_or_b32 s8, vcc_lo, s8
	s_and_b32 s8, s9, s8
	s_xor_b32 s9, s8, -1
	s_and_saveexec_b32 s10, s9
	s_xor_b32 s9, exec_lo, s10
; %bb.123:
	ds_read_u8 v11, v12 offset:1
                                        ; implicit-def: $vgpr13
; %bb.124:
	s_or_saveexec_b32 s9, s9
	v_mov_b32_e32 v12, v10
	s_xor_b32 exec_lo, exec_lo, s9
	s_cbranch_execz .LBB94_126
; %bb.125:
	ds_read_u8 v12, v13 offset:1
	s_waitcnt lgkmcnt(1)
	v_mov_b32_e32 v11, v9
.LBB94_126:
	s_or_b32 exec_lo, exec_lo, s9
	v_add_nc_u32_e32 v13, 1, v1
	v_add_nc_u32_e32 v14, 1, v8
	s_waitcnt lgkmcnt(0)
	v_cmp_lt_i16_sdwa s10, sext(v12), sext(v11) src0_sel:BYTE_0 src1_sel:BYTE_0
	v_cndmask_b32_e64 v15, v13, v1, s8
	v_cndmask_b32_e64 v1, v8, v14, s8
                                        ; implicit-def: $vgpr13
	v_cmp_ge_i32_e32 vcc_lo, v15, v7
	v_cmp_lt_i32_e64 s9, v1, v3
	s_or_b32 s10, vcc_lo, s10
	s_and_b32 s9, s9, s10
	s_xor_b32 s10, s9, -1
	s_and_saveexec_b32 s11, s10
	s_xor_b32 s10, exec_lo, s11
; %bb.127:
	v_add_nc_u32_e32 v8, v2, v15
	ds_read_u8 v13, v8 offset:1
; %bb.128:
	s_or_saveexec_b32 s10, s10
	v_mov_b32_e32 v14, v12
	s_xor_b32 exec_lo, exec_lo, s10
	s_cbranch_execz .LBB94_130
; %bb.129:
	v_add_nc_u32_e32 v8, v2, v1
	s_waitcnt lgkmcnt(0)
	v_mov_b32_e32 v13, v11
	ds_read_u8 v14, v8 offset:1
.LBB94_130:
	s_or_b32 exec_lo, exec_lo, s10
	v_add_nc_u32_e32 v8, 1, v15
	v_add_nc_u32_e32 v17, 1, v1
	s_waitcnt lgkmcnt(0)
	v_cmp_lt_i16_sdwa s11, sext(v14), sext(v13) src0_sel:BYTE_0 src1_sel:BYTE_0
	v_cndmask_b32_e64 v16, v8, v15, s9
	v_cndmask_b32_e64 v1, v1, v17, s9
                                        ; implicit-def: $vgpr8
	v_cmp_ge_i32_e32 vcc_lo, v16, v7
	v_cmp_lt_i32_e64 s10, v1, v3
	s_or_b32 s11, vcc_lo, s11
	s_and_b32 s10, s10, s11
	s_xor_b32 s11, s10, -1
	s_and_saveexec_b32 s12, s11
	s_xor_b32 s11, exec_lo, s12
; %bb.131:
	v_add_nc_u32_e32 v8, v2, v16
	ds_read_u8 v8, v8 offset:1
; %bb.132:
	s_or_saveexec_b32 s11, s11
	v_mov_b32_e32 v15, v14
	s_xor_b32 exec_lo, exec_lo, s11
	s_cbranch_execz .LBB94_134
; %bb.133:
	s_waitcnt lgkmcnt(0)
	v_add_nc_u32_e32 v8, v2, v1
	ds_read_u8 v15, v8 offset:1
	v_mov_b32_e32 v8, v13
.LBB94_134:
	s_or_b32 exec_lo, exec_lo, s11
	v_add_nc_u32_e32 v17, 1, v16
	v_add_nc_u32_e32 v19, 1, v1
	s_waitcnt lgkmcnt(0)
	v_cmp_lt_i16_sdwa s12, sext(v15), sext(v8) src0_sel:BYTE_0 src1_sel:BYTE_0
	v_cndmask_b32_e64 v18, v17, v16, s10
	v_cndmask_b32_e64 v1, v1, v19, s10
                                        ; implicit-def: $vgpr16
	v_cmp_ge_i32_e32 vcc_lo, v18, v7
	v_cmp_lt_i32_e64 s11, v1, v3
	s_or_b32 s12, vcc_lo, s12
	s_and_b32 s11, s11, s12
	s_xor_b32 s12, s11, -1
	s_and_saveexec_b32 s13, s12
	s_xor_b32 s12, exec_lo, s13
; %bb.135:
	v_add_nc_u32_e32 v16, v2, v18
	ds_read_u8 v16, v16 offset:1
; %bb.136:
	s_or_saveexec_b32 s12, s12
	v_mov_b32_e32 v17, v15
	s_xor_b32 exec_lo, exec_lo, s12
	s_cbranch_execz .LBB94_138
; %bb.137:
	s_waitcnt lgkmcnt(0)
	v_add_nc_u32_e32 v16, v2, v1
	ds_read_u8 v17, v16 offset:1
	v_mov_b32_e32 v16, v8
.LBB94_138:
	s_or_b32 exec_lo, exec_lo, s12
	v_add_nc_u32_e32 v19, 1, v18
	v_add_nc_u32_e32 v21, 1, v1
	s_waitcnt lgkmcnt(0)
	v_cmp_lt_i16_sdwa s13, sext(v17), sext(v16) src0_sel:BYTE_0 src1_sel:BYTE_0
	v_cndmask_b32_e64 v20, v19, v18, s11
	v_cndmask_b32_e64 v1, v1, v21, s11
                                        ; implicit-def: $vgpr18
	v_cmp_ge_i32_e32 vcc_lo, v20, v7
	v_cmp_lt_i32_e64 s12, v1, v3
	s_or_b32 s13, vcc_lo, s13
	s_and_b32 s12, s12, s13
	s_xor_b32 s13, s12, -1
	s_and_saveexec_b32 s14, s13
	s_xor_b32 s13, exec_lo, s14
; %bb.139:
	v_add_nc_u32_e32 v18, v2, v20
	ds_read_u8 v18, v18 offset:1
; %bb.140:
	s_or_saveexec_b32 s13, s13
	v_mov_b32_e32 v19, v17
	s_xor_b32 exec_lo, exec_lo, s13
	s_cbranch_execz .LBB94_142
; %bb.141:
	s_waitcnt lgkmcnt(0)
	v_add_nc_u32_e32 v18, v2, v1
	ds_read_u8 v19, v18 offset:1
	v_mov_b32_e32 v18, v16
.LBB94_142:
	s_or_b32 exec_lo, exec_lo, s13
	v_add_nc_u32_e32 v21, 1, v20
	v_add_nc_u32_e32 v23, 1, v1
	s_waitcnt lgkmcnt(0)
	v_cmp_lt_i16_sdwa s14, sext(v19), sext(v18) src0_sel:BYTE_0 src1_sel:BYTE_0
	v_cndmask_b32_e64 v22, v21, v20, s12
	v_cndmask_b32_e64 v1, v1, v23, s12
                                        ; implicit-def: $vgpr20
	v_cmp_ge_i32_e32 vcc_lo, v22, v7
	v_cmp_lt_i32_e64 s13, v1, v3
	s_or_b32 s14, vcc_lo, s14
	s_and_b32 vcc_lo, s13, s14
	s_xor_b32 s13, vcc_lo, -1
	s_and_saveexec_b32 s14, s13
	s_xor_b32 s13, exec_lo, s14
; %bb.143:
	v_add_nc_u32_e32 v20, v2, v22
	ds_read_u8 v20, v20 offset:1
; %bb.144:
	s_or_saveexec_b32 s13, s13
	v_mov_b32_e32 v21, v19
	s_xor_b32 exec_lo, exec_lo, s13
	s_cbranch_execz .LBB94_146
; %bb.145:
	s_waitcnt lgkmcnt(0)
	v_add_nc_u32_e32 v20, v2, v1
	ds_read_u8 v21, v20 offset:1
	v_mov_b32_e32 v20, v18
.LBB94_146:
	s_or_b32 exec_lo, exec_lo, s13
	v_add_nc_u32_e32 v23, 1, v22
	v_add_nc_u32_e32 v24, 1, v1
	s_waitcnt lgkmcnt(0)
	v_cmp_lt_i16_sdwa s15, sext(v21), sext(v20) src0_sel:BYTE_0 src1_sel:BYTE_0
	v_cndmask_b32_e32 v23, v23, v22, vcc_lo
	v_cndmask_b32_e32 v24, v1, v24, vcc_lo
                                        ; implicit-def: $vgpr22
	v_cmp_ge_i32_e64 s13, v23, v7
	v_cmp_lt_i32_e64 s14, v24, v3
	s_or_b32 s13, s13, s15
	s_and_b32 s13, s14, s13
	s_xor_b32 s14, s13, -1
	s_and_saveexec_b32 s15, s14
	s_xor_b32 s14, exec_lo, s15
; %bb.147:
	v_add_nc_u32_e32 v1, v2, v23
	ds_read_u8 v22, v1 offset:1
; %bb.148:
	s_or_saveexec_b32 s14, s14
	v_mov_b32_e32 v25, v21
	s_xor_b32 exec_lo, exec_lo, s14
	s_cbranch_execz .LBB94_150
; %bb.149:
	v_add_nc_u32_e32 v1, v2, v24
	s_waitcnt lgkmcnt(0)
	v_mov_b32_e32 v22, v20
	ds_read_u8 v25, v1 offset:1
.LBB94_150:
	s_or_b32 exec_lo, exec_lo, s14
	v_min_i32_e32 v1, 0, v6
	v_add_nc_u32_e32 v27, 1, v23
	v_add_nc_u32_e32 v26, 1, v24
	v_cndmask_b32_sdwa v18, v18, v19, vcc_lo dst_sel:BYTE_1 dst_unused:UNUSED_PAD src0_sel:DWORD src1_sel:DWORD
	v_cndmask_b32_e64 v20, v20, v21, s13
	v_add_nc_u32_e32 v19, 0x80, v1
	v_cndmask_b32_e64 v23, v27, v23, s13
	v_cndmask_b32_e64 v21, v24, v26, s13
	s_mov_b32 vcc_lo, s11
	s_waitcnt lgkmcnt(0)
	v_cmp_lt_i16_sdwa s11, sext(v25), sext(v22) src0_sel:BYTE_0 src1_sel:BYTE_0
	v_cndmask_b32_sdwa v15, v8, v15, vcc_lo dst_sel:BYTE_1 dst_unused:UNUSED_PAD src0_sel:DWORD src1_sel:DWORD
	v_min_i32_e32 v8, v6, v19
	v_cmp_ge_i32_e32 vcc_lo, v23, v7
	v_cndmask_b32_e64 v10, v9, v10, s8
	v_cmp_lt_i32_e64 s8, v21, v3
	v_cndmask_b32_e64 v7, v11, v12, s9
	v_add_nc_u32_e32 v9, 0x80, v8
	s_or_b32 s9, vcc_lo, s11
	v_and_b32_e32 v3, 0xf8, v5
	s_and_b32 vcc_lo, s8, s9
	v_lshlrev_b16 v7, 8, v7
	v_min_i32_e32 v9, v6, v9
	v_cndmask_b32_e32 v11, v22, v25, vcc_lo
	v_cndmask_b32_e64 v16, v16, v17, s12
	v_cndmask_b32_e64 v12, v13, v14, s10
	v_min_i32_e32 v3, v6, v3
	v_sub_nc_u32_e32 v13, v9, v8
	v_or_b32_sdwa v7, v10, v7 dst_sel:DWORD dst_unused:UNUSED_PAD src0_sel:BYTE_0 src1_sel:DWORD
	v_lshlrev_b16 v10, 8, v11
	v_or_b32_sdwa v11, v12, v15 dst_sel:WORD_1 dst_unused:UNUSED_PAD src0_sel:BYTE_0 src1_sel:DWORD
	v_or_b32_sdwa v12, v16, v18 dst_sel:DWORD dst_unused:UNUSED_PAD src0_sel:BYTE_0 src1_sel:DWORD
	v_sub_nc_u32_e32 v14, v3, v13
	v_sub_nc_u32_e32 v15, v8, v1
	v_or_b32_sdwa v16, v20, v10 dst_sel:WORD_1 dst_unused:UNUSED_PAD src0_sel:BYTE_0 src1_sel:DWORD
	v_cmp_ge_i32_e32 vcc_lo, v3, v13
	v_or_b32_sdwa v11, v7, v11 dst_sel:DWORD dst_unused:UNUSED_PAD src0_sel:WORD_0 src1_sel:DWORD
	s_mov_b32 s9, 0
	v_min_i32_e32 v10, v3, v15
	v_or_b32_sdwa v12, v12, v16 dst_sel:DWORD dst_unused:UNUSED_PAD src0_sel:WORD_0 src1_sel:DWORD
	v_cndmask_b32_e32 v7, 0, v14, vcc_lo
	s_mov_b32 s8, exec_lo
	; wave barrier
	ds_write_b64 v0, v[11:12]
	; wave barrier
	v_cmpx_lt_i32_e64 v7, v10
	s_cbranch_execz .LBB94_154
; %bb.151:
	v_add_nc_u32_e32 v11, v2, v1
	v_add3_u32 v12, v2, v8, v3
	.p2align	6
.LBB94_152:                             ; =>This Inner Loop Header: Depth=1
	v_sub_nc_u32_e32 v13, v10, v7
	v_lshrrev_b32_e32 v13, 1, v13
	v_add_nc_u32_e32 v13, v13, v7
	v_add_nc_u32_e32 v14, v11, v13
	v_xad_u32 v15, v13, -1, v12
	v_add_nc_u32_e32 v16, 1, v13
	ds_read_i8 v14, v14
	ds_read_i8 v15, v15
	s_waitcnt lgkmcnt(0)
	v_cmp_lt_i16_e32 vcc_lo, v15, v14
	v_cndmask_b32_e32 v10, v10, v13, vcc_lo
	v_cndmask_b32_e32 v7, v16, v7, vcc_lo
	v_cmp_ge_i32_e32 vcc_lo, v7, v10
	s_or_b32 s9, vcc_lo, s9
	s_andn2_b32 exec_lo, exec_lo, s9
	s_cbranch_execnz .LBB94_152
; %bb.153:
	s_or_b32 exec_lo, exec_lo, s9
.LBB94_154:
	s_or_b32 exec_lo, exec_lo, s8
	v_add_nc_u32_e32 v10, v8, v3
	v_add_nc_u32_e32 v14, v7, v1
                                        ; implicit-def: $vgpr12
	v_sub_nc_u32_e32 v7, v10, v7
	v_add_nc_u32_e32 v13, v2, v14
	v_cmp_le_i32_e32 vcc_lo, v8, v14
	v_add_nc_u32_e32 v15, v2, v7
	v_cmp_gt_i32_e64 s9, v9, v7
	ds_read_u8 v10, v13
	ds_read_u8 v11, v15
	s_waitcnt lgkmcnt(1)
	v_bfe_i32 v10, v10, 0, 8
	s_waitcnt lgkmcnt(0)
	v_bfe_i32 v11, v11, 0, 8
	v_cmp_lt_i16_e64 s8, v11, v10
	s_or_b32 s8, vcc_lo, s8
	s_and_b32 s8, s9, s8
	s_xor_b32 s9, s8, -1
	s_and_saveexec_b32 s10, s9
	s_xor_b32 s9, exec_lo, s10
; %bb.155:
	ds_read_u8 v12, v13 offset:1
                                        ; implicit-def: $vgpr15
; %bb.156:
	s_or_saveexec_b32 s9, s9
	v_mov_b32_e32 v13, v11
	s_xor_b32 exec_lo, exec_lo, s9
	s_cbranch_execz .LBB94_158
; %bb.157:
	ds_read_u8 v13, v15 offset:1
	s_waitcnt lgkmcnt(1)
	v_mov_b32_e32 v12, v10
.LBB94_158:
	s_or_b32 exec_lo, exec_lo, s9
	v_add_nc_u32_e32 v15, 1, v14
	v_add_nc_u32_e32 v17, 1, v7
	s_waitcnt lgkmcnt(0)
	v_cmp_lt_i16_sdwa s10, sext(v13), sext(v12) src0_sel:BYTE_0 src1_sel:BYTE_0
	v_cndmask_b32_e64 v16, v15, v14, s8
	v_cndmask_b32_e64 v7, v7, v17, s8
                                        ; implicit-def: $vgpr14
	v_cmp_ge_i32_e32 vcc_lo, v16, v8
	v_cmp_lt_i32_e64 s9, v7, v9
	s_or_b32 s10, vcc_lo, s10
	s_and_b32 s9, s9, s10
	s_xor_b32 s10, s9, -1
	s_and_saveexec_b32 s11, s10
	s_xor_b32 s10, exec_lo, s11
; %bb.159:
	v_add_nc_u32_e32 v14, v2, v16
	ds_read_u8 v14, v14 offset:1
; %bb.160:
	s_or_saveexec_b32 s10, s10
	v_mov_b32_e32 v15, v13
	s_xor_b32 exec_lo, exec_lo, s10
	s_cbranch_execz .LBB94_162
; %bb.161:
	s_waitcnt lgkmcnt(0)
	v_add_nc_u32_e32 v14, v2, v7
	ds_read_u8 v15, v14 offset:1
	v_mov_b32_e32 v14, v12
.LBB94_162:
	s_or_b32 exec_lo, exec_lo, s10
	v_add_nc_u32_e32 v17, 1, v16
	v_add_nc_u32_e32 v19, 1, v7
	s_waitcnt lgkmcnt(0)
	v_cmp_lt_i16_sdwa s11, sext(v15), sext(v14) src0_sel:BYTE_0 src1_sel:BYTE_0
	v_cndmask_b32_e64 v18, v17, v16, s9
	v_cndmask_b32_e64 v7, v7, v19, s9
                                        ; implicit-def: $vgpr16
	v_cmp_ge_i32_e32 vcc_lo, v18, v8
	v_cmp_lt_i32_e64 s10, v7, v9
	s_or_b32 s11, vcc_lo, s11
	s_and_b32 s10, s10, s11
	s_xor_b32 s11, s10, -1
	s_and_saveexec_b32 s12, s11
	s_xor_b32 s11, exec_lo, s12
; %bb.163:
	v_add_nc_u32_e32 v16, v2, v18
	ds_read_u8 v16, v16 offset:1
; %bb.164:
	s_or_saveexec_b32 s11, s11
	v_mov_b32_e32 v17, v15
	s_xor_b32 exec_lo, exec_lo, s11
	s_cbranch_execz .LBB94_166
; %bb.165:
	s_waitcnt lgkmcnt(0)
	v_add_nc_u32_e32 v16, v2, v7
	ds_read_u8 v17, v16 offset:1
	v_mov_b32_e32 v16, v14
.LBB94_166:
	s_or_b32 exec_lo, exec_lo, s11
	v_add_nc_u32_e32 v19, 1, v18
	v_add_nc_u32_e32 v21, 1, v7
	s_waitcnt lgkmcnt(0)
	v_cmp_lt_i16_sdwa s12, sext(v17), sext(v16) src0_sel:BYTE_0 src1_sel:BYTE_0
	v_cndmask_b32_e64 v20, v19, v18, s10
	v_cndmask_b32_e64 v7, v7, v21, s10
                                        ; implicit-def: $vgpr18
	v_cmp_ge_i32_e32 vcc_lo, v20, v8
	v_cmp_lt_i32_e64 s11, v7, v9
	s_or_b32 s12, vcc_lo, s12
	s_and_b32 s11, s11, s12
	s_xor_b32 s12, s11, -1
	s_and_saveexec_b32 s13, s12
	s_xor_b32 s12, exec_lo, s13
; %bb.167:
	v_add_nc_u32_e32 v18, v2, v20
	ds_read_u8 v18, v18 offset:1
; %bb.168:
	s_or_saveexec_b32 s12, s12
	v_mov_b32_e32 v19, v17
	s_xor_b32 exec_lo, exec_lo, s12
	s_cbranch_execz .LBB94_170
; %bb.169:
	s_waitcnt lgkmcnt(0)
	v_add_nc_u32_e32 v18, v2, v7
	ds_read_u8 v19, v18 offset:1
	v_mov_b32_e32 v18, v16
.LBB94_170:
	s_or_b32 exec_lo, exec_lo, s12
	v_add_nc_u32_e32 v21, 1, v20
	v_add_nc_u32_e32 v23, 1, v7
	s_waitcnt lgkmcnt(0)
	v_cmp_lt_i16_sdwa s13, sext(v19), sext(v18) src0_sel:BYTE_0 src1_sel:BYTE_0
	v_cndmask_b32_e64 v22, v21, v20, s11
	v_cndmask_b32_e64 v21, v7, v23, s11
                                        ; implicit-def: $vgpr7
	v_cmp_ge_i32_e32 vcc_lo, v22, v8
	v_cmp_lt_i32_e64 s12, v21, v9
	s_or_b32 s13, vcc_lo, s13
	s_and_b32 s12, s12, s13
	s_xor_b32 s13, s12, -1
	s_and_saveexec_b32 s14, s13
	s_xor_b32 s13, exec_lo, s14
; %bb.171:
	v_add_nc_u32_e32 v7, v2, v22
	ds_read_u8 v7, v7 offset:1
; %bb.172:
	s_or_saveexec_b32 s13, s13
	v_mov_b32_e32 v20, v19
	s_xor_b32 exec_lo, exec_lo, s13
	s_cbranch_execz .LBB94_174
; %bb.173:
	s_waitcnt lgkmcnt(0)
	v_add_nc_u32_e32 v7, v2, v21
	ds_read_u8 v20, v7 offset:1
	v_mov_b32_e32 v7, v18
.LBB94_174:
	s_or_b32 exec_lo, exec_lo, s13
	v_add_nc_u32_e32 v23, 1, v22
	v_add_nc_u32_e32 v25, 1, v21
	s_waitcnt lgkmcnt(0)
	v_cmp_lt_i16_sdwa s14, sext(v20), sext(v7) src0_sel:BYTE_0 src1_sel:BYTE_0
	v_cndmask_b32_e64 v24, v23, v22, s12
	v_cndmask_b32_e64 v23, v21, v25, s12
                                        ; implicit-def: $vgpr21
	v_cmp_ge_i32_e32 vcc_lo, v24, v8
	v_cmp_lt_i32_e64 s13, v23, v9
	s_or_b32 s14, vcc_lo, s14
	s_and_b32 vcc_lo, s13, s14
	s_xor_b32 s13, vcc_lo, -1
	s_and_saveexec_b32 s14, s13
	s_xor_b32 s13, exec_lo, s14
; %bb.175:
	v_add_nc_u32_e32 v21, v2, v24
	ds_read_u8 v21, v21 offset:1
; %bb.176:
	s_or_saveexec_b32 s13, s13
	v_mov_b32_e32 v22, v20
	s_xor_b32 exec_lo, exec_lo, s13
	s_cbranch_execz .LBB94_178
; %bb.177:
	s_waitcnt lgkmcnt(0)
	v_add_nc_u32_e32 v21, v2, v23
	ds_read_u8 v22, v21 offset:1
	v_mov_b32_e32 v21, v7
.LBB94_178:
	s_or_b32 exec_lo, exec_lo, s13
	v_add_nc_u32_e32 v25, 1, v24
	v_add_nc_u32_e32 v26, 1, v23
	s_waitcnt lgkmcnt(0)
	v_cmp_lt_i16_sdwa s15, sext(v22), sext(v21) src0_sel:BYTE_0 src1_sel:BYTE_0
	v_cndmask_b32_e32 v24, v25, v24, vcc_lo
	v_cndmask_b32_e32 v25, v23, v26, vcc_lo
                                        ; implicit-def: $vgpr23
	v_cmp_ge_i32_e64 s13, v24, v8
	v_cmp_lt_i32_e64 s14, v25, v9
	s_or_b32 s13, s13, s15
	s_and_b32 s13, s14, s13
	s_xor_b32 s14, s13, -1
	s_and_saveexec_b32 s15, s14
	s_xor_b32 s14, exec_lo, s15
; %bb.179:
	v_add_nc_u32_e32 v23, v2, v24
	ds_read_u8 v23, v23 offset:1
; %bb.180:
	s_or_saveexec_b32 s14, s14
	v_mov_b32_e32 v26, v22
	s_xor_b32 exec_lo, exec_lo, s14
	s_cbranch_execz .LBB94_182
; %bb.181:
	s_waitcnt lgkmcnt(0)
	v_add_nc_u32_e32 v23, v2, v25
	ds_read_u8 v26, v23 offset:1
	v_mov_b32_e32 v23, v21
.LBB94_182:
	s_or_b32 exec_lo, exec_lo, s14
	v_add_nc_u32_e32 v28, 1, v24
	v_add_nc_u32_e32 v27, 1, v25
	v_add_nc_u32_e32 v29, 0x100, v1
	v_cndmask_b32_e64 v21, v21, v22, s13
	v_cndmask_b32_sdwa v20, v7, v20, vcc_lo dst_sel:BYTE_1 dst_unused:UNUSED_PAD src0_sel:DWORD src1_sel:DWORD
	v_cndmask_b32_e64 v24, v28, v24, s13
	v_cndmask_b32_e64 v22, v25, v27, s13
	s_mov_b32 vcc_lo, s11
	v_min_i32_e32 v7, v6, v29
	v_cndmask_b32_sdwa v16, v16, v17, vcc_lo dst_sel:BYTE_1 dst_unused:UNUSED_PAD src0_sel:DWORD src1_sel:DWORD
	v_cmp_ge_i32_e32 vcc_lo, v24, v8
	s_waitcnt lgkmcnt(0)
	v_cmp_lt_i16_sdwa s11, sext(v26), sext(v23) src0_sel:BYTE_0 src1_sel:BYTE_0
	v_cndmask_b32_e64 v8, v12, v13, s9
	v_cmp_lt_i32_e64 s9, v22, v9
	v_add_nc_u32_e32 v12, 0x100, v7
	v_cndmask_b32_e64 v9, v10, v11, s8
	s_or_b32 s8, vcc_lo, s11
	v_lshlrev_b16 v8, 8, v8
	s_and_b32 vcc_lo, s9, s8
	v_min_i32_e32 v6, v6, v12
	v_cndmask_b32_e32 v10, v23, v26, vcc_lo
	v_cndmask_b32_e64 v11, v14, v15, s10
	v_cndmask_b32_e64 v12, v18, v19, s12
	v_or_b32_sdwa v8, v9, v8 dst_sel:DWORD dst_unused:UNUSED_PAD src0_sel:BYTE_0 src1_sel:DWORD
	v_sub_nc_u32_e32 v13, v6, v7
	v_lshlrev_b16 v9, 8, v10
	v_or_b32_sdwa v10, v11, v16 dst_sel:WORD_1 dst_unused:UNUSED_PAD src0_sel:BYTE_0 src1_sel:DWORD
	v_or_b32_sdwa v11, v12, v20 dst_sel:DWORD dst_unused:UNUSED_PAD src0_sel:BYTE_0 src1_sel:DWORD
	v_sub_nc_u32_e32 v14, v7, v1
	v_sub_nc_u32_e32 v12, v3, v13
	v_or_b32_sdwa v15, v21, v9 dst_sel:WORD_1 dst_unused:UNUSED_PAD src0_sel:BYTE_0 src1_sel:DWORD
	v_cmp_ge_i32_e32 vcc_lo, v3, v13
	v_or_b32_sdwa v10, v8, v10 dst_sel:DWORD dst_unused:UNUSED_PAD src0_sel:WORD_0 src1_sel:DWORD
	v_min_i32_e32 v9, v3, v14
	s_mov_b32 s9, 0
	v_or_b32_sdwa v11, v11, v15 dst_sel:DWORD dst_unused:UNUSED_PAD src0_sel:WORD_0 src1_sel:DWORD
	v_cndmask_b32_e32 v8, 0, v12, vcc_lo
	s_mov_b32 s8, exec_lo
	; wave barrier
	ds_write_b64 v0, v[10:11]
	; wave barrier
	v_cmpx_lt_i32_e64 v8, v9
	s_cbranch_execz .LBB94_186
; %bb.183:
	v_add_nc_u32_e32 v0, v2, v1
	v_add3_u32 v10, v2, v7, v3
	.p2align	6
.LBB94_184:                             ; =>This Inner Loop Header: Depth=1
	v_sub_nc_u32_e32 v11, v9, v8
	v_lshrrev_b32_e32 v11, 1, v11
	v_add_nc_u32_e32 v11, v11, v8
	v_add_nc_u32_e32 v12, v0, v11
	v_xad_u32 v13, v11, -1, v10
	v_add_nc_u32_e32 v14, 1, v11
	ds_read_i8 v12, v12
	ds_read_i8 v13, v13
	s_waitcnt lgkmcnt(0)
	v_cmp_lt_i16_e32 vcc_lo, v13, v12
	v_cndmask_b32_e32 v9, v9, v11, vcc_lo
	v_cndmask_b32_e32 v8, v14, v8, vcc_lo
	v_cmp_ge_i32_e32 vcc_lo, v8, v9
	s_or_b32 s9, vcc_lo, s9
	s_andn2_b32 exec_lo, exec_lo, s9
	s_cbranch_execnz .LBB94_184
; %bb.185:
	s_or_b32 exec_lo, exec_lo, s9
.LBB94_186:
	s_or_b32 exec_lo, exec_lo, s8
	v_add_nc_u32_e32 v3, v7, v3
	v_add_nc_u32_e32 v0, v8, v1
                                        ; implicit-def: $vgpr9
	v_sub_nc_u32_e32 v1, v3, v8
	v_add_nc_u32_e32 v10, v2, v0
	v_cmp_le_i32_e32 vcc_lo, v7, v0
	v_add_nc_u32_e32 v11, v2, v1
	v_cmp_gt_i32_e64 s9, v6, v1
	ds_read_u8 v3, v10
	ds_read_u8 v8, v11
	s_waitcnt lgkmcnt(1)
	v_bfe_i32 v3, v3, 0, 8
	s_waitcnt lgkmcnt(0)
	v_bfe_i32 v8, v8, 0, 8
	v_cmp_lt_i16_e64 s8, v8, v3
	s_or_b32 s8, vcc_lo, s8
	s_and_b32 vcc_lo, s9, s8
	s_xor_b32 s8, vcc_lo, -1
	s_and_saveexec_b32 s9, s8
	s_xor_b32 s8, exec_lo, s9
; %bb.187:
	ds_read_u8 v9, v10 offset:1
                                        ; implicit-def: $vgpr11
; %bb.188:
	s_or_saveexec_b32 s8, s8
	v_mov_b32_e32 v10, v8
	s_xor_b32 exec_lo, exec_lo, s8
	s_cbranch_execz .LBB94_190
; %bb.189:
	ds_read_u8 v10, v11 offset:1
	s_waitcnt lgkmcnt(1)
	v_mov_b32_e32 v9, v3
.LBB94_190:
	s_or_b32 exec_lo, exec_lo, s8
	v_add_nc_u32_e32 v11, 1, v0
	v_add_nc_u32_e32 v12, 1, v1
	s_waitcnt lgkmcnt(0)
	v_cmp_lt_i16_sdwa s10, sext(v10), sext(v9) src0_sel:BYTE_0 src1_sel:BYTE_0
	v_cndmask_b32_e32 v13, v11, v0, vcc_lo
	v_cndmask_b32_e32 v0, v1, v12, vcc_lo
                                        ; implicit-def: $vgpr11
	v_cmp_ge_i32_e64 s8, v13, v7
	v_cmp_lt_i32_e64 s9, v0, v6
	s_or_b32 s8, s8, s10
	s_and_b32 s8, s9, s8
	s_xor_b32 s9, s8, -1
	s_and_saveexec_b32 s10, s9
	s_xor_b32 s9, exec_lo, s10
; %bb.191:
	v_add_nc_u32_e32 v1, v2, v13
	ds_read_u8 v11, v1 offset:1
; %bb.192:
	s_or_saveexec_b32 s9, s9
	v_mov_b32_e32 v12, v10
	s_xor_b32 exec_lo, exec_lo, s9
	s_cbranch_execz .LBB94_194
; %bb.193:
	v_add_nc_u32_e32 v1, v2, v0
	s_waitcnt lgkmcnt(0)
	v_mov_b32_e32 v11, v9
	ds_read_u8 v12, v1 offset:1
.LBB94_194:
	s_or_b32 exec_lo, exec_lo, s9
	v_add_nc_u32_e32 v1, 1, v13
	v_add_nc_u32_e32 v14, 1, v0
	s_waitcnt lgkmcnt(0)
	v_cmp_lt_i16_sdwa s11, sext(v12), sext(v11) src0_sel:BYTE_0 src1_sel:BYTE_0
	v_cndmask_b32_e64 v1, v1, v13, s8
	v_cndmask_b32_e64 v0, v0, v14, s8
                                        ; implicit-def: $vgpr13
	v_cmp_ge_i32_e64 s9, v1, v7
	v_cmp_lt_i32_e64 s10, v0, v6
	s_or_b32 s9, s9, s11
	s_and_b32 s9, s10, s9
	s_xor_b32 s10, s9, -1
	s_and_saveexec_b32 s11, s10
	s_xor_b32 s10, exec_lo, s11
; %bb.195:
	v_add_nc_u32_e32 v13, v2, v1
	ds_read_u8 v13, v13 offset:1
; %bb.196:
	s_or_saveexec_b32 s10, s10
	v_mov_b32_e32 v14, v12
	s_xor_b32 exec_lo, exec_lo, s10
	s_cbranch_execz .LBB94_198
; %bb.197:
	s_waitcnt lgkmcnt(0)
	v_add_nc_u32_e32 v13, v2, v0
	ds_read_u8 v14, v13 offset:1
	v_mov_b32_e32 v13, v11
.LBB94_198:
	s_or_b32 exec_lo, exec_lo, s10
	v_add_nc_u32_e32 v15, 1, v1
	v_add_nc_u32_e32 v16, 1, v0
	s_waitcnt lgkmcnt(0)
	v_cmp_lt_i16_sdwa s12, sext(v14), sext(v13) src0_sel:BYTE_0 src1_sel:BYTE_0
	v_cndmask_b32_e64 v1, v15, v1, s9
	v_cndmask_b32_e64 v0, v0, v16, s9
                                        ; implicit-def: $vgpr15
	v_cmp_ge_i32_e64 s10, v1, v7
	v_cmp_lt_i32_e64 s11, v0, v6
	s_or_b32 s10, s10, s12
	s_and_b32 s10, s11, s10
	s_xor_b32 s11, s10, -1
	s_and_saveexec_b32 s12, s11
	s_xor_b32 s11, exec_lo, s12
; %bb.199:
	v_add_nc_u32_e32 v15, v2, v1
	ds_read_u8 v15, v15 offset:1
; %bb.200:
	s_or_saveexec_b32 s11, s11
	v_mov_b32_e32 v16, v14
	s_xor_b32 exec_lo, exec_lo, s11
	s_cbranch_execz .LBB94_202
; %bb.201:
	s_waitcnt lgkmcnt(0)
	v_add_nc_u32_e32 v15, v2, v0
	ds_read_u8 v16, v15 offset:1
	v_mov_b32_e32 v15, v13
.LBB94_202:
	s_or_b32 exec_lo, exec_lo, s11
	v_add_nc_u32_e32 v17, 1, v1
	v_add_nc_u32_e32 v18, 1, v0
	s_waitcnt lgkmcnt(0)
	v_cmp_lt_i16_sdwa s13, sext(v16), sext(v15) src0_sel:BYTE_0 src1_sel:BYTE_0
	v_cndmask_b32_e64 v1, v17, v1, s10
	v_cndmask_b32_e64 v0, v0, v18, s10
                                        ; implicit-def: $vgpr17
	v_cmp_ge_i32_e64 s11, v1, v7
	v_cmp_lt_i32_e64 s12, v0, v6
	s_or_b32 s11, s11, s13
	s_and_b32 s11, s12, s11
	s_xor_b32 s12, s11, -1
	s_and_saveexec_b32 s13, s12
	s_xor_b32 s12, exec_lo, s13
; %bb.203:
	v_add_nc_u32_e32 v17, v2, v1
	ds_read_u8 v17, v17 offset:1
; %bb.204:
	s_or_saveexec_b32 s12, s12
	v_mov_b32_e32 v18, v16
	s_xor_b32 exec_lo, exec_lo, s12
	s_cbranch_execz .LBB94_206
; %bb.205:
	s_waitcnt lgkmcnt(0)
	v_add_nc_u32_e32 v17, v2, v0
	ds_read_u8 v18, v17 offset:1
	v_mov_b32_e32 v17, v15
.LBB94_206:
	s_or_b32 exec_lo, exec_lo, s12
	v_add_nc_u32_e32 v19, 1, v1
	v_add_nc_u32_e32 v20, 1, v0
	s_waitcnt lgkmcnt(0)
	v_cmp_lt_i16_sdwa s14, sext(v18), sext(v17) src0_sel:BYTE_0 src1_sel:BYTE_0
	v_cndmask_b32_e64 v21, v19, v1, s11
	v_cndmask_b32_e64 v1, v0, v20, s11
                                        ; implicit-def: $vgpr19
	v_cmp_ge_i32_e64 s12, v21, v7
	v_cmp_lt_i32_e64 s13, v1, v6
	s_or_b32 s12, s12, s14
	s_and_b32 s12, s13, s12
	s_xor_b32 s13, s12, -1
	s_and_saveexec_b32 s14, s13
	s_xor_b32 s13, exec_lo, s14
; %bb.207:
	v_add_nc_u32_e32 v0, v2, v21
	ds_read_u8 v19, v0 offset:1
; %bb.208:
	s_or_saveexec_b32 s13, s13
	v_mov_b32_e32 v20, v18
	s_xor_b32 exec_lo, exec_lo, s13
	s_cbranch_execz .LBB94_210
; %bb.209:
	v_add_nc_u32_e32 v0, v2, v1
	s_waitcnt lgkmcnt(0)
	v_mov_b32_e32 v19, v17
	ds_read_u8 v20, v0 offset:1
.LBB94_210:
	s_or_b32 exec_lo, exec_lo, s13
	v_add_nc_u32_e32 v0, 1, v21
	v_add_nc_u32_e32 v22, 1, v1
	s_waitcnt lgkmcnt(0)
	v_cmp_lt_i16_sdwa s15, sext(v20), sext(v19) src0_sel:BYTE_0 src1_sel:BYTE_0
                                        ; implicit-def: $vgpr23
	v_cndmask_b32_e64 v0, v0, v21, s12
	v_cndmask_b32_e64 v21, v1, v22, s12
                                        ; implicit-def: $vgpr22
	v_cmp_ge_i32_e64 s13, v0, v7
	v_cmp_lt_i32_e64 s14, v21, v6
	s_or_b32 s13, s13, s15
	s_and_b32 s13, s14, s13
	s_xor_b32 s14, s13, -1
	s_and_saveexec_b32 s15, s14
	s_xor_b32 s14, exec_lo, s15
; %bb.211:
	v_add_nc_u32_e32 v1, v2, v0
	v_add_nc_u32_e32 v23, 1, v0
                                        ; implicit-def: $vgpr2
                                        ; implicit-def: $vgpr0
	ds_read_u8 v22, v1 offset:1
; %bb.212:
	s_or_saveexec_b32 s14, s14
	v_mov_b32_e32 v24, v20
	s_xor_b32 exec_lo, exec_lo, s14
	s_cbranch_execz .LBB94_214
; %bb.213:
	v_add_nc_u32_e32 v1, v2, v21
	v_add_nc_u32_e32 v21, 1, v21
	v_mov_b32_e32 v23, v0
	s_waitcnt lgkmcnt(0)
	v_mov_b32_e32 v22, v19
	ds_read_u8 v24, v1 offset:1
.LBB94_214:
	s_or_b32 exec_lo, exec_lo, s14
	v_add_co_u32 v0, s14, s18, v4
	v_add_co_ci_u32_e64 v1, null, s19, 0, s14
	v_add_co_u32 v0, s14, v0, v5
	v_add_co_ci_u32_e64 v1, null, 0, v1, s14
	s_and_saveexec_b32 s14, s0
	s_cbranch_execnz .LBB94_223
; %bb.215:
	s_or_b32 exec_lo, exec_lo, s14
	s_and_saveexec_b32 s0, s1
	s_cbranch_execnz .LBB94_224
.LBB94_216:
	s_or_b32 exec_lo, exec_lo, s0
	s_and_saveexec_b32 s0, s2
	s_cbranch_execnz .LBB94_225
.LBB94_217:
	s_or_b32 exec_lo, exec_lo, s0
	s_and_saveexec_b32 s0, s3
	s_cbranch_execnz .LBB94_226
.LBB94_218:
	s_or_b32 exec_lo, exec_lo, s0
	s_and_saveexec_b32 s0, s4
	s_cbranch_execnz .LBB94_227
.LBB94_219:
	s_or_b32 exec_lo, exec_lo, s0
	s_and_saveexec_b32 s0, s5
	s_cbranch_execnz .LBB94_228
.LBB94_220:
	s_or_b32 exec_lo, exec_lo, s0
	s_and_saveexec_b32 s0, s6
	s_cbranch_execnz .LBB94_229
.LBB94_221:
	s_or_b32 exec_lo, exec_lo, s0
	s_and_saveexec_b32 s0, s7
	s_cbranch_execnz .LBB94_230
.LBB94_222:
	s_endpgm
.LBB94_223:
	v_cndmask_b32_e32 v2, v3, v8, vcc_lo
	global_store_byte v[0:1], v2, off
	s_or_b32 exec_lo, exec_lo, s14
	s_and_saveexec_b32 s0, s1
	s_cbranch_execz .LBB94_216
.LBB94_224:
	v_cndmask_b32_e64 v2, v9, v10, s8
	global_store_byte v[0:1], v2, off offset:1
	s_or_b32 exec_lo, exec_lo, s0
	s_and_saveexec_b32 s0, s2
	s_cbranch_execz .LBB94_217
.LBB94_225:
	v_cndmask_b32_e64 v2, v11, v12, s9
	global_store_byte v[0:1], v2, off offset:2
	s_or_b32 exec_lo, exec_lo, s0
	s_and_saveexec_b32 s0, s3
	s_cbranch_execz .LBB94_218
.LBB94_226:
	v_cndmask_b32_e64 v2, v13, v14, s10
	global_store_byte v[0:1], v2, off offset:3
	s_or_b32 exec_lo, exec_lo, s0
	s_and_saveexec_b32 s0, s4
	s_cbranch_execz .LBB94_219
.LBB94_227:
	v_cndmask_b32_e64 v2, v15, v16, s11
	global_store_byte v[0:1], v2, off offset:4
	s_or_b32 exec_lo, exec_lo, s0
	s_and_saveexec_b32 s0, s5
	s_cbranch_execz .LBB94_220
.LBB94_228:
	v_cndmask_b32_e64 v2, v17, v18, s12
	global_store_byte v[0:1], v2, off offset:5
	s_or_b32 exec_lo, exec_lo, s0
	s_and_saveexec_b32 s0, s6
	s_cbranch_execz .LBB94_221
.LBB94_229:
	v_cndmask_b32_e64 v2, v19, v20, s13
	global_store_byte v[0:1], v2, off offset:6
	s_or_b32 exec_lo, exec_lo, s0
	s_and_saveexec_b32 s0, s7
	s_cbranch_execz .LBB94_222
.LBB94_230:
	v_cmp_ge_i32_e32 vcc_lo, v23, v7
	s_waitcnt lgkmcnt(0)
	v_cmp_lt_i16_sdwa s1, sext(v24), sext(v22) src0_sel:BYTE_0 src1_sel:BYTE_0
	v_cmp_lt_i32_e64 s0, v21, v6
	s_or_b32 s1, vcc_lo, s1
	s_and_b32 vcc_lo, s0, s1
	v_cndmask_b32_e32 v2, v22, v24, vcc_lo
	global_store_byte v[0:1], v2, off offset:7
	s_endpgm
	.section	.rodata,"a",@progbits
	.p2align	6, 0x0
	.amdhsa_kernel _Z19sort_keys_segmentedILj256ELj64ELj8EaN10test_utils4lessEEvPKT2_PS2_PKjT3_
		.amdhsa_group_segment_fixed_size 2052
		.amdhsa_private_segment_fixed_size 0
		.amdhsa_kernarg_size 28
		.amdhsa_user_sgpr_count 6
		.amdhsa_user_sgpr_private_segment_buffer 1
		.amdhsa_user_sgpr_dispatch_ptr 0
		.amdhsa_user_sgpr_queue_ptr 0
		.amdhsa_user_sgpr_kernarg_segment_ptr 1
		.amdhsa_user_sgpr_dispatch_id 0
		.amdhsa_user_sgpr_flat_scratch_init 0
		.amdhsa_user_sgpr_private_segment_size 0
		.amdhsa_wavefront_size32 1
		.amdhsa_uses_dynamic_stack 0
		.amdhsa_system_sgpr_private_segment_wavefront_offset 0
		.amdhsa_system_sgpr_workgroup_id_x 1
		.amdhsa_system_sgpr_workgroup_id_y 0
		.amdhsa_system_sgpr_workgroup_id_z 0
		.amdhsa_system_sgpr_workgroup_info 0
		.amdhsa_system_vgpr_workitem_id 0
		.amdhsa_next_free_vgpr 30
		.amdhsa_next_free_sgpr 20
		.amdhsa_reserve_vcc 1
		.amdhsa_reserve_flat_scratch 0
		.amdhsa_float_round_mode_32 0
		.amdhsa_float_round_mode_16_64 0
		.amdhsa_float_denorm_mode_32 3
		.amdhsa_float_denorm_mode_16_64 3
		.amdhsa_dx10_clamp 1
		.amdhsa_ieee_mode 1
		.amdhsa_fp16_overflow 0
		.amdhsa_workgroup_processor_mode 1
		.amdhsa_memory_ordered 1
		.amdhsa_forward_progress 1
		.amdhsa_shared_vgpr_count 0
		.amdhsa_exception_fp_ieee_invalid_op 0
		.amdhsa_exception_fp_denorm_src 0
		.amdhsa_exception_fp_ieee_div_zero 0
		.amdhsa_exception_fp_ieee_overflow 0
		.amdhsa_exception_fp_ieee_underflow 0
		.amdhsa_exception_fp_ieee_inexact 0
		.amdhsa_exception_int_div_zero 0
	.end_amdhsa_kernel
	.section	.text._Z19sort_keys_segmentedILj256ELj64ELj8EaN10test_utils4lessEEvPKT2_PS2_PKjT3_,"axG",@progbits,_Z19sort_keys_segmentedILj256ELj64ELj8EaN10test_utils4lessEEvPKT2_PS2_PKjT3_,comdat
.Lfunc_end94:
	.size	_Z19sort_keys_segmentedILj256ELj64ELj8EaN10test_utils4lessEEvPKT2_PS2_PKjT3_, .Lfunc_end94-_Z19sort_keys_segmentedILj256ELj64ELj8EaN10test_utils4lessEEvPKT2_PS2_PKjT3_
                                        ; -- End function
	.set _Z19sort_keys_segmentedILj256ELj64ELj8EaN10test_utils4lessEEvPKT2_PS2_PKjT3_.num_vgpr, 30
	.set _Z19sort_keys_segmentedILj256ELj64ELj8EaN10test_utils4lessEEvPKT2_PS2_PKjT3_.num_agpr, 0
	.set _Z19sort_keys_segmentedILj256ELj64ELj8EaN10test_utils4lessEEvPKT2_PS2_PKjT3_.numbered_sgpr, 20
	.set _Z19sort_keys_segmentedILj256ELj64ELj8EaN10test_utils4lessEEvPKT2_PS2_PKjT3_.num_named_barrier, 0
	.set _Z19sort_keys_segmentedILj256ELj64ELj8EaN10test_utils4lessEEvPKT2_PS2_PKjT3_.private_seg_size, 0
	.set _Z19sort_keys_segmentedILj256ELj64ELj8EaN10test_utils4lessEEvPKT2_PS2_PKjT3_.uses_vcc, 1
	.set _Z19sort_keys_segmentedILj256ELj64ELj8EaN10test_utils4lessEEvPKT2_PS2_PKjT3_.uses_flat_scratch, 0
	.set _Z19sort_keys_segmentedILj256ELj64ELj8EaN10test_utils4lessEEvPKT2_PS2_PKjT3_.has_dyn_sized_stack, 0
	.set _Z19sort_keys_segmentedILj256ELj64ELj8EaN10test_utils4lessEEvPKT2_PS2_PKjT3_.has_recursion, 0
	.set _Z19sort_keys_segmentedILj256ELj64ELj8EaN10test_utils4lessEEvPKT2_PS2_PKjT3_.has_indirect_call, 0
	.section	.AMDGPU.csdata,"",@progbits
; Kernel info:
; codeLenInByte = 10432
; TotalNumSgprs: 22
; NumVgprs: 30
; ScratchSize: 0
; MemoryBound: 0
; FloatMode: 240
; IeeeMode: 1
; LDSByteSize: 2052 bytes/workgroup (compile time only)
; SGPRBlocks: 0
; VGPRBlocks: 3
; NumSGPRsForWavesPerEU: 22
; NumVGPRsForWavesPerEU: 30
; Occupancy: 16
; WaveLimiterHint : 0
; COMPUTE_PGM_RSRC2:SCRATCH_EN: 0
; COMPUTE_PGM_RSRC2:USER_SGPR: 6
; COMPUTE_PGM_RSRC2:TRAP_HANDLER: 0
; COMPUTE_PGM_RSRC2:TGID_X_EN: 1
; COMPUTE_PGM_RSRC2:TGID_Y_EN: 0
; COMPUTE_PGM_RSRC2:TGID_Z_EN: 0
; COMPUTE_PGM_RSRC2:TIDIG_COMP_CNT: 0
	.section	.text._Z20sort_pairs_segmentedILj256ELj64ELj8EaN10test_utils4lessEEvPKT2_PS2_PKjT3_,"axG",@progbits,_Z20sort_pairs_segmentedILj256ELj64ELj8EaN10test_utils4lessEEvPKT2_PS2_PKjT3_,comdat
	.protected	_Z20sort_pairs_segmentedILj256ELj64ELj8EaN10test_utils4lessEEvPKT2_PS2_PKjT3_ ; -- Begin function _Z20sort_pairs_segmentedILj256ELj64ELj8EaN10test_utils4lessEEvPKT2_PS2_PKjT3_
	.globl	_Z20sort_pairs_segmentedILj256ELj64ELj8EaN10test_utils4lessEEvPKT2_PS2_PKjT3_
	.p2align	8
	.type	_Z20sort_pairs_segmentedILj256ELj64ELj8EaN10test_utils4lessEEvPKT2_PS2_PKjT3_,@function
_Z20sort_pairs_segmentedILj256ELj64ELj8EaN10test_utils4lessEEvPKT2_PS2_PKjT3_: ; @_Z20sort_pairs_segmentedILj256ELj64ELj8EaN10test_utils4lessEEvPKT2_PS2_PKjT3_
; %bb.0:
	s_clause 0x1
	s_load_dwordx2 s[0:1], s[4:5], 0x10
	s_load_dwordx4 s[16:19], s[4:5], 0x0
	v_lshrrev_b32_e32 v11, 6, v0
	v_mov_b32_e32 v1, 0
	v_mov_b32_e32 v6, 0
	;; [unrolled: 1-line block ×4, first 2 shown]
	v_lshl_or_b32 v0, s6, 2, v11
	v_mov_b32_e32 v12, 0
	v_mov_b32_e32 v5, 0
	v_lshlrev_b64 v[2:3], 2, v[0:1]
	v_lshlrev_b32_e32 v9, 9, v0
	s_waitcnt lgkmcnt(0)
	v_add_co_u32 v2, vcc_lo, s0, v2
	v_add_co_ci_u32_e64 v3, null, s1, v3, vcc_lo
	v_add_co_u32 v0, s0, s16, v9
	global_load_dword v10, v[2:3], off
	v_mbcnt_lo_u32_b32 v2, -1, 0
	v_add_co_ci_u32_e64 v3, null, s17, 0, s0
	v_lshlrev_b32_e32 v8, 3, v2
	v_add_co_u32 v2, vcc_lo, v0, v8
	v_add_co_ci_u32_e64 v3, null, 0, v3, vcc_lo
	v_mov_b32_e32 v0, 0
	s_waitcnt vmcnt(0)
	v_cmp_lt_u32_e64 s0, v8, v10
	s_and_saveexec_b32 s1, s0
	s_cbranch_execz .LBB95_2
; %bb.1:
	global_load_ubyte v6, v[2:3], off
	v_mov_b32_e32 v4, 0
	v_mov_b32_e32 v14, 0
	;; [unrolled: 1-line block ×5, first 2 shown]
.LBB95_2:
	s_or_b32 exec_lo, exec_lo, s1
	v_or_b32_e32 v7, 1, v8
	v_mov_b32_e32 v16, v1
	v_cmp_lt_u32_e64 s1, v7, v10
	s_and_saveexec_b32 s2, s1
	s_cbranch_execz .LBB95_4
; %bb.3:
	global_load_ubyte v16, v[2:3], off offset:1
.LBB95_4:
	s_or_b32 exec_lo, exec_lo, s2
	v_or_b32_e32 v13, 2, v8
	v_cmp_lt_u32_e64 s2, v13, v10
	s_and_saveexec_b32 s3, s2
	s_cbranch_execz .LBB95_6
; %bb.5:
	global_load_ubyte v1, v[2:3], off offset:2
.LBB95_6:
	s_or_b32 exec_lo, exec_lo, s3
	v_or_b32_e32 v15, 3, v8
	;; [unrolled: 8-line block ×6, first 2 shown]
	v_cmp_lt_u32_e64 s7, v20, v10
	s_and_saveexec_b32 s8, s7
	s_cbranch_execz .LBB95_16
; %bb.15:
	global_load_ubyte v0, v[2:3], off offset:7
.LBB95_16:
	s_or_b32 exec_lo, exec_lo, s8
	s_waitcnt vmcnt(0)
	v_add_nc_u16 v2, v6, 1
	v_mov_b32_e32 v3, 0xffff
	v_perm_b32 v21, v14, v12, 0xc0c0004
	v_add_nc_u16 v14, v14, 1
	v_perm_b32 v22, v5, v0, 0xc0c0004
	v_perm_b32 v23, v1, v4, 0xc0c0004
	v_and_b32_sdwa v2, v3, v2 dst_sel:DWORD dst_unused:UNUSED_PAD src0_sel:DWORD src1_sel:BYTE_0
	v_perm_b32 v3, v6, v16, 0xc0c0004
	v_perm_b32 v14, v14, 0, 0x3020104
	v_lshlrev_b16 v16, 8, v16
	v_lshlrev_b16 v12, 8, v12
	v_cndmask_b32_e64 v24, 0, v2, s0
	v_mov_b32_e32 v2, 0x7f00
	v_cndmask_b32_e64 v14, 0, v14, s4
	v_lshl_or_b32 v22, v22, 16, v21
	v_and_b32_e32 v21, 0xffffff00, v21
	v_or_b32_e32 v16, v16, v24
	v_lshlrev_b32_e32 v23, 16, v23
	v_or_b32_sdwa v6, v6, v2 dst_sel:DWORD dst_unused:UNUSED_PAD src0_sel:BYTE_0 src1_sel:DWORD
	v_or_b32_sdwa v12, v12, v14 dst_sel:DWORD dst_unused:UNUSED_PAD src0_sel:DWORD src1_sel:BYTE_0
	v_or_b32_e32 v21, 0x7f, v21
	v_add_nc_u16 v16, 0x100, v16
	v_or_b32_e32 v3, v3, v23
	v_or_b32_sdwa v6, v6, v23 dst_sel:DWORD dst_unused:UNUSED_PAD src0_sel:WORD_0 src1_sel:DWORD
	v_add_nc_u16 v12, 0x100, v12
	v_cmp_lt_i32_e32 vcc_lo, v7, v10
	v_mov_b32_e32 v25, 0xffffff00
	v_and_b32_e32 v16, 0xffff, v16
	v_and_b32_e32 v21, 0xffff, v21
	;; [unrolled: 1-line block ×3, first 2 shown]
	v_cndmask_b32_e32 v6, v6, v3, vcc_lo
	v_add_nc_u16 v1, v1, 1
	v_cndmask_b32_e64 v16, v24, v16, s1
	v_mov_b32_e32 v12, 0x7f
	v_and_or_b32 v21, 0xffff0000, v22, v21
	v_and_b32_sdwa v23, v6, v25 dst_sel:DWORD dst_unused:UNUSED_PAD src0_sel:WORD_1 src1_sel:DWORD
	v_and_or_b32 v7, 0xffff0000, v14, v7
	v_cmp_lt_i32_e32 vcc_lo, v17, v10
	v_perm_b32 v1, v1, v16, 0xc0c0304
	v_add_nc_u16 v5, v5, 1
	v_cmp_lt_i32_e64 s8, v13, v10
	v_cndmask_b32_e64 v7, v14, v7, s5
	v_cndmask_b32_e32 v17, v21, v22, vcc_lo
	v_or_b32_sdwa v14, v23, v12 dst_sel:WORD_1 dst_unused:UNUSED_PAD src0_sel:DWORD src1_sel:DWORD
	v_lshl_or_b32 v1, v1, 16, v16
	v_lshlrev_b16 v4, 8, v4
	v_perm_b32 v5, v7, v5, 0x7000504
	v_or_b32_sdwa v21, v17, v2 dst_sel:DWORD dst_unused:UNUSED_PAD src0_sel:BYTE_0 src1_sel:DWORD
	v_and_or_b32 v6, 0xffff, v6, v14
	v_cndmask_b32_e64 v1, v16, v1, s2
	v_mov_b32_e32 v16, 0xff
	v_cndmask_b32_e64 v7, v7, v5, s6
	v_and_b32_e32 v14, 0xffff, v21
	v_cndmask_b32_e64 v5, v6, v3, s8
	v_cmp_lt_i32_e64 s8, v18, v10
	v_and_b32_sdwa v21, v1, v16 dst_sel:DWORD dst_unused:UNUSED_PAD src0_sel:WORD_1 src1_sel:DWORD
	v_and_b32_sdwa v13, v7, v16 dst_sel:DWORD dst_unused:UNUSED_PAD src0_sel:WORD_1 src1_sel:DWORD
	v_and_or_b32 v6, 0xffff0000, v17, v14
	v_and_b32_sdwa v14, v5, v16 dst_sel:DWORD dst_unused:UNUSED_PAD src0_sel:WORD_1 src1_sel:DWORD
	v_lshlrev_b16 v0, 8, v0
	v_or_b32_e32 v4, v4, v21
	v_cmp_lt_i32_e64 s9, v15, v10
	v_cndmask_b32_e64 v6, v6, v22, s8
	v_or_b32_sdwa v14, v14, v2 dst_sel:WORD_1 dst_unused:UNUSED_PAD src0_sel:DWORD src1_sel:DWORD
	v_or_b32_e32 v0, v0, v13
	v_add_nc_u16 v4, 0x100, v4
	v_and_b32_sdwa v13, v6, v25 dst_sel:DWORD dst_unused:UNUSED_PAD src0_sel:WORD_1 src1_sel:DWORD
	v_and_or_b32 v5, 0xffff, v5, v14
	v_add_nc_u16 v0, 0x100, v0
	v_lshlrev_b32_e32 v4, 16, v4
	v_or_b32_sdwa v12, v13, v12 dst_sel:WORD_1 dst_unused:UNUSED_PAD src0_sel:DWORD src1_sel:DWORD
	v_cndmask_b32_e64 v5, v5, v3, s9
	v_cmp_lt_i32_e64 s9, v19, v10
	v_lshlrev_b32_e32 v0, 16, v0
	v_and_or_b32 v4, 0xffff, v1, v4
	v_and_or_b32 v6, 0xffff, v6, v12
	v_cndmask_b32_e32 v12, v5, v3, vcc_lo
	s_or_b32 vcc_lo, s9, s8
	v_and_or_b32 v13, 0xffff, v7, v0
	v_cndmask_b32_e64 v0, v1, v4, s3
	v_cndmask_b32_e64 v5, v6, v22, s9
	v_cndmask_b32_e32 v4, v12, v3, vcc_lo
	v_cmp_lt_i32_e64 s8, v20, v10
	v_cndmask_b32_e64 v1, v7, v13, s7
	s_mov_b32 s9, exec_lo
	v_lshrrev_b32_e32 v14, 24, v5
	v_lshrrev_b64 v[6:7], 24, v[4:5]
	v_lshrrev_b32_e32 v12, 16, v5
	v_lshrrev_b32_e32 v13, 8, v5
	v_lshrrev_b32_e32 v15, 16, v4
	v_lshrrev_b32_e32 v7, 8, v4
                                        ; implicit-def: $vgpr3
	v_cmpx_ge_i32_e64 v20, v10
	s_cbranch_execz .LBB95_18
; %bb.17:
	v_lshrrev_b32_e32 v13, 8, v5
	v_lshrrev_b32_e32 v12, 16, v5
	;; [unrolled: 1-line block ×3, first 2 shown]
	v_cmp_lt_i32_e32 vcc_lo, v8, v10
	v_lshrrev_b32_e32 v7, 8, v4
	v_lshlrev_b16 v3, 8, v13
	v_or_b32_sdwa v14, v12, v2 dst_sel:WORD_1 dst_unused:UNUSED_PAD src0_sel:BYTE_0 src1_sel:DWORD
	v_perm_b32 v2, v4, v15, 0x7000504
	s_andn2_b32 s8, s8, exec_lo
	s_and_b32 s10, vcc_lo, exec_lo
	v_or_b32_sdwa v3, v5, v3 dst_sel:DWORD dst_unused:UNUSED_PAD src0_sel:BYTE_0 src1_sel:DWORD
	s_or_b32 s8, s8, s10
	v_or_b32_sdwa v3, v3, v14 dst_sel:DWORD dst_unused:UNUSED_PAD src0_sel:WORD_0 src1_sel:DWORD
	v_mov_b32_e32 v14, 0x7f
.LBB95_18:
	s_or_b32 exec_lo, exec_lo, s9
	s_and_saveexec_b32 s9, s8
	s_cbranch_execz .LBB95_22
; %bb.19:
	v_perm_b32 v2, v15, v6, 0xc0c0004
	v_perm_b32 v3, 0, v0, 0xc0c0001
	;; [unrolled: 1-line block ×4, first 2 shown]
	v_cmp_lt_i16_sdwa vcc_lo, sext(v7), sext(v4) src0_sel:BYTE_0 src1_sel:BYTE_0
	v_lshlrev_b32_e32 v2, 16, v2
	v_and_or_b32 v3, 0xffff0000, v0, v3
	v_perm_b32 v4, v12, v14, 0xc0c0004
	v_perm_b32 v7, v1, v1, 0x7060405
	v_or_b32_e32 v6, v6, v2
	v_or_b32_e32 v2, v15, v2
	v_cndmask_b32_e32 v0, v0, v3, vcc_lo
	v_perm_b32 v3, v5, v13, 0xc0c0004
	v_cndmask_b32_e32 v2, v2, v6, vcc_lo
	v_lshrrev_b32_e32 v5, 16, v0
	v_lshl_or_b32 v3, v4, 16, v3
	v_lshrrev_b32_e32 v6, 16, v2
	v_perm_b32 v4, 0, v5, 0xc0c0001
	v_lshrrev_b32_e32 v12, 8, v3
	v_lshrrev_b32_e32 v13, 24, v2
	v_perm_b32 v14, v3, v3, 0x7060405
	v_perm_b32 v5, 0, v6, 0xc0c0001
	v_lshlrev_b32_e32 v4, 16, v4
	v_cmp_lt_i16_sdwa vcc_lo, sext(v12), sext(v3) src0_sel:BYTE_0 src1_sel:BYTE_0
	v_cmp_lt_i16_sdwa s8, sext(v13), sext(v6) src0_sel:BYTE_0 src1_sel:BYTE_0
	v_lshlrev_b32_e32 v5, 16, v5
	v_and_or_b32 v4, 0xffff, v0, v4
	v_cndmask_b32_e32 v3, v3, v14, vcc_lo
	v_cndmask_b32_e32 v1, v1, v7, vcc_lo
	v_and_or_b32 v5, 0xffff, v2, v5
	v_cndmask_b32_e64 v0, v0, v4, s8
	v_lshrrev_b32_e32 v4, 24, v3
	v_perm_b32 v6, v1, v1, 0x6070504
	v_perm_b32 v13, v3, v3, 0x6070504
	v_cndmask_b32_e64 v2, v2, v5, s8
	v_lshrrev_b32_e32 v5, 16, v3
	v_lshrrev_b32_e32 v7, 16, v2
	;; [unrolled: 1-line block ×3, first 2 shown]
	v_cmp_lt_i16_sdwa vcc_lo, sext(v4), sext(v5) src0_sel:BYTE_0 src1_sel:BYTE_0
	v_perm_b32 v4, v0, v0, 0x7050604
	v_perm_b32 v5, v2, v2, 0x7050604
	v_cmp_lt_i16_sdwa s8, sext(v7), sext(v12) src0_sel:BYTE_0 src1_sel:BYTE_0
	v_mov_b32_e32 v7, 0xff
	v_cndmask_b32_e32 v1, v1, v6, vcc_lo
	v_cndmask_b32_e32 v3, v3, v13, vcc_lo
	v_cndmask_b32_e64 v0, v0, v4, s8
	v_cndmask_b32_e64 v2, v2, v5, s8
	v_lshlrev_b16 v4, 8, v1
	v_lshlrev_b16 v5, 8, v3
	v_and_b32_sdwa v6, v0, v7 dst_sel:DWORD dst_unused:UNUSED_PAD src0_sel:WORD_1 src1_sel:DWORD
	v_and_b32_sdwa v12, v2, v7 dst_sel:DWORD dst_unused:UNUSED_PAD src0_sel:WORD_1 src1_sel:DWORD
	v_or_b32_sdwa v4, v6, v4 dst_sel:WORD_1 dst_unused:UNUSED_PAD src0_sel:DWORD src1_sel:DWORD
	v_or_b32_sdwa v5, v12, v5 dst_sel:WORD_1 dst_unused:UNUSED_PAD src0_sel:DWORD src1_sel:DWORD
	v_lshrrev_b32_e32 v6, 24, v2
	v_and_or_b32 v4, 0xffff, v0, v4
	v_and_or_b32 v5, 0xffff, v2, v5
	v_cmp_lt_i16_sdwa vcc_lo, sext(v3), sext(v6) src0_sel:BYTE_0 src1_sel:BYTE_0
	v_cndmask_b32_e32 v5, v2, v5, vcc_lo
	v_cndmask_b32_e32 v4, v0, v4, vcc_lo
	v_perm_b32 v2, v2, v3, 0x3020107
	v_perm_b32 v0, v0, v1, 0x3020107
	;; [unrolled: 1-line block ×3, first 2 shown]
	v_lshrrev_b32_e32 v13, 8, v5
	v_perm_b32 v6, 0, v4, 0xc0c0001
	v_cndmask_b32_e32 v2, v3, v2, vcc_lo
	v_cndmask_b32_e32 v0, v1, v0, vcc_lo
	v_and_or_b32 v3, 0xffff0000, v5, v12
	v_cmp_lt_i16_sdwa vcc_lo, sext(v13), sext(v5) src0_sel:BYTE_0 src1_sel:BYTE_0
	v_and_or_b32 v1, 0xffff0000, v4, v6
	v_lshrrev_b32_e32 v6, 16, v2
	v_lshrrev_b32_e32 v12, 8, v2
	v_cndmask_b32_e32 v3, v5, v3, vcc_lo
	v_cndmask_b32_e32 v1, v4, v1, vcc_lo
	v_perm_b32 v4, v2, v2, 0x7050604
	v_perm_b32 v5, v0, v0, 0x7050604
	v_cmp_lt_i16_sdwa vcc_lo, sext(v6), sext(v12) src0_sel:BYTE_0 src1_sel:BYTE_0
	v_lshrrev_b32_e32 v12, 16, v3
	v_lshrrev_b32_e32 v6, 16, v1
	;; [unrolled: 1-line block ×3, first 2 shown]
	v_cndmask_b32_e32 v0, v0, v5, vcc_lo
	v_cndmask_b32_e32 v2, v2, v4, vcc_lo
	v_perm_b32 v5, 0, v12, 0xc0c0001
	v_perm_b32 v4, 0, v6, 0xc0c0001
	v_cmp_lt_i16_sdwa s8, sext(v14), sext(v12) src0_sel:BYTE_0 src1_sel:BYTE_0
	v_perm_b32 v6, v0, v0, 0x7060405
	v_lshrrev_b32_e32 v13, 8, v2
	v_lshlrev_b32_e32 v5, 16, v5
	v_lshlrev_b32_e32 v4, 16, v4
	v_perm_b32 v15, v2, v2, 0x7060405
	v_cmp_lt_i16_sdwa vcc_lo, sext(v13), sext(v2) src0_sel:BYTE_0 src1_sel:BYTE_0
	v_and_or_b32 v5, 0xffff, v3, v5
	v_and_or_b32 v4, 0xffff, v1, v4
	v_cndmask_b32_e32 v2, v2, v15, vcc_lo
	v_cndmask_b32_e64 v3, v3, v5, s8
	v_cndmask_b32_e32 v0, v0, v6, vcc_lo
	v_cndmask_b32_e64 v1, v1, v4, s8
	v_lshrrev_b32_e32 v4, 24, v2
	v_lshrrev_b32_e32 v5, 16, v2
	;; [unrolled: 1-line block ×4, first 2 shown]
	v_perm_b32 v6, v0, v0, 0x6070504
	v_perm_b32 v14, v2, v2, 0x6070504
	v_cmp_lt_i16_sdwa vcc_lo, sext(v4), sext(v5) src0_sel:BYTE_0 src1_sel:BYTE_0
	v_perm_b32 v4, v1, v1, 0x7050604
	v_perm_b32 v5, v3, v3, 0x7050604
	v_cmp_lt_i16_sdwa s8, sext(v12), sext(v13) src0_sel:BYTE_0 src1_sel:BYTE_0
	v_cndmask_b32_e32 v0, v0, v6, vcc_lo
	v_cndmask_b32_e32 v2, v2, v14, vcc_lo
	v_cndmask_b32_e64 v1, v1, v4, s8
	v_cndmask_b32_e64 v3, v3, v5, s8
	v_lshlrev_b16 v4, 8, v0
	v_lshlrev_b16 v5, 8, v2
	v_and_b32_sdwa v6, v1, v7 dst_sel:DWORD dst_unused:UNUSED_PAD src0_sel:WORD_1 src1_sel:DWORD
	v_and_b32_sdwa v12, v3, v7 dst_sel:DWORD dst_unused:UNUSED_PAD src0_sel:WORD_1 src1_sel:DWORD
	v_or_b32_sdwa v4, v6, v4 dst_sel:WORD_1 dst_unused:UNUSED_PAD src0_sel:DWORD src1_sel:DWORD
	v_or_b32_sdwa v5, v12, v5 dst_sel:WORD_1 dst_unused:UNUSED_PAD src0_sel:DWORD src1_sel:DWORD
	v_lshrrev_b32_e32 v6, 24, v3
	v_and_or_b32 v4, 0xffff, v1, v4
	v_and_or_b32 v5, 0xffff, v3, v5
	v_cmp_lt_i16_sdwa vcc_lo, sext(v2), sext(v6) src0_sel:BYTE_0 src1_sel:BYTE_0
	v_cndmask_b32_e32 v5, v3, v5, vcc_lo
	v_cndmask_b32_e32 v4, v1, v4, vcc_lo
	v_perm_b32 v3, v3, v2, 0x3020107
	v_perm_b32 v1, v1, v0, 0x3020107
	;; [unrolled: 1-line block ×3, first 2 shown]
	v_lshrrev_b32_e32 v13, 8, v5
	v_perm_b32 v6, 0, v4, 0xc0c0001
	v_cndmask_b32_e32 v2, v2, v3, vcc_lo
	v_cndmask_b32_e32 v0, v0, v1, vcc_lo
	v_and_or_b32 v3, 0xffff0000, v5, v12
	v_cmp_lt_i16_sdwa vcc_lo, sext(v13), sext(v5) src0_sel:BYTE_0 src1_sel:BYTE_0
	v_and_or_b32 v1, 0xffff0000, v4, v6
	v_lshrrev_b32_e32 v6, 16, v2
	v_lshrrev_b32_e32 v12, 8, v2
	v_cndmask_b32_e32 v3, v5, v3, vcc_lo
	v_cndmask_b32_e32 v1, v4, v1, vcc_lo
	v_perm_b32 v4, v2, v2, 0x7050604
	v_perm_b32 v5, v0, v0, 0x7050604
	v_cmp_lt_i16_sdwa vcc_lo, sext(v6), sext(v12) src0_sel:BYTE_0 src1_sel:BYTE_0
	v_lshrrev_b32_e32 v12, 16, v3
	v_lshrrev_b32_e32 v6, 16, v1
	;; [unrolled: 1-line block ×3, first 2 shown]
	v_cndmask_b32_e32 v0, v0, v5, vcc_lo
	v_cndmask_b32_e32 v2, v2, v4, vcc_lo
	v_perm_b32 v5, 0, v12, 0xc0c0001
	v_perm_b32 v4, 0, v6, 0xc0c0001
	v_cmp_lt_i16_sdwa s8, sext(v14), sext(v12) src0_sel:BYTE_0 src1_sel:BYTE_0
	v_perm_b32 v6, v0, v0, 0x7060405
	v_lshrrev_b32_e32 v13, 8, v2
	v_lshlrev_b32_e32 v5, 16, v5
	v_lshlrev_b32_e32 v4, 16, v4
	v_perm_b32 v15, v2, v2, 0x7060405
	v_cmp_lt_i16_sdwa vcc_lo, sext(v13), sext(v2) src0_sel:BYTE_0 src1_sel:BYTE_0
	v_and_or_b32 v5, 0xffff, v3, v5
	v_and_or_b32 v4, 0xffff, v1, v4
	v_cndmask_b32_e32 v2, v2, v15, vcc_lo
	v_cndmask_b32_e64 v3, v3, v5, s8
	v_cndmask_b32_e32 v0, v0, v6, vcc_lo
	v_cndmask_b32_e64 v1, v1, v4, s8
	v_lshrrev_b32_e32 v4, 24, v2
	v_lshrrev_b32_e32 v5, 16, v2
	v_lshrrev_b32_e32 v12, 16, v3
	v_lshrrev_b32_e32 v13, 8, v3
	v_perm_b32 v6, v0, v0, 0x6070504
	v_perm_b32 v14, v2, v2, 0x6070504
	v_cmp_lt_i16_sdwa vcc_lo, sext(v4), sext(v5) src0_sel:BYTE_0 src1_sel:BYTE_0
	v_perm_b32 v4, v1, v1, 0x7050604
	v_perm_b32 v5, v3, v3, 0x7050604
	v_cmp_lt_i16_sdwa s8, sext(v12), sext(v13) src0_sel:BYTE_0 src1_sel:BYTE_0
	v_cndmask_b32_e32 v0, v0, v6, vcc_lo
	v_cndmask_b32_e32 v2, v2, v14, vcc_lo
	v_cndmask_b32_e64 v1, v1, v4, s8
	v_cndmask_b32_e64 v3, v3, v5, s8
	v_lshlrev_b16 v4, 8, v0
	v_lshlrev_b16 v5, 8, v2
	v_and_b32_sdwa v6, v1, v7 dst_sel:DWORD dst_unused:UNUSED_PAD src0_sel:WORD_1 src1_sel:DWORD
	v_and_b32_sdwa v12, v3, v7 dst_sel:DWORD dst_unused:UNUSED_PAD src0_sel:WORD_1 src1_sel:DWORD
	v_or_b32_sdwa v4, v6, v4 dst_sel:WORD_1 dst_unused:UNUSED_PAD src0_sel:DWORD src1_sel:DWORD
	v_or_b32_sdwa v5, v12, v5 dst_sel:WORD_1 dst_unused:UNUSED_PAD src0_sel:DWORD src1_sel:DWORD
	v_lshrrev_b32_e32 v6, 24, v3
	v_and_or_b32 v4, 0xffff, v1, v4
	v_and_or_b32 v5, 0xffff, v3, v5
	v_cmp_lt_i16_sdwa vcc_lo, sext(v2), sext(v6) src0_sel:BYTE_0 src1_sel:BYTE_0
	v_cndmask_b32_e32 v5, v3, v5, vcc_lo
	v_cndmask_b32_e32 v4, v1, v4, vcc_lo
	v_perm_b32 v3, v3, v2, 0x3020107
	v_perm_b32 v1, v1, v0, 0x3020107
	;; [unrolled: 1-line block ×3, first 2 shown]
	v_lshrrev_b32_e32 v13, 8, v5
	v_perm_b32 v6, 0, v4, 0xc0c0001
	v_cndmask_b32_e32 v2, v2, v3, vcc_lo
	v_cndmask_b32_e32 v0, v0, v1, vcc_lo
	v_and_or_b32 v3, 0xffff0000, v5, v12
	v_cmp_lt_i16_sdwa vcc_lo, sext(v13), sext(v5) src0_sel:BYTE_0 src1_sel:BYTE_0
	v_and_or_b32 v1, 0xffff0000, v4, v6
	v_lshrrev_b32_e32 v6, 16, v2
	v_lshrrev_b32_e32 v12, 8, v2
	v_cndmask_b32_e32 v3, v5, v3, vcc_lo
	v_cndmask_b32_e32 v1, v4, v1, vcc_lo
	v_perm_b32 v4, v2, v2, 0x7050604
	v_perm_b32 v5, v0, v0, 0x7050604
	v_cmp_lt_i16_sdwa vcc_lo, sext(v6), sext(v12) src0_sel:BYTE_0 src1_sel:BYTE_0
	v_lshrrev_b32_e32 v12, 16, v3
	v_lshrrev_b32_e32 v6, 16, v1
	;; [unrolled: 1-line block ×3, first 2 shown]
	v_cndmask_b32_e32 v0, v0, v5, vcc_lo
	v_cndmask_b32_e32 v2, v2, v4, vcc_lo
	v_perm_b32 v5, 0, v12, 0xc0c0001
	v_perm_b32 v4, 0, v6, 0xc0c0001
	v_cmp_lt_i16_sdwa s8, sext(v14), sext(v12) src0_sel:BYTE_0 src1_sel:BYTE_0
	v_perm_b32 v6, v0, v0, 0x7060405
	v_lshrrev_b32_e32 v13, 8, v2
	v_lshlrev_b32_e32 v5, 16, v5
	v_lshlrev_b32_e32 v4, 16, v4
	v_perm_b32 v15, v2, v2, 0x7060405
	v_cmp_lt_i16_sdwa vcc_lo, sext(v13), sext(v2) src0_sel:BYTE_0 src1_sel:BYTE_0
	v_and_or_b32 v5, 0xffff, v3, v5
	v_and_or_b32 v4, 0xffff, v1, v4
	v_cndmask_b32_e32 v2, v2, v15, vcc_lo
	v_cndmask_b32_e64 v3, v3, v5, s8
	v_cndmask_b32_e32 v0, v0, v6, vcc_lo
	v_cndmask_b32_e64 v1, v1, v4, s8
	v_lshrrev_b32_e32 v5, 24, v2
	v_lshrrev_b32_e32 v6, 16, v2
	;; [unrolled: 1-line block ×4, first 2 shown]
	v_perm_b32 v4, v0, v0, 0x6070504
	v_perm_b32 v14, v1, v1, 0x7050604
	v_cmp_lt_i16_sdwa vcc_lo, sext(v5), sext(v6) src0_sel:BYTE_0 src1_sel:BYTE_0
	v_perm_b32 v5, v2, v2, 0x6070504
	v_cmp_lt_i16_sdwa s8, sext(v12), sext(v13) src0_sel:BYTE_0 src1_sel:BYTE_0
	v_cndmask_b32_e32 v0, v0, v4, vcc_lo
	v_perm_b32 v4, v3, v3, 0x7050604
	v_cndmask_b32_e64 v1, v1, v14, s8
	v_cndmask_b32_e32 v2, v2, v5, vcc_lo
	v_lshlrev_b16 v6, 8, v0
	v_cndmask_b32_e64 v13, v3, v4, s8
	v_and_b32_sdwa v12, v1, v7 dst_sel:DWORD dst_unused:UNUSED_PAD src0_sel:WORD_1 src1_sel:DWORD
	v_lshlrev_b16 v5, 8, v2
	v_lshrrev_b32_e32 v4, 24, v13
	v_or_b32_sdwa v3, v12, v6 dst_sel:WORD_1 dst_unused:UNUSED_PAD src0_sel:DWORD src1_sel:DWORD
	v_and_b32_sdwa v6, v13, v7 dst_sel:DWORD dst_unused:UNUSED_PAD src0_sel:WORD_1 src1_sel:DWORD
	v_perm_b32 v7, v13, v2, 0x3020107
	v_cmp_lt_i16_sdwa vcc_lo, sext(v2), sext(v4) src0_sel:BYTE_0 src1_sel:BYTE_0
	v_and_or_b32 v3, 0xffff, v1, v3
	v_or_b32_sdwa v5, v6, v5 dst_sel:WORD_1 dst_unused:UNUSED_PAD src0_sel:DWORD src1_sel:DWORD
	v_cndmask_b32_e32 v4, v1, v3, vcc_lo
	v_cndmask_b32_e32 v3, v2, v7, vcc_lo
	v_and_or_b32 v2, 0xffff, v13, v5
	v_perm_b32 v1, v1, v0, 0x3020107
	v_lshrrev_b32_e32 v6, 16, v3
	v_lshrrev_b32_e32 v7, 8, v3
	v_cndmask_b32_e32 v5, v13, v2, vcc_lo
	v_cndmask_b32_e32 v1, v0, v1, vcc_lo
	v_perm_b32 v0, v4, v4, 0x3020104
	v_cmp_lt_i16_sdwa s10, sext(v6), sext(v7) src0_sel:BYTE_0 src1_sel:BYTE_0
	v_perm_b32 v2, v5, v5, 0x3020104
	s_and_saveexec_b32 s8, s10
; %bb.20:
	v_perm_b32 v1, v1, v1, 0x7050604
	v_perm_b32 v3, v3, v3, 0x7050604
	;; [unrolled: 1-line block ×4, first 2 shown]
; %bb.21:
	s_or_b32 exec_lo, exec_lo, s8
.LBB95_22:
	s_or_b32 exec_lo, exec_lo, s9
	v_and_b32_e32 v4, 0xf0, v8
	v_and_b32_e32 v12, 8, v8
	v_mad_u32_u24 v15, 0x201, v11, v8
	s_mov_b32 s9, 0
	s_mov_b32 s8, exec_lo
	v_min_i32_e32 v7, v10, v4
	v_min_i32_e32 v12, v10, v12
	; wave barrier
	ds_write_b64 v15, v[2:3]
	v_add_nc_u32_e32 v4, 8, v7
	; wave barrier
	v_min_i32_e32 v6, v10, v4
	v_add_nc_u32_e32 v4, 8, v6
	v_sub_nc_u32_e32 v14, v6, v7
	v_min_i32_e32 v5, v10, v4
	v_min_i32_e32 v14, v12, v14
	v_sub_nc_u32_e32 v4, v5, v6
	v_sub_nc_u32_e32 v13, v12, v4
	v_cmp_ge_i32_e32 vcc_lo, v12, v4
	v_mul_u32_u24_e32 v4, 0x201, v11
	v_cndmask_b32_e32 v13, 0, v13, vcc_lo
	v_cmpx_lt_i32_e64 v13, v14
	s_cbranch_execz .LBB95_26
; %bb.23:
	v_add_nc_u32_e32 v2, v4, v7
	v_add3_u32 v3, v4, v6, v12
	.p2align	6
.LBB95_24:                              ; =>This Inner Loop Header: Depth=1
	v_sub_nc_u32_e32 v11, v14, v13
	v_lshrrev_b32_e32 v11, 1, v11
	v_add_nc_u32_e32 v11, v11, v13
	v_add_nc_u32_e32 v15, v2, v11
	v_xad_u32 v16, v11, -1, v3
	v_add_nc_u32_e32 v17, 1, v11
	ds_read_i8 v15, v15
	ds_read_i8 v16, v16
	s_waitcnt lgkmcnt(0)
	v_cmp_lt_i16_e32 vcc_lo, v16, v15
	v_cndmask_b32_e32 v14, v14, v11, vcc_lo
	v_cndmask_b32_e32 v13, v17, v13, vcc_lo
	v_cmp_ge_i32_e32 vcc_lo, v13, v14
	s_or_b32 s9, vcc_lo, s9
	s_andn2_b32 exec_lo, exec_lo, s9
	s_cbranch_execnz .LBB95_24
; %bb.25:
	s_or_b32 exec_lo, exec_lo, s9
.LBB95_26:
	s_or_b32 exec_lo, exec_lo, s8
	v_add_nc_u32_e32 v3, v6, v12
	v_add_nc_u32_e32 v2, v13, v7
                                        ; implicit-def: $vgpr12
	v_sub_nc_u32_e32 v3, v3, v13
	v_add_nc_u32_e32 v13, v4, v2
	v_cmp_le_i32_e32 vcc_lo, v6, v2
	v_add_nc_u32_e32 v14, v4, v3
	v_cmp_gt_i32_e64 s9, v5, v3
	ds_read_u8 v7, v13
	ds_read_u8 v11, v14
	s_waitcnt lgkmcnt(1)
	v_bfe_i32 v7, v7, 0, 8
	s_waitcnt lgkmcnt(0)
	v_bfe_i32 v11, v11, 0, 8
	v_cmp_lt_i16_e64 s8, v11, v7
	s_or_b32 s8, vcc_lo, s8
	s_and_b32 s8, s9, s8
	s_xor_b32 s9, s8, -1
	s_and_saveexec_b32 s10, s9
	s_xor_b32 s9, exec_lo, s10
; %bb.27:
	ds_read_u8 v12, v13 offset:1
                                        ; implicit-def: $vgpr14
; %bb.28:
	s_or_saveexec_b32 s9, s9
	v_mov_b32_e32 v13, v11
	s_xor_b32 exec_lo, exec_lo, s9
	s_cbranch_execz .LBB95_30
; %bb.29:
	ds_read_u8 v13, v14 offset:1
	s_waitcnt lgkmcnt(1)
	v_mov_b32_e32 v12, v7
.LBB95_30:
	s_or_b32 exec_lo, exec_lo, s9
	v_add_nc_u32_e32 v14, 1, v2
	v_add_nc_u32_e32 v15, 1, v3
	s_waitcnt lgkmcnt(0)
	v_cmp_lt_i16_sdwa s10, sext(v13), sext(v12) src0_sel:BYTE_0 src1_sel:BYTE_0
                                        ; implicit-def: $vgpr16
	v_cndmask_b32_e64 v14, v14, v2, s8
	v_cndmask_b32_e64 v15, v3, v15, s8
	v_cmp_ge_i32_e32 vcc_lo, v14, v6
	v_cmp_lt_i32_e64 s9, v15, v5
	s_or_b32 s10, vcc_lo, s10
	s_and_b32 s9, s9, s10
	s_xor_b32 s10, s9, -1
	s_and_saveexec_b32 s11, s10
	s_xor_b32 s10, exec_lo, s11
; %bb.31:
	v_add_nc_u32_e32 v16, v4, v14
	ds_read_u8 v16, v16 offset:1
; %bb.32:
	s_or_saveexec_b32 s10, s10
	v_mov_b32_e32 v17, v13
	s_xor_b32 exec_lo, exec_lo, s10
	s_cbranch_execz .LBB95_34
; %bb.33:
	s_waitcnt lgkmcnt(0)
	v_add_nc_u32_e32 v16, v4, v15
	ds_read_u8 v17, v16 offset:1
	v_mov_b32_e32 v16, v12
.LBB95_34:
	s_or_b32 exec_lo, exec_lo, s10
	v_add_nc_u32_e32 v18, 1, v14
	v_add_nc_u32_e32 v19, 1, v15
	s_waitcnt lgkmcnt(0)
	v_cmp_lt_i16_sdwa s11, sext(v17), sext(v16) src0_sel:BYTE_0 src1_sel:BYTE_0
                                        ; implicit-def: $vgpr20
	v_cndmask_b32_e64 v18, v18, v14, s9
	v_cndmask_b32_e64 v19, v15, v19, s9
	v_cmp_ge_i32_e32 vcc_lo, v18, v6
	v_cmp_lt_i32_e64 s10, v19, v5
	s_or_b32 s11, vcc_lo, s11
	s_and_b32 s10, s10, s11
	s_xor_b32 s11, s10, -1
	s_and_saveexec_b32 s12, s11
	s_xor_b32 s11, exec_lo, s12
; %bb.35:
	v_add_nc_u32_e32 v20, v4, v18
	ds_read_u8 v20, v20 offset:1
; %bb.36:
	s_or_saveexec_b32 s11, s11
	v_mov_b32_e32 v21, v17
	s_xor_b32 exec_lo, exec_lo, s11
	s_cbranch_execz .LBB95_38
; %bb.37:
	s_waitcnt lgkmcnt(0)
	v_add_nc_u32_e32 v20, v4, v19
	ds_read_u8 v21, v20 offset:1
	v_mov_b32_e32 v20, v16
.LBB95_38:
	s_or_b32 exec_lo, exec_lo, s11
	v_add_nc_u32_e32 v22, 1, v18
	v_add_nc_u32_e32 v23, 1, v19
	s_waitcnt lgkmcnt(0)
	v_cmp_lt_i16_sdwa s12, sext(v21), sext(v20) src0_sel:BYTE_0 src1_sel:BYTE_0
                                        ; implicit-def: $vgpr24
	v_cndmask_b32_e64 v22, v22, v18, s10
	v_cndmask_b32_e64 v23, v19, v23, s10
	v_cmp_ge_i32_e32 vcc_lo, v22, v6
	v_cmp_lt_i32_e64 s11, v23, v5
	s_or_b32 s12, vcc_lo, s12
	s_and_b32 s11, s11, s12
	s_xor_b32 s12, s11, -1
	s_and_saveexec_b32 s13, s12
	s_xor_b32 s12, exec_lo, s13
; %bb.39:
	v_add_nc_u32_e32 v24, v4, v22
	ds_read_u8 v24, v24 offset:1
; %bb.40:
	s_or_saveexec_b32 s12, s12
	v_mov_b32_e32 v25, v21
	s_xor_b32 exec_lo, exec_lo, s12
	s_cbranch_execz .LBB95_42
; %bb.41:
	s_waitcnt lgkmcnt(0)
	v_add_nc_u32_e32 v24, v4, v23
	ds_read_u8 v25, v24 offset:1
	v_mov_b32_e32 v24, v20
.LBB95_42:
	s_or_b32 exec_lo, exec_lo, s12
	v_add_nc_u32_e32 v26, 1, v22
	v_add_nc_u32_e32 v27, 1, v23
	s_waitcnt lgkmcnt(0)
	v_cmp_lt_i16_sdwa s13, sext(v25), sext(v24) src0_sel:BYTE_0 src1_sel:BYTE_0
                                        ; implicit-def: $vgpr28
	v_cndmask_b32_e64 v26, v26, v22, s11
	v_cndmask_b32_e64 v27, v23, v27, s11
	v_cmp_ge_i32_e32 vcc_lo, v26, v6
	v_cmp_lt_i32_e64 s12, v27, v5
	s_or_b32 s13, vcc_lo, s13
	s_and_b32 s12, s12, s13
	s_xor_b32 s13, s12, -1
	s_and_saveexec_b32 s14, s13
	s_xor_b32 s13, exec_lo, s14
; %bb.43:
	v_add_nc_u32_e32 v28, v4, v26
	ds_read_u8 v28, v28 offset:1
; %bb.44:
	s_or_saveexec_b32 s13, s13
	v_mov_b32_e32 v29, v25
	s_xor_b32 exec_lo, exec_lo, s13
	s_cbranch_execz .LBB95_46
; %bb.45:
	s_waitcnt lgkmcnt(0)
	v_add_nc_u32_e32 v28, v4, v27
	ds_read_u8 v29, v28 offset:1
	v_mov_b32_e32 v28, v24
.LBB95_46:
	s_or_b32 exec_lo, exec_lo, s13
	v_add_nc_u32_e32 v30, 1, v26
	v_add_nc_u32_e32 v32, 1, v27
	s_waitcnt lgkmcnt(0)
	v_cmp_lt_i16_sdwa s14, sext(v29), sext(v28) src0_sel:BYTE_0 src1_sel:BYTE_0
                                        ; implicit-def: $vgpr34
	v_cndmask_b32_e64 v31, v30, v26, s12
	v_cndmask_b32_e64 v32, v27, v32, s12
	v_cmp_ge_i32_e32 vcc_lo, v31, v6
	v_cmp_lt_i32_e64 s13, v32, v5
	s_or_b32 s14, vcc_lo, s14
	s_and_b32 vcc_lo, s13, s14
	s_xor_b32 s13, vcc_lo, -1
	s_and_saveexec_b32 s14, s13
	s_xor_b32 s13, exec_lo, s14
; %bb.47:
	v_add_nc_u32_e32 v30, v4, v31
	ds_read_u8 v34, v30 offset:1
; %bb.48:
	s_or_saveexec_b32 s13, s13
	v_mov_b32_e32 v35, v29
	s_xor_b32 exec_lo, exec_lo, s13
	s_cbranch_execz .LBB95_50
; %bb.49:
	v_add_nc_u32_e32 v30, v4, v32
	s_waitcnt lgkmcnt(0)
	v_mov_b32_e32 v34, v28
	ds_read_u8 v35, v30 offset:1
.LBB95_50:
	s_or_b32 exec_lo, exec_lo, s13
	v_add_nc_u32_e32 v30, 1, v31
	v_add_nc_u32_e32 v33, 1, v32
	s_waitcnt lgkmcnt(0)
	v_cmp_lt_i16_sdwa s15, sext(v35), sext(v34) src0_sel:BYTE_0 src1_sel:BYTE_0
	v_cndmask_b32_e32 v36, v30, v31, vcc_lo
	v_cndmask_b32_e32 v37, v32, v33, vcc_lo
                                        ; implicit-def: $vgpr30
	v_cmp_ge_i32_e64 s13, v36, v6
	v_cmp_lt_i32_e64 s14, v37, v5
	s_or_b32 s13, s13, s15
	s_and_b32 s13, s14, s13
	s_xor_b32 s14, s13, -1
	s_and_saveexec_b32 s15, s14
	s_xor_b32 s14, exec_lo, s15
; %bb.51:
	v_add_nc_u32_e32 v30, v4, v36
	ds_read_u8 v30, v30 offset:1
; %bb.52:
	s_or_saveexec_b32 s14, s14
	v_mov_b32_e32 v33, v35
	s_xor_b32 exec_lo, exec_lo, s14
	s_cbranch_execz .LBB95_54
; %bb.53:
	s_waitcnt lgkmcnt(0)
	v_add_nc_u32_e32 v30, v4, v37
	ds_read_u8 v33, v30 offset:1
	v_mov_b32_e32 v30, v34
.LBB95_54:
	s_or_b32 exec_lo, exec_lo, s14
	v_add_nc_u32_e32 v38, 1, v37
	v_add_nc_u32_e32 v39, 1, v36
	v_cndmask_b32_e64 v34, v34, v35, s13
	v_cndmask_b32_sdwa v28, v28, v29, vcc_lo dst_sel:BYTE_1 dst_unused:UNUSED_PAD src0_sel:DWORD src1_sel:DWORD
	v_cndmask_b32_e32 v29, v31, v32, vcc_lo
	v_cndmask_b32_e64 v35, v37, v38, s13
	v_cndmask_b32_e64 v38, v39, v36, s13
	;; [unrolled: 1-line block ×4, first 2 shown]
	v_add_nc_u32_e32 v2, v4, v8
	v_cmp_ge_i32_e32 vcc_lo, v38, v6
	v_cndmask_b32_e64 v6, v14, v15, s9
	v_cmp_lt_i32_e64 s9, v35, v5
	v_and_b32_e32 v5, 0xe0, v8
	; wave barrier
	ds_write_b64 v2, v[0:1]
	v_cndmask_b32_e64 v17, v16, v17, s10
	v_cndmask_b32_e64 v16, v18, v19, s10
	v_min_i32_e32 v15, v10, v5
	s_waitcnt lgkmcnt(1)
	v_cmp_lt_i16_sdwa s10, sext(v33), sext(v30) src0_sel:BYTE_0 src1_sel:BYTE_0
	v_add_nc_u32_e32 v1, v4, v3
	v_add_nc_u32_e32 v3, v4, v6
	v_cndmask_b32_e64 v20, v20, v21, s11
	v_add_nc_u32_e32 v0, 16, v15
	s_or_b32 s10, vcc_lo, s10
	v_cndmask_b32_e64 v21, v22, v23, s11
	s_and_b32 vcc_lo, s9, s10
	v_cndmask_b32_e64 v24, v24, v25, s12
	v_min_i32_e32 v6, v10, v0
	v_cndmask_b32_e64 v25, v26, v27, s12
	v_cndmask_b32_e64 v36, v36, v37, s13
	v_cndmask_b32_e32 v5, v38, v35, vcc_lo
	v_cndmask_b32_e64 v18, v7, v11, s8
	v_add_nc_u32_e32 v0, 16, v6
	v_add_nc_u32_e32 v7, v4, v16
	;; [unrolled: 1-line block ×4, first 2 shown]
	; wave barrier
	v_add_nc_u32_e32 v16, v4, v29
	v_add_nc_u32_e32 v21, v4, v36
	;; [unrolled: 1-line block ×3, first 2 shown]
	v_lshlrev_b16 v23, 8, v12
	v_min_i32_e32 v14, v10, v0
	ds_read_u8 v0, v1
	ds_read_u8 v1, v3
	;; [unrolled: 1-line block ×8, first 2 shown]
	v_cndmask_b32_e32 v19, v30, v33, vcc_lo
	v_and_b32_e32 v25, 24, v8
	v_lshlrev_b16 v20, 8, v20
	v_sub_nc_u32_e32 v21, v14, v6
	v_or_b32_sdwa v18, v18, v23 dst_sel:DWORD dst_unused:UNUSED_PAD src0_sel:BYTE_0 src1_sel:DWORD
	v_lshlrev_b16 v19, 8, v19
	v_min_i32_e32 v16, v10, v25
	v_or_b32_sdwa v17, v17, v20 dst_sel:WORD_1 dst_unused:UNUSED_PAD src0_sel:BYTE_0 src1_sel:DWORD
	v_or_b32_sdwa v20, v24, v28 dst_sel:DWORD dst_unused:UNUSED_PAD src0_sel:BYTE_0 src1_sel:DWORD
	v_sub_nc_u32_e32 v23, v6, v15
	v_or_b32_sdwa v24, v34, v19 dst_sel:WORD_1 dst_unused:UNUSED_PAD src0_sel:BYTE_0 src1_sel:DWORD
	v_sub_nc_u32_e32 v22, v16, v21
	v_cmp_ge_i32_e32 vcc_lo, v16, v21
	v_or_b32_sdwa v19, v18, v17 dst_sel:DWORD dst_unused:UNUSED_PAD src0_sel:WORD_0 src1_sel:DWORD
	v_min_i32_e32 v18, v16, v23
	v_or_b32_sdwa v20, v20, v24 dst_sel:DWORD dst_unused:UNUSED_PAD src0_sel:WORD_0 src1_sel:DWORD
	s_mov_b32 s9, 0
	v_cndmask_b32_e32 v17, 0, v22, vcc_lo
	s_mov_b32 s8, exec_lo
	; wave barrier
	ds_write_b64 v2, v[19:20]
	; wave barrier
	v_cmpx_lt_i32_e64 v17, v18
	s_cbranch_execz .LBB95_58
; %bb.55:
	v_add_nc_u32_e32 v19, v4, v15
	v_add3_u32 v20, v4, v6, v16
	.p2align	6
.LBB95_56:                              ; =>This Inner Loop Header: Depth=1
	v_sub_nc_u32_e32 v21, v18, v17
	v_lshrrev_b32_e32 v21, 1, v21
	v_add_nc_u32_e32 v21, v21, v17
	v_add_nc_u32_e32 v22, v19, v21
	v_xad_u32 v23, v21, -1, v20
	v_add_nc_u32_e32 v24, 1, v21
	ds_read_i8 v22, v22
	ds_read_i8 v23, v23
	s_waitcnt lgkmcnt(0)
	v_cmp_lt_i16_e32 vcc_lo, v23, v22
	v_cndmask_b32_e32 v18, v18, v21, vcc_lo
	v_cndmask_b32_e32 v17, v24, v17, vcc_lo
	v_cmp_ge_i32_e32 vcc_lo, v17, v18
	s_or_b32 s9, vcc_lo, s9
	s_andn2_b32 exec_lo, exec_lo, s9
	s_cbranch_execnz .LBB95_56
; %bb.57:
	s_or_b32 exec_lo, exec_lo, s9
.LBB95_58:
	s_or_b32 exec_lo, exec_lo, s8
	v_add_nc_u32_e32 v16, v6, v16
	v_add_nc_u32_e32 v15, v17, v15
                                        ; implicit-def: $vgpr19
	v_sub_nc_u32_e32 v16, v16, v17
	v_add_nc_u32_e32 v20, v4, v15
	v_cmp_le_i32_e32 vcc_lo, v6, v15
	v_add_nc_u32_e32 v21, v4, v16
	v_cmp_gt_i32_e64 s9, v14, v16
	ds_read_u8 v17, v20
	ds_read_u8 v18, v21
	s_waitcnt lgkmcnt(1)
	v_bfe_i32 v17, v17, 0, 8
	s_waitcnt lgkmcnt(0)
	v_bfe_i32 v18, v18, 0, 8
	v_cmp_lt_i16_e64 s8, v18, v17
	s_or_b32 s8, vcc_lo, s8
	s_and_b32 s8, s9, s8
	s_xor_b32 s9, s8, -1
	s_and_saveexec_b32 s10, s9
	s_xor_b32 s9, exec_lo, s10
; %bb.59:
	ds_read_u8 v19, v20 offset:1
                                        ; implicit-def: $vgpr21
; %bb.60:
	s_or_saveexec_b32 s9, s9
	v_mov_b32_e32 v20, v18
	s_xor_b32 exec_lo, exec_lo, s9
	s_cbranch_execz .LBB95_62
; %bb.61:
	ds_read_u8 v20, v21 offset:1
	s_waitcnt lgkmcnt(1)
	v_mov_b32_e32 v19, v17
.LBB95_62:
	s_or_b32 exec_lo, exec_lo, s9
	v_add_nc_u32_e32 v21, 1, v15
	v_add_nc_u32_e32 v22, 1, v16
	s_waitcnt lgkmcnt(0)
	v_cmp_lt_i16_sdwa s10, sext(v20), sext(v19) src0_sel:BYTE_0 src1_sel:BYTE_0
                                        ; implicit-def: $vgpr23
	v_cndmask_b32_e64 v21, v21, v15, s8
	v_cndmask_b32_e64 v22, v16, v22, s8
	v_cmp_ge_i32_e32 vcc_lo, v21, v6
	v_cmp_lt_i32_e64 s9, v22, v14
	s_or_b32 s10, vcc_lo, s10
	s_and_b32 s9, s9, s10
	s_xor_b32 s10, s9, -1
	s_and_saveexec_b32 s11, s10
	s_xor_b32 s10, exec_lo, s11
; %bb.63:
	v_add_nc_u32_e32 v23, v4, v21
	ds_read_u8 v23, v23 offset:1
; %bb.64:
	s_or_saveexec_b32 s10, s10
	v_mov_b32_e32 v24, v20
	s_xor_b32 exec_lo, exec_lo, s10
	s_cbranch_execz .LBB95_66
; %bb.65:
	s_waitcnt lgkmcnt(0)
	v_add_nc_u32_e32 v23, v4, v22
	ds_read_u8 v24, v23 offset:1
	v_mov_b32_e32 v23, v19
.LBB95_66:
	s_or_b32 exec_lo, exec_lo, s10
	v_add_nc_u32_e32 v25, 1, v21
	v_add_nc_u32_e32 v26, 1, v22
	s_waitcnt lgkmcnt(0)
	v_cmp_lt_i16_sdwa s11, sext(v24), sext(v23) src0_sel:BYTE_0 src1_sel:BYTE_0
                                        ; implicit-def: $vgpr27
	v_cndmask_b32_e64 v25, v25, v21, s9
	v_cndmask_b32_e64 v26, v22, v26, s9
	v_cmp_ge_i32_e32 vcc_lo, v25, v6
	v_cmp_lt_i32_e64 s10, v26, v14
	s_or_b32 s11, vcc_lo, s11
	s_and_b32 s10, s10, s11
	s_xor_b32 s11, s10, -1
	s_and_saveexec_b32 s12, s11
	s_xor_b32 s11, exec_lo, s12
; %bb.67:
	v_add_nc_u32_e32 v27, v4, v25
	ds_read_u8 v27, v27 offset:1
; %bb.68:
	s_or_saveexec_b32 s11, s11
	v_mov_b32_e32 v28, v24
	s_xor_b32 exec_lo, exec_lo, s11
	s_cbranch_execz .LBB95_70
; %bb.69:
	s_waitcnt lgkmcnt(0)
	v_add_nc_u32_e32 v27, v4, v26
	ds_read_u8 v28, v27 offset:1
	v_mov_b32_e32 v27, v23
.LBB95_70:
	s_or_b32 exec_lo, exec_lo, s11
	v_add_nc_u32_e32 v29, 1, v25
	v_add_nc_u32_e32 v30, 1, v26
	s_waitcnt lgkmcnt(0)
	v_cmp_lt_i16_sdwa s12, sext(v28), sext(v27) src0_sel:BYTE_0 src1_sel:BYTE_0
                                        ; implicit-def: $vgpr31
	v_cndmask_b32_e64 v29, v29, v25, s10
	v_cndmask_b32_e64 v30, v26, v30, s10
	v_cmp_ge_i32_e32 vcc_lo, v29, v6
	v_cmp_lt_i32_e64 s11, v30, v14
	s_or_b32 s12, vcc_lo, s12
	s_and_b32 s11, s11, s12
	s_xor_b32 s12, s11, -1
	s_and_saveexec_b32 s13, s12
	s_xor_b32 s12, exec_lo, s13
; %bb.71:
	v_add_nc_u32_e32 v31, v4, v29
	ds_read_u8 v31, v31 offset:1
; %bb.72:
	s_or_saveexec_b32 s12, s12
	v_mov_b32_e32 v32, v28
	s_xor_b32 exec_lo, exec_lo, s12
	s_cbranch_execz .LBB95_74
; %bb.73:
	s_waitcnt lgkmcnt(0)
	v_add_nc_u32_e32 v31, v4, v30
	ds_read_u8 v32, v31 offset:1
	v_mov_b32_e32 v31, v27
.LBB95_74:
	s_or_b32 exec_lo, exec_lo, s12
	v_add_nc_u32_e32 v33, 1, v29
	v_add_nc_u32_e32 v34, 1, v30
	s_waitcnt lgkmcnt(0)
	v_cmp_lt_i16_sdwa s13, sext(v32), sext(v31) src0_sel:BYTE_0 src1_sel:BYTE_0
                                        ; implicit-def: $vgpr35
	v_cndmask_b32_e64 v33, v33, v29, s11
	v_cndmask_b32_e64 v34, v30, v34, s11
	v_cmp_ge_i32_e32 vcc_lo, v33, v6
	v_cmp_lt_i32_e64 s12, v34, v14
	s_or_b32 s13, vcc_lo, s13
	s_and_b32 s12, s12, s13
	s_xor_b32 s13, s12, -1
	s_and_saveexec_b32 s14, s13
	s_xor_b32 s13, exec_lo, s14
; %bb.75:
	v_add_nc_u32_e32 v35, v4, v33
	ds_read_u8 v35, v35 offset:1
; %bb.76:
	s_or_saveexec_b32 s13, s13
	v_mov_b32_e32 v37, v32
	s_xor_b32 exec_lo, exec_lo, s13
	s_cbranch_execz .LBB95_78
; %bb.77:
	s_waitcnt lgkmcnt(0)
	v_add_nc_u32_e32 v35, v4, v34
	ds_read_u8 v37, v35 offset:1
	v_mov_b32_e32 v35, v31
.LBB95_78:
	s_or_b32 exec_lo, exec_lo, s13
	v_add_nc_u32_e32 v36, 1, v33
	v_add_nc_u32_e32 v38, 1, v34
	s_waitcnt lgkmcnt(0)
	v_cmp_lt_i16_sdwa s14, sext(v37), sext(v35) src0_sel:BYTE_0 src1_sel:BYTE_0
                                        ; implicit-def: $vgpr41
	v_cndmask_b32_e64 v39, v36, v33, s12
	v_cndmask_b32_e64 v40, v34, v38, s12
	v_cmp_ge_i32_e32 vcc_lo, v39, v6
	v_cmp_lt_i32_e64 s13, v40, v14
	s_or_b32 s14, vcc_lo, s14
	s_and_b32 vcc_lo, s13, s14
	s_xor_b32 s13, vcc_lo, -1
	s_and_saveexec_b32 s14, s13
	s_xor_b32 s13, exec_lo, s14
; %bb.79:
	v_add_nc_u32_e32 v36, v4, v39
	ds_read_u8 v41, v36 offset:1
; %bb.80:
	s_or_saveexec_b32 s13, s13
	v_mov_b32_e32 v42, v37
	s_xor_b32 exec_lo, exec_lo, s13
	s_cbranch_execz .LBB95_82
; %bb.81:
	v_add_nc_u32_e32 v36, v4, v40
	s_waitcnt lgkmcnt(0)
	v_mov_b32_e32 v41, v35
	ds_read_u8 v42, v36 offset:1
.LBB95_82:
	s_or_b32 exec_lo, exec_lo, s13
	v_add_nc_u32_e32 v36, 1, v39
	v_add_nc_u32_e32 v38, 1, v40
	s_waitcnt lgkmcnt(0)
	v_cmp_lt_i16_sdwa s15, sext(v42), sext(v41) src0_sel:BYTE_0 src1_sel:BYTE_0
	v_cndmask_b32_e32 v43, v36, v39, vcc_lo
	v_cndmask_b32_e32 v44, v40, v38, vcc_lo
                                        ; implicit-def: $vgpr36
	v_cmp_ge_i32_e64 s13, v43, v6
	v_cmp_lt_i32_e64 s14, v44, v14
	s_or_b32 s13, s13, s15
	s_and_b32 s13, s14, s13
	s_xor_b32 s14, s13, -1
	s_and_saveexec_b32 s15, s14
	s_xor_b32 s14, exec_lo, s15
; %bb.83:
	v_add_nc_u32_e32 v36, v4, v43
	ds_read_u8 v36, v36 offset:1
; %bb.84:
	s_or_saveexec_b32 s14, s14
	v_mov_b32_e32 v38, v42
	s_xor_b32 exec_lo, exec_lo, s14
	s_cbranch_execz .LBB95_86
; %bb.85:
	s_waitcnt lgkmcnt(0)
	v_add_nc_u32_e32 v36, v4, v44
	ds_read_u8 v38, v36 offset:1
	v_mov_b32_e32 v36, v41
.LBB95_86:
	s_or_b32 exec_lo, exec_lo, s14
	v_add_nc_u32_e32 v45, 1, v44
	v_add_nc_u32_e32 v46, 1, v43
	v_perm_b32 v7, v7, v11, 0xc0c0004
	v_perm_b32 v11, v12, v13, 0xc0c0004
	;; [unrolled: 1-line block ×4, first 2 shown]
	v_and_b32_e32 v5, 0xc0, v8
	v_cndmask_b32_e64 v41, v41, v42, s13
	v_cndmask_b32_e64 v42, v44, v45, s13
	;; [unrolled: 1-line block ×4, first 2 shown]
	v_lshl_or_b32 v1, v11, 16, v7
	v_lshl_or_b32 v0, v3, 16, v0
	v_min_i32_e32 v15, v10, v5
	v_cndmask_b32_sdwa v35, v35, v37, vcc_lo dst_sel:BYTE_1 dst_unused:UNUSED_PAD src0_sel:DWORD src1_sel:DWORD
	v_cndmask_b32_e32 v37, v39, v40, vcc_lo
	v_cmp_ge_i32_e32 vcc_lo, v45, v6
	v_cndmask_b32_e64 v6, v21, v22, s9
	; wave barrier
	ds_write_b64 v2, v[0:1]
	v_add_nc_u32_e32 v0, 32, v15
	v_cndmask_b32_e64 v23, v23, v24, s10
	v_cndmask_b32_e64 v24, v25, v26, s10
	s_waitcnt lgkmcnt(1)
	v_cmp_lt_i16_sdwa s10, sext(v38), sext(v36) src0_sel:BYTE_0 src1_sel:BYTE_0
	v_cndmask_b32_e64 v17, v17, v18, s8
	v_cmp_lt_i32_e64 s8, v42, v14
	v_add_nc_u32_e32 v5, v4, v6
	v_min_i32_e32 v6, v10, v0
	v_cndmask_b32_e64 v19, v19, v20, s9
	s_or_b32 s9, vcc_lo, s10
	v_cndmask_b32_e64 v27, v27, v28, s11
	v_cndmask_b32_e64 v28, v29, v30, s11
	s_and_b32 vcc_lo, s8, s9
	v_cndmask_b32_e64 v31, v31, v32, s12
	v_cndmask_b32_e64 v32, v33, v34, s12
	;; [unrolled: 1-line block ×3, first 2 shown]
	v_cndmask_b32_e32 v3, v45, v42, vcc_lo
	v_add_nc_u32_e32 v1, v4, v16
	v_add_nc_u32_e32 v0, 32, v6
	;; [unrolled: 1-line block ×6, first 2 shown]
	; wave barrier
	v_add_nc_u32_e32 v16, v4, v43
	v_add_nc_u32_e32 v20, v4, v3
	v_min_i32_e32 v14, v10, v0
	ds_read_u8 v0, v1
	ds_read_u8 v1, v5
	ds_read_u8 v3, v7
	ds_read_u8 v5, v11
	ds_read_u8 v7, v12
	ds_read_u8 v11, v13
	ds_read_u8 v12, v16
	ds_read_u8 v13, v20
	v_cndmask_b32_e32 v18, v36, v38, vcc_lo
	v_and_b32_e32 v21, 56, v8
	v_lshlrev_b16 v19, 8, v19
	v_lshlrev_b16 v20, 8, v27
	s_mov_b32 s9, 0
	v_lshlrev_b16 v18, 8, v18
	v_min_i32_e32 v16, v10, v21
	v_sub_nc_u32_e32 v21, v14, v6
	v_or_b32_sdwa v17, v17, v19 dst_sel:DWORD dst_unused:UNUSED_PAD src0_sel:BYTE_0 src1_sel:DWORD
	v_or_b32_sdwa v19, v23, v20 dst_sel:WORD_1 dst_unused:UNUSED_PAD src0_sel:BYTE_0 src1_sel:DWORD
	v_or_b32_sdwa v20, v31, v35 dst_sel:DWORD dst_unused:UNUSED_PAD src0_sel:BYTE_0 src1_sel:DWORD
	v_sub_nc_u32_e32 v23, v6, v15
	v_sub_nc_u32_e32 v22, v16, v21
	v_or_b32_sdwa v24, v41, v18 dst_sel:WORD_1 dst_unused:UNUSED_PAD src0_sel:BYTE_0 src1_sel:DWORD
	v_cmp_ge_i32_e32 vcc_lo, v16, v21
	v_or_b32_sdwa v19, v17, v19 dst_sel:DWORD dst_unused:UNUSED_PAD src0_sel:WORD_0 src1_sel:DWORD
	v_min_i32_e32 v18, v16, v23
	s_mov_b32 s8, exec_lo
	v_or_b32_sdwa v20, v20, v24 dst_sel:DWORD dst_unused:UNUSED_PAD src0_sel:WORD_0 src1_sel:DWORD
	v_cndmask_b32_e32 v17, 0, v22, vcc_lo
	; wave barrier
	ds_write_b64 v2, v[19:20]
	; wave barrier
	v_cmpx_lt_i32_e64 v17, v18
	s_cbranch_execz .LBB95_90
; %bb.87:
	v_add_nc_u32_e32 v19, v4, v15
	v_add3_u32 v20, v4, v6, v16
	.p2align	6
.LBB95_88:                              ; =>This Inner Loop Header: Depth=1
	v_sub_nc_u32_e32 v21, v18, v17
	v_lshrrev_b32_e32 v21, 1, v21
	v_add_nc_u32_e32 v21, v21, v17
	v_add_nc_u32_e32 v22, v19, v21
	v_xad_u32 v23, v21, -1, v20
	v_add_nc_u32_e32 v24, 1, v21
	ds_read_i8 v22, v22
	ds_read_i8 v23, v23
	s_waitcnt lgkmcnt(0)
	v_cmp_lt_i16_e32 vcc_lo, v23, v22
	v_cndmask_b32_e32 v18, v18, v21, vcc_lo
	v_cndmask_b32_e32 v17, v24, v17, vcc_lo
	v_cmp_ge_i32_e32 vcc_lo, v17, v18
	s_or_b32 s9, vcc_lo, s9
	s_andn2_b32 exec_lo, exec_lo, s9
	s_cbranch_execnz .LBB95_88
; %bb.89:
	s_or_b32 exec_lo, exec_lo, s9
.LBB95_90:
	s_or_b32 exec_lo, exec_lo, s8
	v_add_nc_u32_e32 v16, v6, v16
	v_add_nc_u32_e32 v15, v17, v15
                                        ; implicit-def: $vgpr19
	v_sub_nc_u32_e32 v16, v16, v17
	v_add_nc_u32_e32 v20, v4, v15
	v_cmp_le_i32_e32 vcc_lo, v6, v15
	v_add_nc_u32_e32 v21, v4, v16
	v_cmp_gt_i32_e64 s9, v14, v16
	ds_read_u8 v17, v20
	ds_read_u8 v18, v21
	s_waitcnt lgkmcnt(1)
	v_bfe_i32 v17, v17, 0, 8
	s_waitcnt lgkmcnt(0)
	v_bfe_i32 v18, v18, 0, 8
	v_cmp_lt_i16_e64 s8, v18, v17
	s_or_b32 s8, vcc_lo, s8
	s_and_b32 s8, s9, s8
	s_xor_b32 s9, s8, -1
	s_and_saveexec_b32 s10, s9
	s_xor_b32 s9, exec_lo, s10
; %bb.91:
	ds_read_u8 v19, v20 offset:1
                                        ; implicit-def: $vgpr21
; %bb.92:
	s_or_saveexec_b32 s9, s9
	v_mov_b32_e32 v20, v18
	s_xor_b32 exec_lo, exec_lo, s9
	s_cbranch_execz .LBB95_94
; %bb.93:
	ds_read_u8 v20, v21 offset:1
	s_waitcnt lgkmcnt(1)
	v_mov_b32_e32 v19, v17
.LBB95_94:
	s_or_b32 exec_lo, exec_lo, s9
	v_add_nc_u32_e32 v21, 1, v15
	v_add_nc_u32_e32 v22, 1, v16
	s_waitcnt lgkmcnt(0)
	v_cmp_lt_i16_sdwa s10, sext(v20), sext(v19) src0_sel:BYTE_0 src1_sel:BYTE_0
                                        ; implicit-def: $vgpr23
	v_cndmask_b32_e64 v21, v21, v15, s8
	v_cndmask_b32_e64 v22, v16, v22, s8
	v_cmp_ge_i32_e32 vcc_lo, v21, v6
	v_cmp_lt_i32_e64 s9, v22, v14
	s_or_b32 s10, vcc_lo, s10
	s_and_b32 s9, s9, s10
	s_xor_b32 s10, s9, -1
	s_and_saveexec_b32 s11, s10
	s_xor_b32 s10, exec_lo, s11
; %bb.95:
	v_add_nc_u32_e32 v23, v4, v21
	ds_read_u8 v23, v23 offset:1
; %bb.96:
	s_or_saveexec_b32 s10, s10
	v_mov_b32_e32 v24, v20
	s_xor_b32 exec_lo, exec_lo, s10
	s_cbranch_execz .LBB95_98
; %bb.97:
	s_waitcnt lgkmcnt(0)
	v_add_nc_u32_e32 v23, v4, v22
	ds_read_u8 v24, v23 offset:1
	v_mov_b32_e32 v23, v19
.LBB95_98:
	s_or_b32 exec_lo, exec_lo, s10
	v_add_nc_u32_e32 v25, 1, v21
	v_add_nc_u32_e32 v26, 1, v22
	s_waitcnt lgkmcnt(0)
	v_cmp_lt_i16_sdwa s11, sext(v24), sext(v23) src0_sel:BYTE_0 src1_sel:BYTE_0
                                        ; implicit-def: $vgpr27
	v_cndmask_b32_e64 v25, v25, v21, s9
	v_cndmask_b32_e64 v26, v22, v26, s9
	v_cmp_ge_i32_e32 vcc_lo, v25, v6
	v_cmp_lt_i32_e64 s10, v26, v14
	s_or_b32 s11, vcc_lo, s11
	s_and_b32 s10, s10, s11
	s_xor_b32 s11, s10, -1
	s_and_saveexec_b32 s12, s11
	s_xor_b32 s11, exec_lo, s12
; %bb.99:
	v_add_nc_u32_e32 v27, v4, v25
	ds_read_u8 v27, v27 offset:1
; %bb.100:
	s_or_saveexec_b32 s11, s11
	v_mov_b32_e32 v28, v24
	s_xor_b32 exec_lo, exec_lo, s11
	s_cbranch_execz .LBB95_102
; %bb.101:
	s_waitcnt lgkmcnt(0)
	v_add_nc_u32_e32 v27, v4, v26
	ds_read_u8 v28, v27 offset:1
	v_mov_b32_e32 v27, v23
.LBB95_102:
	s_or_b32 exec_lo, exec_lo, s11
	v_add_nc_u32_e32 v29, 1, v25
	v_add_nc_u32_e32 v30, 1, v26
	s_waitcnt lgkmcnt(0)
	v_cmp_lt_i16_sdwa s12, sext(v28), sext(v27) src0_sel:BYTE_0 src1_sel:BYTE_0
                                        ; implicit-def: $vgpr31
	v_cndmask_b32_e64 v29, v29, v25, s10
	v_cndmask_b32_e64 v30, v26, v30, s10
	v_cmp_ge_i32_e32 vcc_lo, v29, v6
	v_cmp_lt_i32_e64 s11, v30, v14
	s_or_b32 s12, vcc_lo, s12
	s_and_b32 s11, s11, s12
	s_xor_b32 s12, s11, -1
	s_and_saveexec_b32 s13, s12
	s_xor_b32 s12, exec_lo, s13
; %bb.103:
	v_add_nc_u32_e32 v31, v4, v29
	ds_read_u8 v31, v31 offset:1
; %bb.104:
	s_or_saveexec_b32 s12, s12
	v_mov_b32_e32 v32, v28
	s_xor_b32 exec_lo, exec_lo, s12
	s_cbranch_execz .LBB95_106
; %bb.105:
	s_waitcnt lgkmcnt(0)
	v_add_nc_u32_e32 v31, v4, v30
	ds_read_u8 v32, v31 offset:1
	v_mov_b32_e32 v31, v27
.LBB95_106:
	s_or_b32 exec_lo, exec_lo, s12
	v_add_nc_u32_e32 v33, 1, v29
	v_add_nc_u32_e32 v34, 1, v30
	s_waitcnt lgkmcnt(0)
	v_cmp_lt_i16_sdwa s13, sext(v32), sext(v31) src0_sel:BYTE_0 src1_sel:BYTE_0
                                        ; implicit-def: $vgpr35
	v_cndmask_b32_e64 v33, v33, v29, s11
	v_cndmask_b32_e64 v34, v30, v34, s11
	v_cmp_ge_i32_e32 vcc_lo, v33, v6
	v_cmp_lt_i32_e64 s12, v34, v14
	s_or_b32 s13, vcc_lo, s13
	s_and_b32 s12, s12, s13
	s_xor_b32 s13, s12, -1
	s_and_saveexec_b32 s14, s13
	s_xor_b32 s13, exec_lo, s14
; %bb.107:
	v_add_nc_u32_e32 v35, v4, v33
	ds_read_u8 v35, v35 offset:1
; %bb.108:
	s_or_saveexec_b32 s13, s13
	v_mov_b32_e32 v37, v32
	s_xor_b32 exec_lo, exec_lo, s13
	s_cbranch_execz .LBB95_110
; %bb.109:
	s_waitcnt lgkmcnt(0)
	v_add_nc_u32_e32 v35, v4, v34
	ds_read_u8 v37, v35 offset:1
	v_mov_b32_e32 v35, v31
.LBB95_110:
	s_or_b32 exec_lo, exec_lo, s13
	v_add_nc_u32_e32 v36, 1, v33
	v_add_nc_u32_e32 v38, 1, v34
	s_waitcnt lgkmcnt(0)
	v_cmp_lt_i16_sdwa s14, sext(v37), sext(v35) src0_sel:BYTE_0 src1_sel:BYTE_0
                                        ; implicit-def: $vgpr41
	v_cndmask_b32_e64 v39, v36, v33, s12
	v_cndmask_b32_e64 v40, v34, v38, s12
	v_cmp_ge_i32_e32 vcc_lo, v39, v6
	v_cmp_lt_i32_e64 s13, v40, v14
	s_or_b32 s14, vcc_lo, s14
	s_and_b32 vcc_lo, s13, s14
	s_xor_b32 s13, vcc_lo, -1
	s_and_saveexec_b32 s14, s13
	s_xor_b32 s13, exec_lo, s14
; %bb.111:
	v_add_nc_u32_e32 v36, v4, v39
	ds_read_u8 v41, v36 offset:1
; %bb.112:
	s_or_saveexec_b32 s13, s13
	v_mov_b32_e32 v42, v37
	s_xor_b32 exec_lo, exec_lo, s13
	s_cbranch_execz .LBB95_114
; %bb.113:
	v_add_nc_u32_e32 v36, v4, v40
	s_waitcnt lgkmcnt(0)
	v_mov_b32_e32 v41, v35
	ds_read_u8 v42, v36 offset:1
.LBB95_114:
	s_or_b32 exec_lo, exec_lo, s13
	v_add_nc_u32_e32 v36, 1, v39
	v_add_nc_u32_e32 v38, 1, v40
	s_waitcnt lgkmcnt(0)
	v_cmp_lt_i16_sdwa s15, sext(v42), sext(v41) src0_sel:BYTE_0 src1_sel:BYTE_0
	v_cndmask_b32_e32 v43, v36, v39, vcc_lo
	v_cndmask_b32_e32 v44, v40, v38, vcc_lo
                                        ; implicit-def: $vgpr36
	v_cmp_ge_i32_e64 s13, v43, v6
	v_cmp_lt_i32_e64 s14, v44, v14
	s_or_b32 s13, s13, s15
	s_and_b32 s13, s14, s13
	s_xor_b32 s14, s13, -1
	s_and_saveexec_b32 s15, s14
	s_xor_b32 s14, exec_lo, s15
; %bb.115:
	v_add_nc_u32_e32 v36, v4, v43
	ds_read_u8 v36, v36 offset:1
; %bb.116:
	s_or_saveexec_b32 s14, s14
	v_mov_b32_e32 v38, v42
	s_xor_b32 exec_lo, exec_lo, s14
	s_cbranch_execz .LBB95_118
; %bb.117:
	s_waitcnt lgkmcnt(0)
	v_add_nc_u32_e32 v36, v4, v44
	ds_read_u8 v38, v36 offset:1
	v_mov_b32_e32 v36, v41
.LBB95_118:
	s_or_b32 exec_lo, exec_lo, s14
	v_add_nc_u32_e32 v45, 1, v44
	v_add_nc_u32_e32 v46, 1, v43
	v_perm_b32 v7, v7, v11, 0xc0c0004
	v_perm_b32 v11, v12, v13, 0xc0c0004
	;; [unrolled: 1-line block ×4, first 2 shown]
	v_and_b32_e32 v5, 0x80, v8
	v_cndmask_b32_e64 v41, v41, v42, s13
	v_cndmask_b32_e64 v42, v44, v45, s13
	;; [unrolled: 1-line block ×4, first 2 shown]
	v_lshl_or_b32 v1, v11, 16, v7
	v_lshl_or_b32 v0, v3, 16, v0
	v_min_i32_e32 v15, v10, v5
	v_cndmask_b32_sdwa v35, v35, v37, vcc_lo dst_sel:BYTE_1 dst_unused:UNUSED_PAD src0_sel:DWORD src1_sel:DWORD
	v_cndmask_b32_e32 v37, v39, v40, vcc_lo
	v_cmp_ge_i32_e32 vcc_lo, v45, v6
	v_cndmask_b32_e64 v6, v21, v22, s9
	; wave barrier
	ds_write_b64 v2, v[0:1]
	v_add_nc_u32_e32 v0, 64, v15
	v_cndmask_b32_e64 v23, v23, v24, s10
	v_cndmask_b32_e64 v24, v25, v26, s10
	s_waitcnt lgkmcnt(1)
	v_cmp_lt_i16_sdwa s10, sext(v38), sext(v36) src0_sel:BYTE_0 src1_sel:BYTE_0
	v_cndmask_b32_e64 v17, v17, v18, s8
	v_cmp_lt_i32_e64 s8, v42, v14
	v_add_nc_u32_e32 v5, v4, v6
	v_min_i32_e32 v6, v10, v0
	v_cndmask_b32_e64 v19, v19, v20, s9
	s_or_b32 s9, vcc_lo, s10
	v_cndmask_b32_e64 v27, v27, v28, s11
	v_cndmask_b32_e64 v28, v29, v30, s11
	s_and_b32 vcc_lo, s8, s9
	v_cndmask_b32_e64 v31, v31, v32, s12
	v_cndmask_b32_e64 v32, v33, v34, s12
	;; [unrolled: 1-line block ×3, first 2 shown]
	v_cndmask_b32_e32 v3, v45, v42, vcc_lo
	v_add_nc_u32_e32 v1, v4, v16
	v_add_nc_u32_e32 v0, 64, v6
	;; [unrolled: 1-line block ×6, first 2 shown]
	; wave barrier
	v_add_nc_u32_e32 v16, v4, v43
	v_add_nc_u32_e32 v20, v4, v3
	v_min_i32_e32 v14, v10, v0
	ds_read_u8 v0, v1
	ds_read_u8 v1, v5
	;; [unrolled: 1-line block ×8, first 2 shown]
	v_cndmask_b32_e32 v18, v36, v38, vcc_lo
	v_and_b32_e32 v21, 0x78, v8
	v_lshlrev_b16 v19, 8, v19
	v_lshlrev_b16 v20, 8, v27
	s_mov_b32 s9, 0
	v_lshlrev_b16 v18, 8, v18
	v_min_i32_e32 v16, v10, v21
	v_sub_nc_u32_e32 v21, v14, v6
	v_or_b32_sdwa v17, v17, v19 dst_sel:DWORD dst_unused:UNUSED_PAD src0_sel:BYTE_0 src1_sel:DWORD
	v_or_b32_sdwa v19, v23, v20 dst_sel:WORD_1 dst_unused:UNUSED_PAD src0_sel:BYTE_0 src1_sel:DWORD
	v_or_b32_sdwa v20, v31, v35 dst_sel:DWORD dst_unused:UNUSED_PAD src0_sel:BYTE_0 src1_sel:DWORD
	v_sub_nc_u32_e32 v23, v6, v15
	v_sub_nc_u32_e32 v22, v16, v21
	v_or_b32_sdwa v24, v41, v18 dst_sel:WORD_1 dst_unused:UNUSED_PAD src0_sel:BYTE_0 src1_sel:DWORD
	v_cmp_ge_i32_e32 vcc_lo, v16, v21
	v_or_b32_sdwa v19, v17, v19 dst_sel:DWORD dst_unused:UNUSED_PAD src0_sel:WORD_0 src1_sel:DWORD
	v_min_i32_e32 v18, v16, v23
	s_mov_b32 s8, exec_lo
	v_or_b32_sdwa v20, v20, v24 dst_sel:DWORD dst_unused:UNUSED_PAD src0_sel:WORD_0 src1_sel:DWORD
	v_cndmask_b32_e32 v17, 0, v22, vcc_lo
	; wave barrier
	ds_write_b64 v2, v[19:20]
	; wave barrier
	v_cmpx_lt_i32_e64 v17, v18
	s_cbranch_execz .LBB95_122
; %bb.119:
	v_add_nc_u32_e32 v19, v4, v15
	v_add3_u32 v20, v4, v6, v16
	.p2align	6
.LBB95_120:                             ; =>This Inner Loop Header: Depth=1
	v_sub_nc_u32_e32 v21, v18, v17
	v_lshrrev_b32_e32 v21, 1, v21
	v_add_nc_u32_e32 v21, v21, v17
	v_add_nc_u32_e32 v22, v19, v21
	v_xad_u32 v23, v21, -1, v20
	v_add_nc_u32_e32 v24, 1, v21
	ds_read_i8 v22, v22
	ds_read_i8 v23, v23
	s_waitcnt lgkmcnt(0)
	v_cmp_lt_i16_e32 vcc_lo, v23, v22
	v_cndmask_b32_e32 v18, v18, v21, vcc_lo
	v_cndmask_b32_e32 v17, v24, v17, vcc_lo
	v_cmp_ge_i32_e32 vcc_lo, v17, v18
	s_or_b32 s9, vcc_lo, s9
	s_andn2_b32 exec_lo, exec_lo, s9
	s_cbranch_execnz .LBB95_120
; %bb.121:
	s_or_b32 exec_lo, exec_lo, s9
.LBB95_122:
	s_or_b32 exec_lo, exec_lo, s8
	v_add_nc_u32_e32 v16, v6, v16
	v_add_nc_u32_e32 v15, v17, v15
                                        ; implicit-def: $vgpr19
	v_sub_nc_u32_e32 v16, v16, v17
	v_add_nc_u32_e32 v20, v4, v15
	v_cmp_le_i32_e32 vcc_lo, v6, v15
	v_add_nc_u32_e32 v21, v4, v16
	v_cmp_gt_i32_e64 s9, v14, v16
	ds_read_u8 v17, v20
	ds_read_u8 v18, v21
	s_waitcnt lgkmcnt(1)
	v_bfe_i32 v17, v17, 0, 8
	s_waitcnt lgkmcnt(0)
	v_bfe_i32 v18, v18, 0, 8
	v_cmp_lt_i16_e64 s8, v18, v17
	s_or_b32 s8, vcc_lo, s8
	s_and_b32 s8, s9, s8
	s_xor_b32 s9, s8, -1
	s_and_saveexec_b32 s10, s9
	s_xor_b32 s9, exec_lo, s10
; %bb.123:
	ds_read_u8 v19, v20 offset:1
                                        ; implicit-def: $vgpr21
; %bb.124:
	s_or_saveexec_b32 s9, s9
	v_mov_b32_e32 v20, v18
	s_xor_b32 exec_lo, exec_lo, s9
	s_cbranch_execz .LBB95_126
; %bb.125:
	ds_read_u8 v20, v21 offset:1
	s_waitcnt lgkmcnt(1)
	v_mov_b32_e32 v19, v17
.LBB95_126:
	s_or_b32 exec_lo, exec_lo, s9
	v_add_nc_u32_e32 v21, 1, v15
	v_add_nc_u32_e32 v22, 1, v16
	s_waitcnt lgkmcnt(0)
	v_cmp_lt_i16_sdwa s10, sext(v20), sext(v19) src0_sel:BYTE_0 src1_sel:BYTE_0
                                        ; implicit-def: $vgpr23
	v_cndmask_b32_e64 v21, v21, v15, s8
	v_cndmask_b32_e64 v22, v16, v22, s8
	v_cmp_ge_i32_e32 vcc_lo, v21, v6
	v_cmp_lt_i32_e64 s9, v22, v14
	s_or_b32 s10, vcc_lo, s10
	s_and_b32 s9, s9, s10
	s_xor_b32 s10, s9, -1
	s_and_saveexec_b32 s11, s10
	s_xor_b32 s10, exec_lo, s11
; %bb.127:
	v_add_nc_u32_e32 v23, v4, v21
	ds_read_u8 v23, v23 offset:1
; %bb.128:
	s_or_saveexec_b32 s10, s10
	v_mov_b32_e32 v24, v20
	s_xor_b32 exec_lo, exec_lo, s10
	s_cbranch_execz .LBB95_130
; %bb.129:
	s_waitcnt lgkmcnt(0)
	v_add_nc_u32_e32 v23, v4, v22
	ds_read_u8 v24, v23 offset:1
	v_mov_b32_e32 v23, v19
.LBB95_130:
	s_or_b32 exec_lo, exec_lo, s10
	v_add_nc_u32_e32 v25, 1, v21
	v_add_nc_u32_e32 v26, 1, v22
	s_waitcnt lgkmcnt(0)
	v_cmp_lt_i16_sdwa s11, sext(v24), sext(v23) src0_sel:BYTE_0 src1_sel:BYTE_0
                                        ; implicit-def: $vgpr27
	v_cndmask_b32_e64 v25, v25, v21, s9
	v_cndmask_b32_e64 v26, v22, v26, s9
	v_cmp_ge_i32_e32 vcc_lo, v25, v6
	v_cmp_lt_i32_e64 s10, v26, v14
	s_or_b32 s11, vcc_lo, s11
	s_and_b32 s10, s10, s11
	s_xor_b32 s11, s10, -1
	s_and_saveexec_b32 s12, s11
	s_xor_b32 s11, exec_lo, s12
; %bb.131:
	v_add_nc_u32_e32 v27, v4, v25
	ds_read_u8 v27, v27 offset:1
; %bb.132:
	s_or_saveexec_b32 s11, s11
	v_mov_b32_e32 v28, v24
	s_xor_b32 exec_lo, exec_lo, s11
	s_cbranch_execz .LBB95_134
; %bb.133:
	s_waitcnt lgkmcnt(0)
	v_add_nc_u32_e32 v27, v4, v26
	ds_read_u8 v28, v27 offset:1
	v_mov_b32_e32 v27, v23
.LBB95_134:
	s_or_b32 exec_lo, exec_lo, s11
	v_add_nc_u32_e32 v29, 1, v25
	v_add_nc_u32_e32 v30, 1, v26
	s_waitcnt lgkmcnt(0)
	v_cmp_lt_i16_sdwa s12, sext(v28), sext(v27) src0_sel:BYTE_0 src1_sel:BYTE_0
                                        ; implicit-def: $vgpr31
	v_cndmask_b32_e64 v29, v29, v25, s10
	v_cndmask_b32_e64 v30, v26, v30, s10
	v_cmp_ge_i32_e32 vcc_lo, v29, v6
	v_cmp_lt_i32_e64 s11, v30, v14
	s_or_b32 s12, vcc_lo, s12
	s_and_b32 s11, s11, s12
	s_xor_b32 s12, s11, -1
	s_and_saveexec_b32 s13, s12
	s_xor_b32 s12, exec_lo, s13
; %bb.135:
	v_add_nc_u32_e32 v31, v4, v29
	ds_read_u8 v31, v31 offset:1
; %bb.136:
	s_or_saveexec_b32 s12, s12
	v_mov_b32_e32 v32, v28
	s_xor_b32 exec_lo, exec_lo, s12
	s_cbranch_execz .LBB95_138
; %bb.137:
	s_waitcnt lgkmcnt(0)
	v_add_nc_u32_e32 v31, v4, v30
	ds_read_u8 v32, v31 offset:1
	v_mov_b32_e32 v31, v27
.LBB95_138:
	s_or_b32 exec_lo, exec_lo, s12
	v_add_nc_u32_e32 v33, 1, v29
	v_add_nc_u32_e32 v34, 1, v30
	s_waitcnt lgkmcnt(0)
	v_cmp_lt_i16_sdwa s13, sext(v32), sext(v31) src0_sel:BYTE_0 src1_sel:BYTE_0
                                        ; implicit-def: $vgpr35
	v_cndmask_b32_e64 v33, v33, v29, s11
	v_cndmask_b32_e64 v34, v30, v34, s11
	v_cmp_ge_i32_e32 vcc_lo, v33, v6
	v_cmp_lt_i32_e64 s12, v34, v14
	s_or_b32 s13, vcc_lo, s13
	s_and_b32 s12, s12, s13
	s_xor_b32 s13, s12, -1
	s_and_saveexec_b32 s14, s13
	s_xor_b32 s13, exec_lo, s14
; %bb.139:
	v_add_nc_u32_e32 v35, v4, v33
	ds_read_u8 v35, v35 offset:1
; %bb.140:
	s_or_saveexec_b32 s13, s13
	v_mov_b32_e32 v36, v32
	s_xor_b32 exec_lo, exec_lo, s13
	s_cbranch_execz .LBB95_142
; %bb.141:
	s_waitcnt lgkmcnt(0)
	v_add_nc_u32_e32 v35, v4, v34
	ds_read_u8 v36, v35 offset:1
	v_mov_b32_e32 v35, v31
.LBB95_142:
	s_or_b32 exec_lo, exec_lo, s13
	v_add_nc_u32_e32 v37, 1, v33
	v_add_nc_u32_e32 v38, 1, v34
	s_waitcnt lgkmcnt(0)
	v_cmp_lt_i16_sdwa s14, sext(v36), sext(v35) src0_sel:BYTE_0 src1_sel:BYTE_0
                                        ; implicit-def: $vgpr39
	v_cndmask_b32_e64 v37, v37, v33, s12
	v_cndmask_b32_e64 v38, v34, v38, s12
	v_cmp_ge_i32_e32 vcc_lo, v37, v6
	v_cmp_lt_i32_e64 s13, v38, v14
	s_or_b32 s14, vcc_lo, s14
	s_and_b32 vcc_lo, s13, s14
	s_xor_b32 s13, vcc_lo, -1
	s_and_saveexec_b32 s14, s13
	s_xor_b32 s13, exec_lo, s14
; %bb.143:
	v_add_nc_u32_e32 v39, v4, v37
	ds_read_u8 v39, v39 offset:1
; %bb.144:
	s_or_saveexec_b32 s13, s13
	v_mov_b32_e32 v41, v36
	s_xor_b32 exec_lo, exec_lo, s13
	s_cbranch_execz .LBB95_146
; %bb.145:
	s_waitcnt lgkmcnt(0)
	v_add_nc_u32_e32 v39, v4, v38
	ds_read_u8 v41, v39 offset:1
	v_mov_b32_e32 v39, v35
.LBB95_146:
	s_or_b32 exec_lo, exec_lo, s13
	v_add_nc_u32_e32 v40, 1, v37
	v_add_nc_u32_e32 v42, 1, v38
	s_waitcnt lgkmcnt(0)
	v_cmp_lt_i16_sdwa s15, sext(v41), sext(v39) src0_sel:BYTE_0 src1_sel:BYTE_0
	v_cndmask_b32_e32 v43, v40, v37, vcc_lo
	v_cndmask_b32_e32 v44, v38, v42, vcc_lo
                                        ; implicit-def: $vgpr40
	v_cmp_ge_i32_e64 s13, v43, v6
	v_cmp_lt_i32_e64 s14, v44, v14
	s_or_b32 s13, s13, s15
	s_and_b32 s13, s14, s13
	s_xor_b32 s14, s13, -1
	s_and_saveexec_b32 s15, s14
	s_xor_b32 s14, exec_lo, s15
; %bb.147:
	v_add_nc_u32_e32 v40, v4, v43
	ds_read_u8 v40, v40 offset:1
; %bb.148:
	s_or_saveexec_b32 s14, s14
	v_mov_b32_e32 v42, v41
	s_xor_b32 exec_lo, exec_lo, s14
	s_cbranch_execz .LBB95_150
; %bb.149:
	s_waitcnt lgkmcnt(0)
	v_add_nc_u32_e32 v40, v4, v44
	ds_read_u8 v42, v40 offset:1
	v_mov_b32_e32 v40, v39
.LBB95_150:
	s_or_b32 exec_lo, exec_lo, s14
	v_add_nc_u32_e32 v45, 1, v44
	v_add_nc_u32_e32 v46, 1, v43
	v_cndmask_b32_e64 v39, v39, v41, s13
	v_cndmask_b32_sdwa v35, v35, v36, vcc_lo dst_sel:BYTE_1 dst_unused:UNUSED_PAD src0_sel:DWORD src1_sel:DWORD
	v_cndmask_b32_e32 v36, v37, v38, vcc_lo
	v_cndmask_b32_e64 v41, v44, v45, s13
	v_cndmask_b32_e64 v45, v46, v43, s13
	v_perm_b32 v0, v0, v1, 0xc0c0004
	v_perm_b32 v1, v3, v5, 0xc0c0004
	v_cndmask_b32_e64 v23, v23, v24, s10
	v_cndmask_b32_e64 v24, v25, v26, s10
	v_cmp_ge_i32_e32 vcc_lo, v45, v6
	v_perm_b32 v6, v7, v11, 0xc0c0004
	v_perm_b32 v7, v12, v13, 0xc0c0004
	s_waitcnt lgkmcnt(0)
	v_cmp_lt_i16_sdwa s10, sext(v42), sext(v40) src0_sel:BYTE_0 src1_sel:BYTE_0
	v_lshl_or_b32 v5, v1, 16, v0
	v_min_i32_e32 v0, 0, v10
	v_cndmask_b32_e64 v19, v19, v20, s9
	v_lshl_or_b32 v6, v7, 16, v6
	v_cndmask_b32_e64 v20, v21, v22, s9
	v_cmp_lt_i32_e64 s9, v41, v14
	v_cndmask_b32_e64 v3, v15, v16, s8
	s_or_b32 s10, vcc_lo, s10
	; wave barrier
	ds_write_b64 v2, v[5:6]
	v_add_nc_u32_e32 v5, 0x80, v0
	v_cndmask_b32_e64 v27, v27, v28, s11
	v_cndmask_b32_e64 v28, v29, v30, s11
	s_and_b32 vcc_lo, s9, s10
	v_cndmask_b32_e64 v43, v43, v44, s13
	v_cndmask_b32_e64 v31, v31, v32, s12
	;; [unrolled: 1-line block ×3, first 2 shown]
	v_cndmask_b32_e32 v1, v45, v41, vcc_lo
	v_add_nc_u32_e32 v6, v4, v3
	v_add_nc_u32_e32 v7, v4, v20
	v_min_i32_e32 v11, v10, v5
	v_add_nc_u32_e32 v12, v4, v24
	v_add_nc_u32_e32 v13, v4, v28
	v_add_nc_u32_e32 v14, v4, v32
	v_add_nc_u32_e32 v15, v4, v36
	v_add_nc_u32_e32 v16, v4, v43
	; wave barrier
	v_add_nc_u32_e32 v1, v4, v1
	ds_read_u8 v5, v6
	ds_read_u8 v6, v7
	;; [unrolled: 1-line block ×8, first 2 shown]
	v_add_nc_u32_e32 v3, 0x80, v11
	v_cndmask_b32_e64 v17, v17, v18, s8
	v_cndmask_b32_e32 v18, v40, v42, vcc_lo
	v_and_b32_e32 v20, 0xf8, v8
	v_lshlrev_b16 v19, 8, v19
	v_min_i32_e32 v3, v10, v3
	v_lshlrev_b16 v21, 8, v27
	v_lshlrev_b16 v18, 8, v18
	v_min_i32_e32 v1, v10, v20
	v_or_b32_sdwa v17, v17, v19 dst_sel:DWORD dst_unused:UNUSED_PAD src0_sel:BYTE_0 src1_sel:DWORD
	v_sub_nc_u32_e32 v20, v3, v11
	v_or_b32_sdwa v19, v23, v21 dst_sel:WORD_1 dst_unused:UNUSED_PAD src0_sel:BYTE_0 src1_sel:DWORD
	v_or_b32_sdwa v21, v31, v35 dst_sel:DWORD dst_unused:UNUSED_PAD src0_sel:BYTE_0 src1_sel:DWORD
	v_sub_nc_u32_e32 v23, v11, v0
	v_or_b32_sdwa v24, v39, v18 dst_sel:WORD_1 dst_unused:UNUSED_PAD src0_sel:BYTE_0 src1_sel:DWORD
	v_sub_nc_u32_e32 v22, v1, v20
	v_cmp_ge_i32_e32 vcc_lo, v1, v20
	v_or_b32_sdwa v19, v17, v19 dst_sel:DWORD dst_unused:UNUSED_PAD src0_sel:WORD_0 src1_sel:DWORD
	v_min_i32_e32 v17, v1, v23
	v_or_b32_sdwa v20, v21, v24 dst_sel:DWORD dst_unused:UNUSED_PAD src0_sel:WORD_0 src1_sel:DWORD
	s_mov_b32 s9, 0
	v_cndmask_b32_e32 v18, 0, v22, vcc_lo
	s_mov_b32 s8, exec_lo
	; wave barrier
	ds_write_b64 v2, v[19:20]
	; wave barrier
	v_cmpx_lt_i32_e64 v18, v17
	s_cbranch_execz .LBB95_154
; %bb.151:
	v_add_nc_u32_e32 v19, v4, v0
	v_add3_u32 v20, v4, v11, v1
	.p2align	6
.LBB95_152:                             ; =>This Inner Loop Header: Depth=1
	v_sub_nc_u32_e32 v21, v17, v18
	v_lshrrev_b32_e32 v21, 1, v21
	v_add_nc_u32_e32 v21, v21, v18
	v_add_nc_u32_e32 v22, v19, v21
	v_xad_u32 v23, v21, -1, v20
	v_add_nc_u32_e32 v24, 1, v21
	ds_read_i8 v22, v22
	ds_read_i8 v23, v23
	s_waitcnt lgkmcnt(0)
	v_cmp_lt_i16_e32 vcc_lo, v23, v22
	v_cndmask_b32_e32 v17, v17, v21, vcc_lo
	v_cndmask_b32_e32 v18, v24, v18, vcc_lo
	v_cmp_ge_i32_e32 vcc_lo, v18, v17
	s_or_b32 s9, vcc_lo, s9
	s_andn2_b32 exec_lo, exec_lo, s9
	s_cbranch_execnz .LBB95_152
; %bb.153:
	s_or_b32 exec_lo, exec_lo, s9
.LBB95_154:
	s_or_b32 exec_lo, exec_lo, s8
	v_add_nc_u32_e32 v19, v11, v1
	v_add_nc_u32_e32 v17, v18, v0
                                        ; implicit-def: $vgpr21
	v_sub_nc_u32_e32 v18, v19, v18
	v_add_nc_u32_e32 v22, v4, v17
	v_cmp_le_i32_e32 vcc_lo, v11, v17
	v_add_nc_u32_e32 v23, v4, v18
	v_cmp_gt_i32_e64 s9, v3, v18
	ds_read_u8 v19, v22
	ds_read_u8 v20, v23
	s_waitcnt lgkmcnt(1)
	v_bfe_i32 v19, v19, 0, 8
	s_waitcnt lgkmcnt(0)
	v_bfe_i32 v20, v20, 0, 8
	v_cmp_lt_i16_e64 s8, v20, v19
	s_or_b32 s8, vcc_lo, s8
	s_and_b32 s8, s9, s8
	s_xor_b32 s9, s8, -1
	s_and_saveexec_b32 s10, s9
	s_xor_b32 s9, exec_lo, s10
; %bb.155:
	ds_read_u8 v21, v22 offset:1
                                        ; implicit-def: $vgpr23
; %bb.156:
	s_or_saveexec_b32 s9, s9
	v_mov_b32_e32 v22, v20
	s_xor_b32 exec_lo, exec_lo, s9
	s_cbranch_execz .LBB95_158
; %bb.157:
	ds_read_u8 v22, v23 offset:1
	s_waitcnt lgkmcnt(1)
	v_mov_b32_e32 v21, v19
.LBB95_158:
	s_or_b32 exec_lo, exec_lo, s9
	v_add_nc_u32_e32 v23, 1, v17
	v_add_nc_u32_e32 v24, 1, v18
	s_waitcnt lgkmcnt(0)
	v_cmp_lt_i16_sdwa s10, sext(v22), sext(v21) src0_sel:BYTE_0 src1_sel:BYTE_0
                                        ; implicit-def: $vgpr25
	v_cndmask_b32_e64 v23, v23, v17, s8
	v_cndmask_b32_e64 v24, v18, v24, s8
	v_cmp_ge_i32_e32 vcc_lo, v23, v11
	v_cmp_lt_i32_e64 s9, v24, v3
	s_or_b32 s10, vcc_lo, s10
	s_and_b32 s9, s9, s10
	s_xor_b32 s10, s9, -1
	s_and_saveexec_b32 s11, s10
	s_xor_b32 s10, exec_lo, s11
; %bb.159:
	v_add_nc_u32_e32 v25, v4, v23
	ds_read_u8 v25, v25 offset:1
; %bb.160:
	s_or_saveexec_b32 s10, s10
	v_mov_b32_e32 v26, v22
	s_xor_b32 exec_lo, exec_lo, s10
	s_cbranch_execz .LBB95_162
; %bb.161:
	s_waitcnt lgkmcnt(0)
	v_add_nc_u32_e32 v25, v4, v24
	ds_read_u8 v26, v25 offset:1
	v_mov_b32_e32 v25, v21
.LBB95_162:
	s_or_b32 exec_lo, exec_lo, s10
	v_add_nc_u32_e32 v27, 1, v23
	v_add_nc_u32_e32 v28, 1, v24
	s_waitcnt lgkmcnt(0)
	v_cmp_lt_i16_sdwa s11, sext(v26), sext(v25) src0_sel:BYTE_0 src1_sel:BYTE_0
                                        ; implicit-def: $vgpr29
	v_cndmask_b32_e64 v27, v27, v23, s9
	v_cndmask_b32_e64 v28, v24, v28, s9
	v_cmp_ge_i32_e32 vcc_lo, v27, v11
	v_cmp_lt_i32_e64 s10, v28, v3
	s_or_b32 s11, vcc_lo, s11
	s_and_b32 s10, s10, s11
	s_xor_b32 s11, s10, -1
	s_and_saveexec_b32 s12, s11
	s_xor_b32 s11, exec_lo, s12
; %bb.163:
	v_add_nc_u32_e32 v29, v4, v27
	ds_read_u8 v29, v29 offset:1
; %bb.164:
	s_or_saveexec_b32 s11, s11
	v_mov_b32_e32 v30, v26
	s_xor_b32 exec_lo, exec_lo, s11
	s_cbranch_execz .LBB95_166
; %bb.165:
	s_waitcnt lgkmcnt(0)
	v_add_nc_u32_e32 v29, v4, v28
	ds_read_u8 v30, v29 offset:1
	v_mov_b32_e32 v29, v25
.LBB95_166:
	s_or_b32 exec_lo, exec_lo, s11
	v_add_nc_u32_e32 v31, 1, v27
	v_add_nc_u32_e32 v32, 1, v28
	s_waitcnt lgkmcnt(0)
	v_cmp_lt_i16_sdwa s12, sext(v30), sext(v29) src0_sel:BYTE_0 src1_sel:BYTE_0
                                        ; implicit-def: $vgpr33
	v_cndmask_b32_e64 v31, v31, v27, s10
	v_cndmask_b32_e64 v32, v28, v32, s10
	v_cmp_ge_i32_e32 vcc_lo, v31, v11
	v_cmp_lt_i32_e64 s11, v32, v3
	s_or_b32 s12, vcc_lo, s12
	s_and_b32 s11, s11, s12
	s_xor_b32 s12, s11, -1
	s_and_saveexec_b32 s13, s12
	s_xor_b32 s12, exec_lo, s13
; %bb.167:
	v_add_nc_u32_e32 v33, v4, v31
	ds_read_u8 v33, v33 offset:1
; %bb.168:
	s_or_saveexec_b32 s12, s12
	v_mov_b32_e32 v34, v30
	s_xor_b32 exec_lo, exec_lo, s12
	s_cbranch_execz .LBB95_170
; %bb.169:
	s_waitcnt lgkmcnt(0)
	v_add_nc_u32_e32 v33, v4, v32
	ds_read_u8 v34, v33 offset:1
	v_mov_b32_e32 v33, v29
.LBB95_170:
	s_or_b32 exec_lo, exec_lo, s12
	v_add_nc_u32_e32 v35, 1, v31
	v_add_nc_u32_e32 v36, 1, v32
	s_waitcnt lgkmcnt(0)
	v_cmp_lt_i16_sdwa s13, sext(v34), sext(v33) src0_sel:BYTE_0 src1_sel:BYTE_0
                                        ; implicit-def: $vgpr37
	v_cndmask_b32_e64 v35, v35, v31, s11
	v_cndmask_b32_e64 v36, v32, v36, s11
	v_cmp_ge_i32_e32 vcc_lo, v35, v11
	v_cmp_lt_i32_e64 s12, v36, v3
	s_or_b32 s13, vcc_lo, s13
	s_and_b32 s12, s12, s13
	s_xor_b32 s13, s12, -1
	s_and_saveexec_b32 s14, s13
	s_xor_b32 s13, exec_lo, s14
; %bb.171:
	v_add_nc_u32_e32 v37, v4, v35
	ds_read_u8 v37, v37 offset:1
; %bb.172:
	s_or_saveexec_b32 s13, s13
	v_mov_b32_e32 v38, v34
	s_xor_b32 exec_lo, exec_lo, s13
	s_cbranch_execz .LBB95_174
; %bb.173:
	s_waitcnt lgkmcnt(0)
	v_add_nc_u32_e32 v37, v4, v36
	ds_read_u8 v38, v37 offset:1
	v_mov_b32_e32 v37, v33
.LBB95_174:
	s_or_b32 exec_lo, exec_lo, s13
	v_add_nc_u32_e32 v39, 1, v35
	v_add_nc_u32_e32 v40, 1, v36
	s_waitcnt lgkmcnt(0)
	v_cmp_lt_i16_sdwa s14, sext(v38), sext(v37) src0_sel:BYTE_0 src1_sel:BYTE_0
                                        ; implicit-def: $vgpr41
	v_cndmask_b32_e64 v39, v39, v35, s12
	v_cndmask_b32_e64 v40, v36, v40, s12
	v_cmp_ge_i32_e32 vcc_lo, v39, v11
	v_cmp_lt_i32_e64 s13, v40, v3
	s_or_b32 s14, vcc_lo, s14
	s_and_b32 vcc_lo, s13, s14
	s_xor_b32 s13, vcc_lo, -1
	s_and_saveexec_b32 s14, s13
	s_xor_b32 s13, exec_lo, s14
; %bb.175:
	v_add_nc_u32_e32 v41, v4, v39
	ds_read_u8 v41, v41 offset:1
; %bb.176:
	s_or_saveexec_b32 s13, s13
	v_mov_b32_e32 v43, v38
	s_xor_b32 exec_lo, exec_lo, s13
	s_cbranch_execz .LBB95_178
; %bb.177:
	s_waitcnt lgkmcnt(0)
	v_add_nc_u32_e32 v41, v4, v40
	ds_read_u8 v43, v41 offset:1
	v_mov_b32_e32 v41, v37
.LBB95_178:
	s_or_b32 exec_lo, exec_lo, s13
	v_add_nc_u32_e32 v42, 1, v39
	v_add_nc_u32_e32 v44, 1, v40
	s_waitcnt lgkmcnt(0)
	v_cmp_lt_i16_sdwa s15, sext(v43), sext(v41) src0_sel:BYTE_0 src1_sel:BYTE_0
	v_cndmask_b32_e32 v45, v42, v39, vcc_lo
	v_cndmask_b32_e32 v46, v40, v44, vcc_lo
                                        ; implicit-def: $vgpr42
	v_cmp_ge_i32_e64 s13, v45, v11
	v_cmp_lt_i32_e64 s14, v46, v3
	s_or_b32 s13, s13, s15
	s_and_b32 s13, s14, s13
	s_xor_b32 s14, s13, -1
	s_and_saveexec_b32 s15, s14
	s_xor_b32 s14, exec_lo, s15
; %bb.179:
	v_add_nc_u32_e32 v42, v4, v45
	ds_read_u8 v42, v42 offset:1
; %bb.180:
	s_or_saveexec_b32 s14, s14
	v_mov_b32_e32 v44, v43
	s_xor_b32 exec_lo, exec_lo, s14
	s_cbranch_execz .LBB95_182
; %bb.181:
	s_waitcnt lgkmcnt(0)
	v_add_nc_u32_e32 v42, v4, v46
	ds_read_u8 v44, v42 offset:1
	v_mov_b32_e32 v42, v41
.LBB95_182:
	s_or_b32 exec_lo, exec_lo, s14
	v_add_nc_u32_e32 v47, 1, v46
	v_add_nc_u32_e32 v48, 1, v45
	v_cndmask_b32_e64 v41, v41, v43, s13
	v_cndmask_b32_sdwa v37, v37, v38, vcc_lo dst_sel:BYTE_1 dst_unused:UNUSED_PAD src0_sel:DWORD src1_sel:DWORD
	v_cndmask_b32_e32 v38, v39, v40, vcc_lo
	v_cndmask_b32_e64 v43, v46, v47, s13
	v_cndmask_b32_e64 v47, v48, v45, s13
	v_perm_b32 v5, v5, v6, 0xc0c0004
	v_perm_b32 v7, v7, v12, 0xc0c0004
	; wave barrier
	v_cmp_ge_i32_e32 vcc_lo, v47, v11
	v_perm_b32 v11, v13, v14, 0xc0c0004
	v_perm_b32 v13, v15, v16, 0xc0c0004
	v_lshl_or_b32 v5, v7, 16, v5
	v_cndmask_b32_e64 v25, v25, v26, s10
	v_cndmask_b32_e64 v26, v27, v28, s10
	s_waitcnt lgkmcnt(0)
	v_cmp_lt_i16_sdwa s10, sext(v44), sext(v42) src0_sel:BYTE_0 src1_sel:BYTE_0
	v_lshl_or_b32 v6, v13, 16, v11
	v_cndmask_b32_e64 v21, v21, v22, s9
	v_cndmask_b32_e64 v22, v23, v24, s9
	v_cmp_lt_i32_e64 s9, v43, v3
	v_cndmask_b32_e64 v3, v17, v18, s8
	ds_write_b64 v2, v[5:6]
	v_add_nc_u32_e32 v5, 0x100, v0
	v_cndmask_b32_e64 v19, v19, v20, s8
	s_or_b32 s8, vcc_lo, s10
	v_cndmask_b32_e64 v29, v29, v30, s11
	v_cndmask_b32_e64 v30, v31, v32, s11
	v_min_i32_e32 v15, v10, v5
	s_and_b32 vcc_lo, s9, s8
	v_cndmask_b32_e64 v33, v33, v34, s12
	v_cndmask_b32_e64 v34, v35, v36, s12
	v_cndmask_b32_e64 v45, v45, v46, s13
	v_cndmask_b32_e32 v7, v47, v43, vcc_lo
	v_add_nc_u32_e32 v6, v4, v3
	v_add_nc_u32_e32 v3, 0x100, v15
	;; [unrolled: 1-line block ×6, first 2 shown]
	; wave barrier
	v_add_nc_u32_e32 v17, v4, v38
	v_add_nc_u32_e32 v18, v4, v45
	;; [unrolled: 1-line block ×3, first 2 shown]
	v_min_i32_e32 v3, v10, v3
	ds_read_u8 v5, v6
	ds_read_u8 v6, v11
	;; [unrolled: 1-line block ×8, first 2 shown]
	v_cndmask_b32_e32 v16, v42, v44, vcc_lo
	v_lshlrev_b16 v21, 8, v21
	v_lshlrev_b16 v22, 8, v29
	v_sub_nc_u32_e32 v17, v3, v15
	v_or_b32_sdwa v20, v33, v37 dst_sel:DWORD dst_unused:UNUSED_PAD src0_sel:BYTE_0 src1_sel:DWORD
	v_lshlrev_b16 v16, 8, v16
	v_or_b32_sdwa v18, v19, v21 dst_sel:DWORD dst_unused:UNUSED_PAD src0_sel:BYTE_0 src1_sel:DWORD
	v_or_b32_sdwa v19, v25, v22 dst_sel:WORD_1 dst_unused:UNUSED_PAD src0_sel:BYTE_0 src1_sel:DWORD
	v_sub_nc_u32_e32 v21, v1, v17
	v_sub_nc_u32_e32 v22, v15, v0
	v_or_b32_sdwa v23, v41, v16 dst_sel:WORD_1 dst_unused:UNUSED_PAD src0_sel:BYTE_0 src1_sel:DWORD
	v_cmp_ge_i32_e32 vcc_lo, v1, v17
	v_or_b32_sdwa v18, v18, v19 dst_sel:DWORD dst_unused:UNUSED_PAD src0_sel:WORD_0 src1_sel:DWORD
	s_mov_b32 s9, 0
	v_min_i32_e32 v17, v1, v22
	v_or_b32_sdwa v19, v20, v23 dst_sel:DWORD dst_unused:UNUSED_PAD src0_sel:WORD_0 src1_sel:DWORD
	v_cndmask_b32_e32 v16, 0, v21, vcc_lo
	s_mov_b32 s8, exec_lo
	; wave barrier
	ds_write_b64 v2, v[18:19]
	; wave barrier
	v_cmpx_lt_i32_e64 v16, v17
	s_cbranch_execz .LBB95_186
; %bb.183:
	v_add_nc_u32_e32 v18, v4, v0
	v_add3_u32 v19, v4, v15, v1
	.p2align	6
.LBB95_184:                             ; =>This Inner Loop Header: Depth=1
	v_sub_nc_u32_e32 v20, v17, v16
	v_lshrrev_b32_e32 v20, 1, v20
	v_add_nc_u32_e32 v20, v20, v16
	v_add_nc_u32_e32 v21, v18, v20
	v_xad_u32 v22, v20, -1, v19
	v_add_nc_u32_e32 v23, 1, v20
	ds_read_i8 v21, v21
	ds_read_i8 v22, v22
	s_waitcnt lgkmcnt(0)
	v_cmp_lt_i16_e32 vcc_lo, v22, v21
	v_cndmask_b32_e32 v17, v17, v20, vcc_lo
	v_cndmask_b32_e32 v16, v23, v16, vcc_lo
	v_cmp_ge_i32_e32 vcc_lo, v16, v17
	s_or_b32 s9, vcc_lo, s9
	s_andn2_b32 exec_lo, exec_lo, s9
	s_cbranch_execnz .LBB95_184
; %bb.185:
	s_or_b32 exec_lo, exec_lo, s9
.LBB95_186:
	s_or_b32 exec_lo, exec_lo, s8
	v_add_nc_u32_e32 v1, v15, v1
	v_add_nc_u32_e32 v0, v16, v0
                                        ; implicit-def: $vgpr20
	v_sub_nc_u32_e32 v1, v1, v16
	v_add_nc_u32_e32 v17, v4, v0
	v_cmp_le_i32_e32 vcc_lo, v15, v0
	v_add_nc_u32_e32 v16, v4, v1
	v_cmp_gt_i32_e64 s9, v3, v1
	ds_read_u8 v18, v17
	ds_read_u8 v19, v16
	s_waitcnt lgkmcnt(1)
	v_bfe_i32 v18, v18, 0, 8
	s_waitcnt lgkmcnt(0)
	v_bfe_i32 v19, v19, 0, 8
	v_cmp_lt_i16_e64 s8, v19, v18
	s_or_b32 s8, vcc_lo, s8
	s_and_b32 s8, s9, s8
	s_xor_b32 s9, s8, -1
	s_and_saveexec_b32 s10, s9
	s_xor_b32 s9, exec_lo, s10
; %bb.187:
	ds_read_u8 v20, v17 offset:1
                                        ; implicit-def: $vgpr16
; %bb.188:
	s_or_saveexec_b32 s9, s9
	v_mov_b32_e32 v21, v19
	s_xor_b32 exec_lo, exec_lo, s9
	s_cbranch_execz .LBB95_190
; %bb.189:
	ds_read_u8 v21, v16 offset:1
	s_waitcnt lgkmcnt(1)
	v_mov_b32_e32 v20, v18
.LBB95_190:
	s_or_b32 exec_lo, exec_lo, s9
	v_add_nc_u32_e32 v16, 1, v0
	v_add_nc_u32_e32 v17, 1, v1
	s_waitcnt lgkmcnt(0)
	v_cmp_lt_i16_sdwa s10, sext(v21), sext(v20) src0_sel:BYTE_0 src1_sel:BYTE_0
                                        ; implicit-def: $vgpr22
	v_cndmask_b32_e64 v16, v16, v0, s8
	v_cndmask_b32_e64 v17, v1, v17, s8
	v_cmp_ge_i32_e32 vcc_lo, v16, v15
	v_cmp_lt_i32_e64 s9, v17, v3
	s_or_b32 s10, vcc_lo, s10
	s_and_b32 vcc_lo, s9, s10
	s_xor_b32 s9, vcc_lo, -1
	s_and_saveexec_b32 s10, s9
	s_xor_b32 s9, exec_lo, s10
; %bb.191:
	v_add_nc_u32_e32 v22, v4, v16
	ds_read_u8 v22, v22 offset:1
; %bb.192:
	s_or_saveexec_b32 s9, s9
	v_mov_b32_e32 v23, v21
	s_xor_b32 exec_lo, exec_lo, s9
	s_cbranch_execz .LBB95_194
; %bb.193:
	s_waitcnt lgkmcnt(0)
	v_add_nc_u32_e32 v22, v4, v17
	ds_read_u8 v23, v22 offset:1
	v_mov_b32_e32 v22, v20
.LBB95_194:
	s_or_b32 exec_lo, exec_lo, s9
	v_add_nc_u32_e32 v24, 1, v16
	v_add_nc_u32_e32 v25, 1, v17
	s_waitcnt lgkmcnt(0)
	v_cmp_lt_i16_sdwa s11, sext(v23), sext(v22) src0_sel:BYTE_0 src1_sel:BYTE_0
                                        ; implicit-def: $vgpr26
	v_cndmask_b32_e32 v24, v24, v16, vcc_lo
	v_cndmask_b32_e32 v25, v17, v25, vcc_lo
	v_cmp_ge_i32_e64 s9, v24, v15
	v_cmp_lt_i32_e64 s10, v25, v3
	s_or_b32 s9, s9, s11
	s_and_b32 s9, s10, s9
	s_xor_b32 s10, s9, -1
	s_and_saveexec_b32 s11, s10
	s_xor_b32 s10, exec_lo, s11
; %bb.195:
	v_add_nc_u32_e32 v26, v4, v24
	ds_read_u8 v26, v26 offset:1
; %bb.196:
	s_or_saveexec_b32 s10, s10
	v_mov_b32_e32 v27, v23
	s_xor_b32 exec_lo, exec_lo, s10
	s_cbranch_execz .LBB95_198
; %bb.197:
	s_waitcnt lgkmcnt(0)
	v_add_nc_u32_e32 v26, v4, v25
	ds_read_u8 v27, v26 offset:1
	v_mov_b32_e32 v26, v22
.LBB95_198:
	s_or_b32 exec_lo, exec_lo, s10
	v_add_nc_u32_e32 v28, 1, v24
	v_add_nc_u32_e32 v29, 1, v25
	s_waitcnt lgkmcnt(0)
	v_cmp_lt_i16_sdwa s12, sext(v27), sext(v26) src0_sel:BYTE_0 src1_sel:BYTE_0
                                        ; implicit-def: $vgpr30
	v_cndmask_b32_e64 v28, v28, v24, s9
	v_cndmask_b32_e64 v29, v25, v29, s9
	v_cmp_ge_i32_e64 s10, v28, v15
	v_cmp_lt_i32_e64 s11, v29, v3
	s_or_b32 s10, s10, s12
	s_and_b32 s10, s11, s10
	s_xor_b32 s11, s10, -1
	s_and_saveexec_b32 s12, s11
	s_xor_b32 s11, exec_lo, s12
; %bb.199:
	v_add_nc_u32_e32 v30, v4, v28
	ds_read_u8 v30, v30 offset:1
; %bb.200:
	s_or_saveexec_b32 s11, s11
	v_mov_b32_e32 v31, v27
	s_xor_b32 exec_lo, exec_lo, s11
	s_cbranch_execz .LBB95_202
; %bb.201:
	s_waitcnt lgkmcnt(0)
	v_add_nc_u32_e32 v30, v4, v29
	ds_read_u8 v31, v30 offset:1
	v_mov_b32_e32 v30, v26
.LBB95_202:
	s_or_b32 exec_lo, exec_lo, s11
	v_add_nc_u32_e32 v32, 1, v28
	v_add_nc_u32_e32 v33, 1, v29
	s_waitcnt lgkmcnt(0)
	v_cmp_lt_i16_sdwa s13, sext(v31), sext(v30) src0_sel:BYTE_0 src1_sel:BYTE_0
                                        ; implicit-def: $vgpr34
	v_cndmask_b32_e64 v32, v32, v28, s10
	v_cndmask_b32_e64 v33, v29, v33, s10
	v_cmp_ge_i32_e64 s11, v32, v15
	v_cmp_lt_i32_e64 s12, v33, v3
	s_or_b32 s11, s11, s13
	s_and_b32 s11, s12, s11
	s_xor_b32 s12, s11, -1
	s_and_saveexec_b32 s13, s12
	s_xor_b32 s12, exec_lo, s13
; %bb.203:
	v_add_nc_u32_e32 v34, v4, v32
	ds_read_u8 v34, v34 offset:1
; %bb.204:
	s_or_saveexec_b32 s12, s12
	v_mov_b32_e32 v35, v31
	s_xor_b32 exec_lo, exec_lo, s12
	s_cbranch_execz .LBB95_206
; %bb.205:
	s_waitcnt lgkmcnt(0)
	v_add_nc_u32_e32 v34, v4, v33
	ds_read_u8 v35, v34 offset:1
	v_mov_b32_e32 v34, v30
.LBB95_206:
	s_or_b32 exec_lo, exec_lo, s12
	v_add_nc_u32_e32 v36, 1, v32
	v_add_nc_u32_e32 v38, 1, v33
	s_waitcnt lgkmcnt(0)
	v_cmp_lt_i16_sdwa s14, sext(v35), sext(v34) src0_sel:BYTE_0 src1_sel:BYTE_0
                                        ; implicit-def: $vgpr42
	v_cndmask_b32_e64 v37, v36, v32, s11
	v_cndmask_b32_e64 v38, v33, v38, s11
	v_cmp_ge_i32_e64 s12, v37, v15
	v_cmp_lt_i32_e64 s13, v38, v3
	s_or_b32 s12, s12, s14
	s_and_b32 s12, s13, s12
	s_xor_b32 s13, s12, -1
	s_and_saveexec_b32 s14, s13
	s_xor_b32 s13, exec_lo, s14
; %bb.207:
	v_add_nc_u32_e32 v36, v4, v37
	ds_read_u8 v42, v36 offset:1
; %bb.208:
	s_or_saveexec_b32 s13, s13
	v_mov_b32_e32 v44, v35
	s_xor_b32 exec_lo, exec_lo, s13
	s_cbranch_execz .LBB95_210
; %bb.209:
	v_add_nc_u32_e32 v36, v4, v38
	s_waitcnt lgkmcnt(0)
	v_mov_b32_e32 v42, v34
	ds_read_u8 v44, v36 offset:1
.LBB95_210:
	s_or_b32 exec_lo, exec_lo, s13
	v_add_nc_u32_e32 v36, 1, v37
	v_add_nc_u32_e32 v39, 1, v38
	s_waitcnt lgkmcnt(0)
	v_cmp_lt_i16_sdwa s15, sext(v44), sext(v42) src0_sel:BYTE_0 src1_sel:BYTE_0
                                        ; implicit-def: $vgpr41
	v_cndmask_b32_e64 v45, v36, v37, s12
	v_cndmask_b32_e64 v36, v38, v39, s12
                                        ; implicit-def: $vgpr39
	v_cmp_ge_i32_e64 s13, v45, v15
	v_cmp_lt_i32_e64 s14, v36, v3
	s_or_b32 s13, s13, s15
	s_and_b32 s13, s14, s13
	s_xor_b32 s14, s13, -1
	s_and_saveexec_b32 s15, s14
	s_xor_b32 s14, exec_lo, s15
; %bb.211:
	v_add_nc_u32_e32 v39, v4, v45
	ds_read_u8 v41, v39 offset:1
	v_add_nc_u32_e32 v39, 1, v45
; %bb.212:
	s_or_saveexec_b32 s14, s14
	v_mov_b32_e32 v40, v45
	v_mov_b32_e32 v43, v44
	s_xor_b32 exec_lo, exec_lo, s14
	s_cbranch_execz .LBB95_214
; %bb.213:
	v_add_nc_u32_e32 v39, v4, v36
	s_waitcnt lgkmcnt(0)
	v_add_nc_u32_e32 v41, 1, v36
	v_mov_b32_e32 v40, v36
	ds_read_u8 v43, v39 offset:1
	v_mov_b32_e32 v39, v45
	v_mov_b32_e32 v36, v41
	;; [unrolled: 1-line block ×3, first 2 shown]
.LBB95_214:
	s_or_b32 exec_lo, exec_lo, s14
	v_perm_b32 v11, v11, v12, 0xc0c0004
	v_perm_b32 v12, v13, v14, 0xc0c0004
	;; [unrolled: 1-line block ×4, first 2 shown]
	v_cndmask_b32_e64 v7, v0, v1, s8
	v_cndmask_b32_e64 v18, v18, v19, s8
	v_cmp_lt_i32_e64 s8, v36, v3
	v_lshl_or_b32 v1, v12, 16, v11
	v_lshl_or_b32 v0, v6, 16, v5
	v_add_nc_u32_e32 v3, v4, v7
	; wave barrier
	v_cndmask_b32_sdwa v19, v20, v21, vcc_lo dst_sel:BYTE_1 dst_unused:UNUSED_PAD src0_sel:DWORD src1_sel:DWORD
	ds_write_b64 v2, v[0:1]
	; wave barrier
	ds_read_u8 v0, v3
	v_cndmask_b32_e64 v20, v22, v23, s9
	v_cndmask_b32_e64 v21, v26, v27, s10
	;; [unrolled: 1-line block ×4, first 2 shown]
	v_cmp_ge_i32_e64 s9, v39, v15
	s_waitcnt lgkmcnt(2)
	v_cmp_lt_i16_sdwa s10, sext(v43), sext(v41) src0_sel:BYTE_0 src1_sel:BYTE_0
	v_cndmask_b32_e64 v22, v30, v31, s11
	v_cndmask_b32_e64 v30, v32, v33, s11
	v_cndmask_b32_e32 v1, v16, v17, vcc_lo
	v_cndmask_b32_e64 v27, v37, v38, s12
	s_or_b32 s9, s9, s10
	v_add_nc_u32_e32 v6, v4, v24
	s_and_b32 vcc_lo, s8, s9
	v_add_nc_u32_e32 v7, v4, v30
	v_cndmask_b32_e32 v5, v39, v36, vcc_lo
	v_add_nc_u32_e32 v1, v4, v1
	v_add_nc_u32_e32 v10, v4, v28
	v_cndmask_b32_e64 v23, v34, v35, s12
	v_cndmask_b32_e32 v2, v41, v43, vcc_lo
	v_lshlrev_b16 v3, 8, v21
	v_add_nc_u32_e32 v11, v4, v27
	v_add_nc_u32_e32 v12, v4, v40
	;; [unrolled: 1-line block ×3, first 2 shown]
	s_waitcnt lgkmcnt(0)
	v_add_nc_u16 v0, v0, v18
	ds_read_u8 v5, v7
	ds_read_u8 v1, v1
	;; [unrolled: 1-line block ×7, first 2 shown]
	v_cndmask_b32_e64 v26, v42, v44, s13
	v_lshlrev_b16 v12, 8, v23
	v_lshlrev_b16 v2, 8, v2
	v_or_b32_sdwa v13, v18, v19 dst_sel:DWORD dst_unused:UNUSED_PAD src0_sel:BYTE_0 src1_sel:DWORD
	v_or_b32_sdwa v3, v20, v3 dst_sel:WORD_1 dst_unused:UNUSED_PAD src0_sel:BYTE_0 src1_sel:DWORD
	v_or_b32_sdwa v0, v0, v19 dst_sel:DWORD dst_unused:UNUSED_PAD src0_sel:BYTE_0 src1_sel:DWORD
	v_or_b32_sdwa v12, v22, v12 dst_sel:DWORD dst_unused:UNUSED_PAD src0_sel:BYTE_0 src1_sel:DWORD
	v_or_b32_sdwa v2, v26, v2 dst_sel:WORD_1 dst_unused:UNUSED_PAD src0_sel:BYTE_0 src1_sel:DWORD
	v_or_b32_sdwa v13, v13, v3 dst_sel:DWORD dst_unused:UNUSED_PAD src0_sel:WORD_0 src1_sel:DWORD
	v_or_b32_sdwa v0, v0, v3 dst_sel:DWORD dst_unused:UNUSED_PAD src0_sel:WORD_0 src1_sel:DWORD
	;; [unrolled: 1-line block ×3, first 2 shown]
	s_waitcnt lgkmcnt(6)
	v_add_nc_u16 v3, v12, v5
	v_cndmask_b32_e64 v0, v13, v0, s0
	v_perm_b32 v3, v3, v2, 0x3020104
	v_lshrrev_b32_e32 v5, 8, v0
	v_cndmask_b32_e64 v2, v2, v3, s4
	s_waitcnt lgkmcnt(5)
	v_add_nc_u16 v1, v5, v1
	v_mov_b32_e32 v5, 0xff
	v_lshrrev_b32_e32 v3, 8, v2
	v_lshlrev_b16 v1, 8, v1
	s_waitcnt lgkmcnt(2)
	v_add_nc_u16 v3, v3, v10
	v_or_b32_sdwa v1, v0, v1 dst_sel:DWORD dst_unused:UNUSED_PAD src0_sel:BYTE_0 src1_sel:DWORD
	v_lshlrev_b16 v3, 8, v3
	v_and_b32_e32 v1, 0xffff, v1
	v_or_b32_sdwa v3, v2, v3 dst_sel:DWORD dst_unused:UNUSED_PAD src0_sel:BYTE_0 src1_sel:DWORD
	v_and_or_b32 v1, 0xffff0000, v0, v1
	v_and_b32_e32 v3, 0xffff, v3
	v_cndmask_b32_e64 v0, v0, v1, s1
	v_and_or_b32 v1, 0xffff0000, v2, v3
	v_lshrrev_b32_e32 v3, 16, v0
	v_cndmask_b32_e64 v1, v2, v1, s5
	v_add_nc_u16 v2, v3, v6
	v_lshrrev_b32_e32 v3, 16, v1
	v_perm_b32 v2, v2, v0, 0xc0c0304
	s_waitcnt lgkmcnt(1)
	v_add_nc_u16 v3, v3, v11
	v_lshlrev_b32_e32 v2, 16, v2
	v_perm_b32 v3, v1, v3, 0x7000504
	v_and_or_b32 v2, 0xffff, v0, v2
	v_cndmask_b32_e64 v1, v1, v3, s6
	v_cndmask_b32_e64 v0, v0, v2, s2
	v_lshrrev_b32_e32 v2, 24, v1
	v_lshrrev_b32_e32 v3, 24, v0
	s_waitcnt lgkmcnt(0)
	v_add_nc_u16 v2, v2, v4
	v_and_b32_sdwa v4, v1, v5 dst_sel:DWORD dst_unused:UNUSED_PAD src0_sel:WORD_1 src1_sel:DWORD
	v_add_nc_u16 v3, v3, v7
	v_and_b32_sdwa v5, v0, v5 dst_sel:DWORD dst_unused:UNUSED_PAD src0_sel:WORD_1 src1_sel:DWORD
	v_lshlrev_b16 v2, 8, v2
	v_lshlrev_b16 v3, 8, v3
	v_or_b32_sdwa v2, v4, v2 dst_sel:WORD_1 dst_unused:UNUSED_PAD src0_sel:DWORD src1_sel:DWORD
	v_add_co_u32 v4, s8, s18, v9
	v_or_b32_sdwa v3, v5, v3 dst_sel:WORD_1 dst_unused:UNUSED_PAD src0_sel:DWORD src1_sel:DWORD
	v_add_co_ci_u32_e64 v5, null, s19, 0, s8
	v_and_or_b32 v2, 0xffff, v1, v2
	v_and_or_b32 v3, 0xffff, v0, v3
	v_cndmask_b32_e64 v2, v1, v2, s7
	v_cndmask_b32_e64 v3, v0, v3, s3
	v_add_co_u32 v0, vcc_lo, v4, v8
	v_add_co_ci_u32_e64 v1, null, 0, v5, vcc_lo
	s_and_saveexec_b32 s8, s0
	s_cbranch_execnz .LBB95_223
; %bb.215:
	s_or_b32 exec_lo, exec_lo, s8
	s_and_saveexec_b32 s0, s1
	s_cbranch_execnz .LBB95_224
.LBB95_216:
	s_or_b32 exec_lo, exec_lo, s0
	s_and_saveexec_b32 s0, s2
	s_cbranch_execnz .LBB95_225
.LBB95_217:
	s_or_b32 exec_lo, exec_lo, s0
	s_and_saveexec_b32 s0, s3
	s_cbranch_execnz .LBB95_226
.LBB95_218:
	s_or_b32 exec_lo, exec_lo, s0
	s_and_saveexec_b32 s0, s4
	s_cbranch_execnz .LBB95_227
.LBB95_219:
	s_or_b32 exec_lo, exec_lo, s0
	s_and_saveexec_b32 s0, s5
	s_cbranch_execnz .LBB95_228
.LBB95_220:
	s_or_b32 exec_lo, exec_lo, s0
	s_and_saveexec_b32 s0, s6
	s_cbranch_execnz .LBB95_229
.LBB95_221:
	s_or_b32 exec_lo, exec_lo, s0
	s_and_saveexec_b32 s0, s7
	s_cbranch_execnz .LBB95_230
.LBB95_222:
	s_endpgm
.LBB95_223:
	global_store_byte v[0:1], v3, off
	s_or_b32 exec_lo, exec_lo, s8
	s_and_saveexec_b32 s0, s1
	s_cbranch_execz .LBB95_216
.LBB95_224:
	v_lshrrev_b32_e32 v4, 8, v3
	global_store_byte v[0:1], v4, off offset:1
	s_or_b32 exec_lo, exec_lo, s0
	s_and_saveexec_b32 s0, s2
	s_cbranch_execz .LBB95_217
.LBB95_225:
	global_store_byte_d16_hi v[0:1], v3, off offset:2
	s_or_b32 exec_lo, exec_lo, s0
	s_and_saveexec_b32 s0, s3
	s_cbranch_execz .LBB95_218
.LBB95_226:
	v_lshrrev_b32_e32 v3, 24, v3
	global_store_byte v[0:1], v3, off offset:3
	s_or_b32 exec_lo, exec_lo, s0
	s_and_saveexec_b32 s0, s4
	s_cbranch_execz .LBB95_219
.LBB95_227:
	global_store_byte v[0:1], v2, off offset:4
	s_or_b32 exec_lo, exec_lo, s0
	s_and_saveexec_b32 s0, s5
	s_cbranch_execz .LBB95_220
.LBB95_228:
	v_lshrrev_b32_e32 v3, 8, v2
	global_store_byte v[0:1], v3, off offset:5
	s_or_b32 exec_lo, exec_lo, s0
	s_and_saveexec_b32 s0, s6
	s_cbranch_execz .LBB95_221
.LBB95_229:
	global_store_byte_d16_hi v[0:1], v2, off offset:6
	s_or_b32 exec_lo, exec_lo, s0
	s_and_saveexec_b32 s0, s7
	s_cbranch_execz .LBB95_222
.LBB95_230:
	v_lshrrev_b32_e32 v2, 24, v2
	global_store_byte v[0:1], v2, off offset:7
	s_endpgm
	.section	.rodata,"a",@progbits
	.p2align	6, 0x0
	.amdhsa_kernel _Z20sort_pairs_segmentedILj256ELj64ELj8EaN10test_utils4lessEEvPKT2_PS2_PKjT3_
		.amdhsa_group_segment_fixed_size 2052
		.amdhsa_private_segment_fixed_size 0
		.amdhsa_kernarg_size 28
		.amdhsa_user_sgpr_count 6
		.amdhsa_user_sgpr_private_segment_buffer 1
		.amdhsa_user_sgpr_dispatch_ptr 0
		.amdhsa_user_sgpr_queue_ptr 0
		.amdhsa_user_sgpr_kernarg_segment_ptr 1
		.amdhsa_user_sgpr_dispatch_id 0
		.amdhsa_user_sgpr_flat_scratch_init 0
		.amdhsa_user_sgpr_private_segment_size 0
		.amdhsa_wavefront_size32 1
		.amdhsa_uses_dynamic_stack 0
		.amdhsa_system_sgpr_private_segment_wavefront_offset 0
		.amdhsa_system_sgpr_workgroup_id_x 1
		.amdhsa_system_sgpr_workgroup_id_y 0
		.amdhsa_system_sgpr_workgroup_id_z 0
		.amdhsa_system_sgpr_workgroup_info 0
		.amdhsa_system_vgpr_workitem_id 0
		.amdhsa_next_free_vgpr 49
		.amdhsa_next_free_sgpr 20
		.amdhsa_reserve_vcc 1
		.amdhsa_reserve_flat_scratch 0
		.amdhsa_float_round_mode_32 0
		.amdhsa_float_round_mode_16_64 0
		.amdhsa_float_denorm_mode_32 3
		.amdhsa_float_denorm_mode_16_64 3
		.amdhsa_dx10_clamp 1
		.amdhsa_ieee_mode 1
		.amdhsa_fp16_overflow 0
		.amdhsa_workgroup_processor_mode 1
		.amdhsa_memory_ordered 1
		.amdhsa_forward_progress 1
		.amdhsa_shared_vgpr_count 0
		.amdhsa_exception_fp_ieee_invalid_op 0
		.amdhsa_exception_fp_denorm_src 0
		.amdhsa_exception_fp_ieee_div_zero 0
		.amdhsa_exception_fp_ieee_overflow 0
		.amdhsa_exception_fp_ieee_underflow 0
		.amdhsa_exception_fp_ieee_inexact 0
		.amdhsa_exception_int_div_zero 0
	.end_amdhsa_kernel
	.section	.text._Z20sort_pairs_segmentedILj256ELj64ELj8EaN10test_utils4lessEEvPKT2_PS2_PKjT3_,"axG",@progbits,_Z20sort_pairs_segmentedILj256ELj64ELj8EaN10test_utils4lessEEvPKT2_PS2_PKjT3_,comdat
.Lfunc_end95:
	.size	_Z20sort_pairs_segmentedILj256ELj64ELj8EaN10test_utils4lessEEvPKT2_PS2_PKjT3_, .Lfunc_end95-_Z20sort_pairs_segmentedILj256ELj64ELj8EaN10test_utils4lessEEvPKT2_PS2_PKjT3_
                                        ; -- End function
	.set _Z20sort_pairs_segmentedILj256ELj64ELj8EaN10test_utils4lessEEvPKT2_PS2_PKjT3_.num_vgpr, 49
	.set _Z20sort_pairs_segmentedILj256ELj64ELj8EaN10test_utils4lessEEvPKT2_PS2_PKjT3_.num_agpr, 0
	.set _Z20sort_pairs_segmentedILj256ELj64ELj8EaN10test_utils4lessEEvPKT2_PS2_PKjT3_.numbered_sgpr, 20
	.set _Z20sort_pairs_segmentedILj256ELj64ELj8EaN10test_utils4lessEEvPKT2_PS2_PKjT3_.num_named_barrier, 0
	.set _Z20sort_pairs_segmentedILj256ELj64ELj8EaN10test_utils4lessEEvPKT2_PS2_PKjT3_.private_seg_size, 0
	.set _Z20sort_pairs_segmentedILj256ELj64ELj8EaN10test_utils4lessEEvPKT2_PS2_PKjT3_.uses_vcc, 1
	.set _Z20sort_pairs_segmentedILj256ELj64ELj8EaN10test_utils4lessEEvPKT2_PS2_PKjT3_.uses_flat_scratch, 0
	.set _Z20sort_pairs_segmentedILj256ELj64ELj8EaN10test_utils4lessEEvPKT2_PS2_PKjT3_.has_dyn_sized_stack, 0
	.set _Z20sort_pairs_segmentedILj256ELj64ELj8EaN10test_utils4lessEEvPKT2_PS2_PKjT3_.has_recursion, 0
	.set _Z20sort_pairs_segmentedILj256ELj64ELj8EaN10test_utils4lessEEvPKT2_PS2_PKjT3_.has_indirect_call, 0
	.section	.AMDGPU.csdata,"",@progbits
; Kernel info:
; codeLenInByte = 12812
; TotalNumSgprs: 22
; NumVgprs: 49
; ScratchSize: 0
; MemoryBound: 0
; FloatMode: 240
; IeeeMode: 1
; LDSByteSize: 2052 bytes/workgroup (compile time only)
; SGPRBlocks: 0
; VGPRBlocks: 6
; NumSGPRsForWavesPerEU: 22
; NumVGPRsForWavesPerEU: 49
; Occupancy: 16
; WaveLimiterHint : 0
; COMPUTE_PGM_RSRC2:SCRATCH_EN: 0
; COMPUTE_PGM_RSRC2:USER_SGPR: 6
; COMPUTE_PGM_RSRC2:TRAP_HANDLER: 0
; COMPUTE_PGM_RSRC2:TGID_X_EN: 1
; COMPUTE_PGM_RSRC2:TGID_Y_EN: 0
; COMPUTE_PGM_RSRC2:TGID_Z_EN: 0
; COMPUTE_PGM_RSRC2:TIDIG_COMP_CNT: 0
	.section	.text._Z9sort_keysILj256ELj4ELj1EhN10test_utils4lessEEvPKT2_PS2_T3_,"axG",@progbits,_Z9sort_keysILj256ELj4ELj1EhN10test_utils4lessEEvPKT2_PS2_T3_,comdat
	.protected	_Z9sort_keysILj256ELj4ELj1EhN10test_utils4lessEEvPKT2_PS2_T3_ ; -- Begin function _Z9sort_keysILj256ELj4ELj1EhN10test_utils4lessEEvPKT2_PS2_T3_
	.globl	_Z9sort_keysILj256ELj4ELj1EhN10test_utils4lessEEvPKT2_PS2_T3_
	.p2align	8
	.type	_Z9sort_keysILj256ELj4ELj1EhN10test_utils4lessEEvPKT2_PS2_T3_,@function
_Z9sort_keysILj256ELj4ELj1EhN10test_utils4lessEEvPKT2_PS2_T3_: ; @_Z9sort_keysILj256ELj4ELj1EhN10test_utils4lessEEvPKT2_PS2_T3_
; %bb.0:
	s_load_dwordx4 s[0:3], s[4:5], 0x0
	s_lshl_b32 s4, s6, 8
	v_mbcnt_lo_u32_b32 v1, -1, 0
	v_lshrrev_b32_e32 v9, 2, v0
	v_mov_b32_e32 v7, 0
	v_and_b32_e32 v6, 2, v1
	v_and_b32_e32 v5, 1, v1
	v_and_b32_e32 v1, 3, v1
	v_or_b32_e32 v4, 1, v6
	v_mad_u32_u24 v3, v9, 5, v1
	v_sub_nc_u32_e32 v2, v4, v6
	s_waitcnt lgkmcnt(0)
	s_add_u32 s0, s0, s4
	s_addc_u32 s1, s1, 0
	v_min_i32_e32 v10, v5, v2
	global_load_ubyte v8, v0, s[0:1]
	v_mul_u32_u24_e32 v2, 5, v9
	s_mov_b32 s0, 0
	s_mov_b32 s1, exec_lo
	; wave barrier
	s_waitcnt vmcnt(0)
	ds_write_b8 v3, v8
	; wave barrier
	v_cmpx_lt_i32_e32 0, v10
	s_cbranch_execz .LBB96_4
; %bb.1:
	v_add_nc_u32_e32 v8, v2, v6
	v_mov_b32_e32 v9, 1
	v_mov_b32_e32 v7, 0
	v_add_nc_u32_e32 v10, v8, v5
	.p2align	6
.LBB96_2:                               ; =>This Inner Loop Header: Depth=1
	v_sub_nc_u32_e32 v11, v9, v7
	v_lshrrev_b32_e32 v11, 1, v11
	v_add_nc_u32_e32 v11, v11, v7
	v_add_nc_u32_e32 v12, v8, v11
	v_sub_nc_u32_e32 v13, v10, v11
	v_add_nc_u32_e32 v14, 1, v11
	ds_read_u8 v12, v12
	ds_read_u8 v13, v13
	s_waitcnt lgkmcnt(0)
	v_cmp_lt_u16_e32 vcc_lo, v13, v12
	v_cndmask_b32_e32 v9, v9, v11, vcc_lo
	v_cndmask_b32_e32 v7, v14, v7, vcc_lo
	v_cmp_ge_i32_e32 vcc_lo, v7, v9
	s_or_b32 s0, vcc_lo, s0
	s_andn2_b32 exec_lo, exec_lo, s0
	s_cbranch_execnz .LBB96_2
; %bb.3:
	s_or_b32 exec_lo, exec_lo, s0
.LBB96_4:
	s_or_b32 exec_lo, exec_lo, s1
	v_add_nc_u32_e32 v8, v6, v5
	v_add3_u32 v6, v2, v7, v6
	v_add_nc_u32_e32 v5, v4, v5
	v_cmp_lt_i32_e32 vcc_lo, 0, v7
	v_sub_nc_u32_e32 v8, v8, v7
	v_sub_nc_u32_e32 v5, v5, v7
	v_add_nc_u32_e32 v7, v2, v1
	v_add_nc_u32_e32 v8, v2, v8
	ds_read_u8 v6, v6
	ds_read_u8 v8, v8 offset:1
	v_cmp_ge_i32_e64 s0, v4, v5
	v_sub_nc_u32_e64 v4, v1, 2 clamp
	v_min_u32_e32 v5, 2, v1
	; wave barrier
	s_waitcnt lgkmcnt(0)
	v_cmp_lt_u16_sdwa s1, v8, v6 src0_sel:BYTE_0 src1_sel:BYTE_0
	s_or_b32 s1, vcc_lo, s1
	s_and_b32 vcc_lo, s0, s1
	s_mov_b32 s0, 0
	v_cndmask_b32_e32 v6, v6, v8, vcc_lo
	s_mov_b32 s1, exec_lo
	ds_write_b8 v7, v6
	; wave barrier
	v_cmpx_lt_u32_e64 v4, v5
	s_cbranch_execz .LBB96_7
	.p2align	6
.LBB96_5:                               ; =>This Inner Loop Header: Depth=1
	v_sub_nc_u32_e32 v6, v5, v4
	v_lshrrev_b32_e32 v6, 1, v6
	v_add_nc_u32_e32 v6, v6, v4
	v_add_nc_u32_e32 v7, v2, v6
	v_xad_u32 v8, v6, -1, v3
	v_add_nc_u32_e32 v9, 1, v6
	ds_read_u8 v7, v7
	ds_read_u8 v8, v8 offset:2
	s_waitcnt lgkmcnt(0)
	v_cmp_lt_u16_e32 vcc_lo, v8, v7
	v_cndmask_b32_e32 v5, v5, v6, vcc_lo
	v_cndmask_b32_e32 v4, v9, v4, vcc_lo
	v_cmp_ge_i32_e32 vcc_lo, v4, v5
	s_or_b32 s0, vcc_lo, s0
	s_andn2_b32 exec_lo, exec_lo, s0
	s_cbranch_execnz .LBB96_5
; %bb.6:
	s_or_b32 exec_lo, exec_lo, s0
.LBB96_7:
	s_or_b32 exec_lo, exec_lo, s1
	v_sub_nc_u32_e32 v1, v1, v4
	v_add_nc_u32_e32 v3, v2, v4
	v_cmp_lt_i32_e32 vcc_lo, 1, v4
	v_add_nc_u32_e32 v2, v2, v1
	v_add_nc_u32_e32 v1, 2, v1
	ds_read_u8 v3, v3
	ds_read_u8 v2, v2 offset:2
	v_cmp_gt_i32_e64 s0, 4, v1
	s_waitcnt lgkmcnt(0)
	v_cmp_lt_u16_sdwa s1, v2, v3 src0_sel:BYTE_0 src1_sel:BYTE_0
	s_or_b32 s1, vcc_lo, s1
	s_and_b32 vcc_lo, s0, s1
	s_add_u32 s0, s2, s4
	s_addc_u32 s1, s3, 0
	v_add_co_u32 v0, s0, s0, v0
	v_cndmask_b32_e32 v2, v3, v2, vcc_lo
	v_add_co_ci_u32_e64 v1, null, s1, 0, s0
	global_store_byte v[0:1], v2, off
	s_endpgm
	.section	.rodata,"a",@progbits
	.p2align	6, 0x0
	.amdhsa_kernel _Z9sort_keysILj256ELj4ELj1EhN10test_utils4lessEEvPKT2_PS2_T3_
		.amdhsa_group_segment_fixed_size 320
		.amdhsa_private_segment_fixed_size 0
		.amdhsa_kernarg_size 20
		.amdhsa_user_sgpr_count 6
		.amdhsa_user_sgpr_private_segment_buffer 1
		.amdhsa_user_sgpr_dispatch_ptr 0
		.amdhsa_user_sgpr_queue_ptr 0
		.amdhsa_user_sgpr_kernarg_segment_ptr 1
		.amdhsa_user_sgpr_dispatch_id 0
		.amdhsa_user_sgpr_flat_scratch_init 0
		.amdhsa_user_sgpr_private_segment_size 0
		.amdhsa_wavefront_size32 1
		.amdhsa_uses_dynamic_stack 0
		.amdhsa_system_sgpr_private_segment_wavefront_offset 0
		.amdhsa_system_sgpr_workgroup_id_x 1
		.amdhsa_system_sgpr_workgroup_id_y 0
		.amdhsa_system_sgpr_workgroup_id_z 0
		.amdhsa_system_sgpr_workgroup_info 0
		.amdhsa_system_vgpr_workitem_id 0
		.amdhsa_next_free_vgpr 15
		.amdhsa_next_free_sgpr 7
		.amdhsa_reserve_vcc 1
		.amdhsa_reserve_flat_scratch 0
		.amdhsa_float_round_mode_32 0
		.amdhsa_float_round_mode_16_64 0
		.amdhsa_float_denorm_mode_32 3
		.amdhsa_float_denorm_mode_16_64 3
		.amdhsa_dx10_clamp 1
		.amdhsa_ieee_mode 1
		.amdhsa_fp16_overflow 0
		.amdhsa_workgroup_processor_mode 1
		.amdhsa_memory_ordered 1
		.amdhsa_forward_progress 1
		.amdhsa_shared_vgpr_count 0
		.amdhsa_exception_fp_ieee_invalid_op 0
		.amdhsa_exception_fp_denorm_src 0
		.amdhsa_exception_fp_ieee_div_zero 0
		.amdhsa_exception_fp_ieee_overflow 0
		.amdhsa_exception_fp_ieee_underflow 0
		.amdhsa_exception_fp_ieee_inexact 0
		.amdhsa_exception_int_div_zero 0
	.end_amdhsa_kernel
	.section	.text._Z9sort_keysILj256ELj4ELj1EhN10test_utils4lessEEvPKT2_PS2_T3_,"axG",@progbits,_Z9sort_keysILj256ELj4ELj1EhN10test_utils4lessEEvPKT2_PS2_T3_,comdat
.Lfunc_end96:
	.size	_Z9sort_keysILj256ELj4ELj1EhN10test_utils4lessEEvPKT2_PS2_T3_, .Lfunc_end96-_Z9sort_keysILj256ELj4ELj1EhN10test_utils4lessEEvPKT2_PS2_T3_
                                        ; -- End function
	.set _Z9sort_keysILj256ELj4ELj1EhN10test_utils4lessEEvPKT2_PS2_T3_.num_vgpr, 15
	.set _Z9sort_keysILj256ELj4ELj1EhN10test_utils4lessEEvPKT2_PS2_T3_.num_agpr, 0
	.set _Z9sort_keysILj256ELj4ELj1EhN10test_utils4lessEEvPKT2_PS2_T3_.numbered_sgpr, 7
	.set _Z9sort_keysILj256ELj4ELj1EhN10test_utils4lessEEvPKT2_PS2_T3_.num_named_barrier, 0
	.set _Z9sort_keysILj256ELj4ELj1EhN10test_utils4lessEEvPKT2_PS2_T3_.private_seg_size, 0
	.set _Z9sort_keysILj256ELj4ELj1EhN10test_utils4lessEEvPKT2_PS2_T3_.uses_vcc, 1
	.set _Z9sort_keysILj256ELj4ELj1EhN10test_utils4lessEEvPKT2_PS2_T3_.uses_flat_scratch, 0
	.set _Z9sort_keysILj256ELj4ELj1EhN10test_utils4lessEEvPKT2_PS2_T3_.has_dyn_sized_stack, 0
	.set _Z9sort_keysILj256ELj4ELj1EhN10test_utils4lessEEvPKT2_PS2_T3_.has_recursion, 0
	.set _Z9sort_keysILj256ELj4ELj1EhN10test_utils4lessEEvPKT2_PS2_T3_.has_indirect_call, 0
	.section	.AMDGPU.csdata,"",@progbits
; Kernel info:
; codeLenInByte = 572
; TotalNumSgprs: 9
; NumVgprs: 15
; ScratchSize: 0
; MemoryBound: 0
; FloatMode: 240
; IeeeMode: 1
; LDSByteSize: 320 bytes/workgroup (compile time only)
; SGPRBlocks: 0
; VGPRBlocks: 1
; NumSGPRsForWavesPerEU: 9
; NumVGPRsForWavesPerEU: 15
; Occupancy: 16
; WaveLimiterHint : 0
; COMPUTE_PGM_RSRC2:SCRATCH_EN: 0
; COMPUTE_PGM_RSRC2:USER_SGPR: 6
; COMPUTE_PGM_RSRC2:TRAP_HANDLER: 0
; COMPUTE_PGM_RSRC2:TGID_X_EN: 1
; COMPUTE_PGM_RSRC2:TGID_Y_EN: 0
; COMPUTE_PGM_RSRC2:TGID_Z_EN: 0
; COMPUTE_PGM_RSRC2:TIDIG_COMP_CNT: 0
	.section	.text._Z10sort_pairsILj256ELj4ELj1EhN10test_utils4lessEEvPKT2_PS2_T3_,"axG",@progbits,_Z10sort_pairsILj256ELj4ELj1EhN10test_utils4lessEEvPKT2_PS2_T3_,comdat
	.protected	_Z10sort_pairsILj256ELj4ELj1EhN10test_utils4lessEEvPKT2_PS2_T3_ ; -- Begin function _Z10sort_pairsILj256ELj4ELj1EhN10test_utils4lessEEvPKT2_PS2_T3_
	.globl	_Z10sort_pairsILj256ELj4ELj1EhN10test_utils4lessEEvPKT2_PS2_T3_
	.p2align	8
	.type	_Z10sort_pairsILj256ELj4ELj1EhN10test_utils4lessEEvPKT2_PS2_T3_,@function
_Z10sort_pairsILj256ELj4ELj1EhN10test_utils4lessEEvPKT2_PS2_T3_: ; @_Z10sort_pairsILj256ELj4ELj1EhN10test_utils4lessEEvPKT2_PS2_T3_
; %bb.0:
	s_load_dwordx4 s[0:3], s[4:5], 0x0
	s_lshl_b32 s4, s6, 8
	v_mbcnt_lo_u32_b32 v1, -1, 0
	v_lshrrev_b32_e32 v9, 2, v0
	v_mov_b32_e32 v8, 0
	v_and_b32_e32 v7, 2, v1
	v_and_b32_e32 v6, 1, v1
	;; [unrolled: 1-line block ×3, first 2 shown]
	v_mul_u32_u24_e32 v1, 5, v9
	v_or_b32_e32 v5, 1, v7
	v_sub_nc_u32_e32 v3, v5, v7
	s_waitcnt lgkmcnt(0)
	s_add_u32 s0, s0, s4
	s_addc_u32 s1, s1, 0
	v_min_i32_e32 v10, v6, v3
	global_load_ubyte v4, v0, s[0:1]
	v_mad_u32_u24 v3, v9, 5, v2
	s_mov_b32 s0, 0
	s_mov_b32 s1, exec_lo
	; wave barrier
	s_waitcnt vmcnt(0)
	ds_write_b8 v3, v4
	; wave barrier
	v_cmpx_lt_i32_e32 0, v10
	s_cbranch_execz .LBB97_4
; %bb.1:
	v_add_nc_u32_e32 v9, v1, v7
	v_mov_b32_e32 v10, 1
	v_mov_b32_e32 v8, 0
	v_add_nc_u32_e32 v11, v9, v6
	.p2align	6
.LBB97_2:                               ; =>This Inner Loop Header: Depth=1
	v_sub_nc_u32_e32 v12, v10, v8
	v_lshrrev_b32_e32 v12, 1, v12
	v_add_nc_u32_e32 v12, v12, v8
	v_add_nc_u32_e32 v13, v9, v12
	v_sub_nc_u32_e32 v14, v11, v12
	v_add_nc_u32_e32 v15, 1, v12
	ds_read_u8 v13, v13
	ds_read_u8 v14, v14
	s_waitcnt lgkmcnt(0)
	v_cmp_lt_u16_e32 vcc_lo, v14, v13
	v_cndmask_b32_e32 v10, v10, v12, vcc_lo
	v_cndmask_b32_e32 v8, v15, v8, vcc_lo
	v_cmp_ge_i32_e32 vcc_lo, v8, v10
	s_or_b32 s0, vcc_lo, s0
	s_andn2_b32 exec_lo, exec_lo, s0
	s_cbranch_execnz .LBB97_2
; %bb.3:
	s_or_b32 exec_lo, exec_lo, s0
.LBB97_4:
	s_or_b32 exec_lo, exec_lo, s1
	v_add_nc_u32_e32 v9, v7, v6
	v_add_nc_u32_e32 v7, v8, v7
	;; [unrolled: 1-line block ×3, first 2 shown]
	v_cmp_lt_i32_e32 vcc_lo, 0, v8
	v_sub_nc_u32_e32 v9, v9, v8
	v_add_nc_u32_e32 v10, v1, v7
	v_sub_nc_u32_e32 v6, v6, v8
	v_add_nc_u32_e32 v9, v1, v9
	ds_read_u8 v10, v10
	ds_read_u8 v9, v9 offset:1
	v_cmp_ge_i32_e64 s0, v5, v6
	; wave barrier
	s_waitcnt lgkmcnt(0)
	v_cmp_lt_u16_sdwa s1, v9, v10 src0_sel:BYTE_0 src1_sel:BYTE_0
	s_or_b32 s1, vcc_lo, s1
	s_and_b32 vcc_lo, s0, s1
	s_mov_b32 s0, 0
	v_cndmask_b32_e32 v5, v7, v6, vcc_lo
	v_add_nc_u16 v6, v4, 1
	v_add_nc_u32_e32 v4, v1, v2
	v_cndmask_b32_e32 v8, v10, v9, vcc_lo
	v_min_u32_e32 v7, 2, v2
	v_add_nc_u32_e32 v5, v1, v5
	s_mov_b32 s1, exec_lo
	ds_write_b8 v4, v6
	; wave barrier
	ds_read_u8 v5, v5
	v_sub_nc_u32_e64 v6, v2, 2 clamp
	; wave barrier
	ds_write_b8 v4, v8
	; wave barrier
	v_cmpx_lt_u32_e64 v6, v7
	s_cbranch_execz .LBB97_7
	.p2align	6
.LBB97_5:                               ; =>This Inner Loop Header: Depth=1
	v_sub_nc_u32_e32 v8, v7, v6
	v_lshrrev_b32_e32 v8, 1, v8
	v_add_nc_u32_e32 v8, v8, v6
	v_add_nc_u32_e32 v9, v1, v8
	v_xad_u32 v10, v8, -1, v3
	v_add_nc_u32_e32 v11, 1, v8
	ds_read_u8 v9, v9
	ds_read_u8 v10, v10 offset:2
	s_waitcnt lgkmcnt(0)
	v_cmp_lt_u16_e32 vcc_lo, v10, v9
	v_cndmask_b32_e32 v7, v7, v8, vcc_lo
	v_cndmask_b32_e32 v6, v11, v6, vcc_lo
	v_cmp_ge_i32_e32 vcc_lo, v6, v7
	s_or_b32 s0, vcc_lo, s0
	s_andn2_b32 exec_lo, exec_lo, s0
	s_cbranch_execnz .LBB97_5
; %bb.6:
	s_or_b32 exec_lo, exec_lo, s0
.LBB97_7:
	s_or_b32 exec_lo, exec_lo, s1
	v_sub_nc_u32_e32 v2, v2, v6
	v_add_nc_u32_e32 v3, v1, v6
	v_cmp_lt_i32_e32 vcc_lo, 1, v6
	v_add_nc_u32_e32 v7, v1, v2
	v_add_nc_u32_e32 v2, 2, v2
	ds_read_u8 v3, v3
	ds_read_u8 v7, v7 offset:2
	v_cmp_gt_i32_e64 s0, 4, v2
	; wave barrier
	s_waitcnt lgkmcnt(3)
	ds_write_b8 v4, v5
	; wave barrier
	s_waitcnt lgkmcnt(1)
	v_cmp_lt_u16_sdwa s1, v7, v3 src0_sel:BYTE_0 src1_sel:BYTE_0
	s_or_b32 s1, vcc_lo, s1
	s_and_b32 vcc_lo, s0, s1
	s_add_u32 s0, s2, s4
	v_cndmask_b32_e32 v2, v6, v2, vcc_lo
	v_cndmask_b32_e32 v3, v3, v7, vcc_lo
	s_addc_u32 s1, s3, 0
	v_add_co_u32 v0, s0, s0, v0
	v_add_nc_u32_e32 v1, v1, v2
	ds_read_u8 v1, v1
	s_waitcnt lgkmcnt(0)
	v_add_nc_u16 v2, v1, v3
	v_add_co_ci_u32_e64 v1, null, s1, 0, s0
	global_store_byte v[0:1], v2, off
	s_endpgm
	.section	.rodata,"a",@progbits
	.p2align	6, 0x0
	.amdhsa_kernel _Z10sort_pairsILj256ELj4ELj1EhN10test_utils4lessEEvPKT2_PS2_T3_
		.amdhsa_group_segment_fixed_size 320
		.amdhsa_private_segment_fixed_size 0
		.amdhsa_kernarg_size 20
		.amdhsa_user_sgpr_count 6
		.amdhsa_user_sgpr_private_segment_buffer 1
		.amdhsa_user_sgpr_dispatch_ptr 0
		.amdhsa_user_sgpr_queue_ptr 0
		.amdhsa_user_sgpr_kernarg_segment_ptr 1
		.amdhsa_user_sgpr_dispatch_id 0
		.amdhsa_user_sgpr_flat_scratch_init 0
		.amdhsa_user_sgpr_private_segment_size 0
		.amdhsa_wavefront_size32 1
		.amdhsa_uses_dynamic_stack 0
		.amdhsa_system_sgpr_private_segment_wavefront_offset 0
		.amdhsa_system_sgpr_workgroup_id_x 1
		.amdhsa_system_sgpr_workgroup_id_y 0
		.amdhsa_system_sgpr_workgroup_id_z 0
		.amdhsa_system_sgpr_workgroup_info 0
		.amdhsa_system_vgpr_workitem_id 0
		.amdhsa_next_free_vgpr 16
		.amdhsa_next_free_sgpr 7
		.amdhsa_reserve_vcc 1
		.amdhsa_reserve_flat_scratch 0
		.amdhsa_float_round_mode_32 0
		.amdhsa_float_round_mode_16_64 0
		.amdhsa_float_denorm_mode_32 3
		.amdhsa_float_denorm_mode_16_64 3
		.amdhsa_dx10_clamp 1
		.amdhsa_ieee_mode 1
		.amdhsa_fp16_overflow 0
		.amdhsa_workgroup_processor_mode 1
		.amdhsa_memory_ordered 1
		.amdhsa_forward_progress 1
		.amdhsa_shared_vgpr_count 0
		.amdhsa_exception_fp_ieee_invalid_op 0
		.amdhsa_exception_fp_denorm_src 0
		.amdhsa_exception_fp_ieee_div_zero 0
		.amdhsa_exception_fp_ieee_overflow 0
		.amdhsa_exception_fp_ieee_underflow 0
		.amdhsa_exception_fp_ieee_inexact 0
		.amdhsa_exception_int_div_zero 0
	.end_amdhsa_kernel
	.section	.text._Z10sort_pairsILj256ELj4ELj1EhN10test_utils4lessEEvPKT2_PS2_T3_,"axG",@progbits,_Z10sort_pairsILj256ELj4ELj1EhN10test_utils4lessEEvPKT2_PS2_T3_,comdat
.Lfunc_end97:
	.size	_Z10sort_pairsILj256ELj4ELj1EhN10test_utils4lessEEvPKT2_PS2_T3_, .Lfunc_end97-_Z10sort_pairsILj256ELj4ELj1EhN10test_utils4lessEEvPKT2_PS2_T3_
                                        ; -- End function
	.set _Z10sort_pairsILj256ELj4ELj1EhN10test_utils4lessEEvPKT2_PS2_T3_.num_vgpr, 16
	.set _Z10sort_pairsILj256ELj4ELj1EhN10test_utils4lessEEvPKT2_PS2_T3_.num_agpr, 0
	.set _Z10sort_pairsILj256ELj4ELj1EhN10test_utils4lessEEvPKT2_PS2_T3_.numbered_sgpr, 7
	.set _Z10sort_pairsILj256ELj4ELj1EhN10test_utils4lessEEvPKT2_PS2_T3_.num_named_barrier, 0
	.set _Z10sort_pairsILj256ELj4ELj1EhN10test_utils4lessEEvPKT2_PS2_T3_.private_seg_size, 0
	.set _Z10sort_pairsILj256ELj4ELj1EhN10test_utils4lessEEvPKT2_PS2_T3_.uses_vcc, 1
	.set _Z10sort_pairsILj256ELj4ELj1EhN10test_utils4lessEEvPKT2_PS2_T3_.uses_flat_scratch, 0
	.set _Z10sort_pairsILj256ELj4ELj1EhN10test_utils4lessEEvPKT2_PS2_T3_.has_dyn_sized_stack, 0
	.set _Z10sort_pairsILj256ELj4ELj1EhN10test_utils4lessEEvPKT2_PS2_T3_.has_recursion, 0
	.set _Z10sort_pairsILj256ELj4ELj1EhN10test_utils4lessEEvPKT2_PS2_T3_.has_indirect_call, 0
	.section	.AMDGPU.csdata,"",@progbits
; Kernel info:
; codeLenInByte = 612
; TotalNumSgprs: 9
; NumVgprs: 16
; ScratchSize: 0
; MemoryBound: 0
; FloatMode: 240
; IeeeMode: 1
; LDSByteSize: 320 bytes/workgroup (compile time only)
; SGPRBlocks: 0
; VGPRBlocks: 1
; NumSGPRsForWavesPerEU: 9
; NumVGPRsForWavesPerEU: 16
; Occupancy: 16
; WaveLimiterHint : 0
; COMPUTE_PGM_RSRC2:SCRATCH_EN: 0
; COMPUTE_PGM_RSRC2:USER_SGPR: 6
; COMPUTE_PGM_RSRC2:TRAP_HANDLER: 0
; COMPUTE_PGM_RSRC2:TGID_X_EN: 1
; COMPUTE_PGM_RSRC2:TGID_Y_EN: 0
; COMPUTE_PGM_RSRC2:TGID_Z_EN: 0
; COMPUTE_PGM_RSRC2:TIDIG_COMP_CNT: 0
	.section	.text._Z19sort_keys_segmentedILj256ELj4ELj1EhN10test_utils4lessEEvPKT2_PS2_PKjT3_,"axG",@progbits,_Z19sort_keys_segmentedILj256ELj4ELj1EhN10test_utils4lessEEvPKT2_PS2_PKjT3_,comdat
	.protected	_Z19sort_keys_segmentedILj256ELj4ELj1EhN10test_utils4lessEEvPKT2_PS2_PKjT3_ ; -- Begin function _Z19sort_keys_segmentedILj256ELj4ELj1EhN10test_utils4lessEEvPKT2_PS2_PKjT3_
	.globl	_Z19sort_keys_segmentedILj256ELj4ELj1EhN10test_utils4lessEEvPKT2_PS2_PKjT3_
	.p2align	8
	.type	_Z19sort_keys_segmentedILj256ELj4ELj1EhN10test_utils4lessEEvPKT2_PS2_PKjT3_,@function
_Z19sort_keys_segmentedILj256ELj4ELj1EhN10test_utils4lessEEvPKT2_PS2_PKjT3_: ; @_Z19sort_keys_segmentedILj256ELj4ELj1EhN10test_utils4lessEEvPKT2_PS2_PKjT3_
; %bb.0:
	s_load_dwordx2 s[0:1], s[4:5], 0x10
	v_lshrrev_b32_e32 v3, 2, v0
	v_mov_b32_e32 v7, 0
	v_mbcnt_lo_u32_b32 v5, -1, 0
	v_lshl_or_b32 v6, s6, 6, v3
	s_load_dwordx4 s[4:7], s[4:5], 0x0
	v_lshlrev_b64 v[0:1], 2, v[6:7]
	v_lshlrev_b32_e32 v2, 2, v6
	s_waitcnt lgkmcnt(0)
	v_add_co_u32 v0, vcc_lo, s0, v0
	v_add_co_ci_u32_e64 v1, null, s1, v1, vcc_lo
	global_load_dword v4, v[0:1], off
	v_and_b32_e32 v0, 3, v5
	v_mov_b32_e32 v1, v7
	s_waitcnt vmcnt(0)
	v_cmp_ge_u32_e64 s0, v0, v4
	v_cmp_lt_u32_e32 vcc_lo, v0, v4
	s_and_saveexec_b32 s1, s0
	s_xor_b32 s0, exec_lo, s1
	s_or_saveexec_b32 s1, s0
                                        ; implicit-def: $vgpr11
	s_xor_b32 exec_lo, exec_lo, s1
	s_cbranch_execz .LBB98_2
; %bb.1:
	v_add_co_u32 v6, s0, s4, v2
	v_add_co_ci_u32_e64 v7, null, s5, 0, s0
	v_add_co_u32 v6, s0, v6, v0
	v_add_co_ci_u32_e64 v7, null, 0, v7, s0
	global_load_ubyte v11, v[6:7], off
.LBB98_2:
	s_or_b32 exec_lo, exec_lo, s1
	v_and_b32_e32 v6, 2, v5
	v_and_b32_e32 v9, 1, v5
	s_mov_b32 s2, 0
	s_mov_b32 s1, exec_lo
	v_min_i32_e32 v7, v4, v6
	; wave barrier
	v_add_nc_u32_e32 v6, 1, v7
	v_min_i32_e32 v6, v4, v6
	v_add_nc_u32_e32 v8, 1, v6
	v_sub_nc_u32_e32 v12, v6, v7
	v_min_i32_e32 v5, v4, v8
	v_min_i32_e32 v8, v4, v9
	v_sub_nc_u32_e32 v9, v5, v6
	v_sub_nc_u32_e32 v10, v8, v9
	v_cmp_ge_i32_e64 s0, v8, v9
	v_cndmask_b32_e64 v9, 0, v10, s0
	v_min_i32_e32 v10, v8, v12
	v_mad_u32_u24 v12, v3, 5, v0
	v_mul_u32_u24_e32 v3, 5, v3
	s_waitcnt vmcnt(0)
	ds_write_b8 v12, v11
	; wave barrier
	v_cmpx_lt_i32_e64 v9, v10
	s_cbranch_execz .LBB98_6
; %bb.3:
	v_add_nc_u32_e32 v11, v3, v7
	v_add3_u32 v12, v3, v6, v8
	.p2align	6
.LBB98_4:                               ; =>This Inner Loop Header: Depth=1
	v_sub_nc_u32_e32 v13, v10, v9
	v_lshrrev_b32_e32 v13, 1, v13
	v_add_nc_u32_e32 v13, v13, v9
	v_add_nc_u32_e32 v14, v11, v13
	v_xad_u32 v15, v13, -1, v12
	v_add_nc_u32_e32 v16, 1, v13
	ds_read_u8 v14, v14
	ds_read_u8 v15, v15
	s_waitcnt lgkmcnt(0)
	v_cmp_lt_u16_e64 s0, v15, v14
	v_cndmask_b32_e64 v10, v10, v13, s0
	v_cndmask_b32_e64 v9, v16, v9, s0
	v_cmp_ge_i32_e64 s0, v9, v10
	s_or_b32 s2, s0, s2
	s_andn2_b32 exec_lo, exec_lo, s2
	s_cbranch_execnz .LBB98_4
; %bb.5:
	s_or_b32 exec_lo, exec_lo, s2
.LBB98_6:
	s_or_b32 exec_lo, exec_lo, s1
	v_add_nc_u32_e32 v8, v6, v8
	v_add_nc_u32_e32 v10, v9, v7
	v_sub_nc_u32_e32 v11, v8, v9
	v_min_i32_e32 v9, 0, v4
	v_add_nc_u32_e32 v7, v3, v10
	v_cmp_le_i32_e64 s0, v6, v10
	v_add_nc_u32_e32 v10, v3, v0
	v_add_nc_u32_e32 v8, v3, v11
	;; [unrolled: 1-line block ×3, first 2 shown]
	v_cmp_gt_i32_e64 s1, v5, v11
	ds_read_u8 v13, v7
	ds_read_u8 v14, v8
	v_min_i32_e32 v8, v4, v12
	; wave barrier
	v_add_nc_u32_e32 v7, 2, v8
	v_sub_nc_u32_e32 v6, v8, v9
	v_min_i32_e32 v7, v4, v7
	v_min_i32_e32 v4, v4, v0
	v_sub_nc_u32_e32 v12, v7, v8
	v_min_i32_e32 v6, v4, v6
	s_waitcnt lgkmcnt(0)
	v_cmp_lt_u16_sdwa s2, v14, v13 src0_sel:BYTE_0 src1_sel:BYTE_0
	v_sub_nc_u32_e32 v15, v4, v12
	s_or_b32 s2, s0, s2
	v_cmp_ge_i32_e64 s0, v4, v12
	v_cndmask_b32_e64 v5, 0, v15, s0
	s_and_b32 s0, s1, s2
	s_mov_b32 s1, 0
	v_cndmask_b32_e64 v11, v13, v14, s0
	s_mov_b32 s2, exec_lo
	ds_write_b8 v10, v11
	; wave barrier
	v_cmpx_lt_i32_e64 v5, v6
	s_cbranch_execnz .LBB98_9
; %bb.7:
	s_or_b32 exec_lo, exec_lo, s2
	s_and_saveexec_b32 s0, vcc_lo
	s_cbranch_execnz .LBB98_12
.LBB98_8:
	s_endpgm
.LBB98_9:
	v_add_nc_u32_e32 v10, v3, v9
	v_add3_u32 v11, v3, v8, v4
	.p2align	6
.LBB98_10:                              ; =>This Inner Loop Header: Depth=1
	v_sub_nc_u32_e32 v12, v6, v5
	v_lshrrev_b32_e32 v12, 1, v12
	v_add_nc_u32_e32 v12, v12, v5
	v_add_nc_u32_e32 v13, v10, v12
	v_xad_u32 v14, v12, -1, v11
	v_add_nc_u32_e32 v15, 1, v12
	ds_read_u8 v13, v13
	ds_read_u8 v14, v14
	s_waitcnt lgkmcnt(0)
	v_cmp_lt_u16_e64 s0, v14, v13
	v_cndmask_b32_e64 v6, v6, v12, s0
	v_cndmask_b32_e64 v5, v15, v5, s0
	v_cmp_ge_i32_e64 s0, v5, v6
	s_or_b32 s1, s0, s1
	s_andn2_b32 exec_lo, exec_lo, s1
	s_cbranch_execnz .LBB98_10
; %bb.11:
	s_or_b32 exec_lo, exec_lo, s1
	s_or_b32 exec_lo, exec_lo, s2
	s_and_saveexec_b32 s0, vcc_lo
	s_cbranch_execz .LBB98_8
.LBB98_12:
	v_add_nc_u32_e32 v4, v8, v4
	v_add_co_u32 v2, s0, s6, v2
	v_sub_nc_u32_e32 v4, v4, v5
	v_add_nc_u32_e32 v5, v5, v9
	v_add_nc_u32_e32 v6, v3, v4
	;; [unrolled: 1-line block ×3, first 2 shown]
	v_cmp_le_i32_e32 vcc_lo, v8, v5
	v_add_co_ci_u32_e64 v5, null, s7, 0, s0
	ds_read_u8 v6, v6
	ds_read_u8 v3, v3
	v_cmp_gt_i32_e64 s0, v7, v4
	s_waitcnt lgkmcnt(0)
	v_cmp_lt_u16_sdwa s1, v6, v3 src0_sel:BYTE_0 src1_sel:BYTE_0
	s_or_b32 s1, vcc_lo, s1
	v_add_co_u32 v0, vcc_lo, v2, v0
	v_add_co_ci_u32_e64 v1, null, v5, v1, vcc_lo
	s_and_b32 vcc_lo, s0, s1
	v_cndmask_b32_e32 v2, v3, v6, vcc_lo
	global_store_byte v[0:1], v2, off
	s_endpgm
	.section	.rodata,"a",@progbits
	.p2align	6, 0x0
	.amdhsa_kernel _Z19sort_keys_segmentedILj256ELj4ELj1EhN10test_utils4lessEEvPKT2_PS2_PKjT3_
		.amdhsa_group_segment_fixed_size 320
		.amdhsa_private_segment_fixed_size 0
		.amdhsa_kernarg_size 28
		.amdhsa_user_sgpr_count 6
		.amdhsa_user_sgpr_private_segment_buffer 1
		.amdhsa_user_sgpr_dispatch_ptr 0
		.amdhsa_user_sgpr_queue_ptr 0
		.amdhsa_user_sgpr_kernarg_segment_ptr 1
		.amdhsa_user_sgpr_dispatch_id 0
		.amdhsa_user_sgpr_flat_scratch_init 0
		.amdhsa_user_sgpr_private_segment_size 0
		.amdhsa_wavefront_size32 1
		.amdhsa_uses_dynamic_stack 0
		.amdhsa_system_sgpr_private_segment_wavefront_offset 0
		.amdhsa_system_sgpr_workgroup_id_x 1
		.amdhsa_system_sgpr_workgroup_id_y 0
		.amdhsa_system_sgpr_workgroup_id_z 0
		.amdhsa_system_sgpr_workgroup_info 0
		.amdhsa_system_vgpr_workitem_id 0
		.amdhsa_next_free_vgpr 17
		.amdhsa_next_free_sgpr 8
		.amdhsa_reserve_vcc 1
		.amdhsa_reserve_flat_scratch 0
		.amdhsa_float_round_mode_32 0
		.amdhsa_float_round_mode_16_64 0
		.amdhsa_float_denorm_mode_32 3
		.amdhsa_float_denorm_mode_16_64 3
		.amdhsa_dx10_clamp 1
		.amdhsa_ieee_mode 1
		.amdhsa_fp16_overflow 0
		.amdhsa_workgroup_processor_mode 1
		.amdhsa_memory_ordered 1
		.amdhsa_forward_progress 1
		.amdhsa_shared_vgpr_count 0
		.amdhsa_exception_fp_ieee_invalid_op 0
		.amdhsa_exception_fp_denorm_src 0
		.amdhsa_exception_fp_ieee_div_zero 0
		.amdhsa_exception_fp_ieee_overflow 0
		.amdhsa_exception_fp_ieee_underflow 0
		.amdhsa_exception_fp_ieee_inexact 0
		.amdhsa_exception_int_div_zero 0
	.end_amdhsa_kernel
	.section	.text._Z19sort_keys_segmentedILj256ELj4ELj1EhN10test_utils4lessEEvPKT2_PS2_PKjT3_,"axG",@progbits,_Z19sort_keys_segmentedILj256ELj4ELj1EhN10test_utils4lessEEvPKT2_PS2_PKjT3_,comdat
.Lfunc_end98:
	.size	_Z19sort_keys_segmentedILj256ELj4ELj1EhN10test_utils4lessEEvPKT2_PS2_PKjT3_, .Lfunc_end98-_Z19sort_keys_segmentedILj256ELj4ELj1EhN10test_utils4lessEEvPKT2_PS2_PKjT3_
                                        ; -- End function
	.set _Z19sort_keys_segmentedILj256ELj4ELj1EhN10test_utils4lessEEvPKT2_PS2_PKjT3_.num_vgpr, 17
	.set _Z19sort_keys_segmentedILj256ELj4ELj1EhN10test_utils4lessEEvPKT2_PS2_PKjT3_.num_agpr, 0
	.set _Z19sort_keys_segmentedILj256ELj4ELj1EhN10test_utils4lessEEvPKT2_PS2_PKjT3_.numbered_sgpr, 8
	.set _Z19sort_keys_segmentedILj256ELj4ELj1EhN10test_utils4lessEEvPKT2_PS2_PKjT3_.num_named_barrier, 0
	.set _Z19sort_keys_segmentedILj256ELj4ELj1EhN10test_utils4lessEEvPKT2_PS2_PKjT3_.private_seg_size, 0
	.set _Z19sort_keys_segmentedILj256ELj4ELj1EhN10test_utils4lessEEvPKT2_PS2_PKjT3_.uses_vcc, 1
	.set _Z19sort_keys_segmentedILj256ELj4ELj1EhN10test_utils4lessEEvPKT2_PS2_PKjT3_.uses_flat_scratch, 0
	.set _Z19sort_keys_segmentedILj256ELj4ELj1EhN10test_utils4lessEEvPKT2_PS2_PKjT3_.has_dyn_sized_stack, 0
	.set _Z19sort_keys_segmentedILj256ELj4ELj1EhN10test_utils4lessEEvPKT2_PS2_PKjT3_.has_recursion, 0
	.set _Z19sort_keys_segmentedILj256ELj4ELj1EhN10test_utils4lessEEvPKT2_PS2_PKjT3_.has_indirect_call, 0
	.section	.AMDGPU.csdata,"",@progbits
; Kernel info:
; codeLenInByte = 864
; TotalNumSgprs: 10
; NumVgprs: 17
; ScratchSize: 0
; MemoryBound: 0
; FloatMode: 240
; IeeeMode: 1
; LDSByteSize: 320 bytes/workgroup (compile time only)
; SGPRBlocks: 0
; VGPRBlocks: 2
; NumSGPRsForWavesPerEU: 10
; NumVGPRsForWavesPerEU: 17
; Occupancy: 16
; WaveLimiterHint : 0
; COMPUTE_PGM_RSRC2:SCRATCH_EN: 0
; COMPUTE_PGM_RSRC2:USER_SGPR: 6
; COMPUTE_PGM_RSRC2:TRAP_HANDLER: 0
; COMPUTE_PGM_RSRC2:TGID_X_EN: 1
; COMPUTE_PGM_RSRC2:TGID_Y_EN: 0
; COMPUTE_PGM_RSRC2:TGID_Z_EN: 0
; COMPUTE_PGM_RSRC2:TIDIG_COMP_CNT: 0
	.section	.text._Z20sort_pairs_segmentedILj256ELj4ELj1EhN10test_utils4lessEEvPKT2_PS2_PKjT3_,"axG",@progbits,_Z20sort_pairs_segmentedILj256ELj4ELj1EhN10test_utils4lessEEvPKT2_PS2_PKjT3_,comdat
	.protected	_Z20sort_pairs_segmentedILj256ELj4ELj1EhN10test_utils4lessEEvPKT2_PS2_PKjT3_ ; -- Begin function _Z20sort_pairs_segmentedILj256ELj4ELj1EhN10test_utils4lessEEvPKT2_PS2_PKjT3_
	.globl	_Z20sort_pairs_segmentedILj256ELj4ELj1EhN10test_utils4lessEEvPKT2_PS2_PKjT3_
	.p2align	8
	.type	_Z20sort_pairs_segmentedILj256ELj4ELj1EhN10test_utils4lessEEvPKT2_PS2_PKjT3_,@function
_Z20sort_pairs_segmentedILj256ELj4ELj1EhN10test_utils4lessEEvPKT2_PS2_PKjT3_: ; @_Z20sort_pairs_segmentedILj256ELj4ELj1EhN10test_utils4lessEEvPKT2_PS2_PKjT3_
; %bb.0:
	s_load_dwordx2 s[0:1], s[4:5], 0x10
	v_lshrrev_b32_e32 v3, 2, v0
	v_mov_b32_e32 v2, 0
	v_mbcnt_lo_u32_b32 v7, -1, 0
	v_lshl_or_b32 v1, s6, 6, v3
	s_load_dwordx4 s[4:7], s[4:5], 0x0
	v_and_b32_e32 v0, 3, v7
	v_lshlrev_b64 v[4:5], 2, v[1:2]
	v_lshlrev_b32_e32 v1, 2, v1
	s_waitcnt lgkmcnt(0)
	v_add_co_u32 v4, vcc_lo, s0, v4
	v_add_co_ci_u32_e64 v5, null, s1, v5, vcc_lo
	global_load_dword v4, v[4:5], off
	s_waitcnt vmcnt(0)
	v_cmp_ge_u32_e64 s0, v0, v4
	v_cmp_lt_u32_e32 vcc_lo, v0, v4
	s_and_saveexec_b32 s1, s0
	s_xor_b32 s0, exec_lo, s1
	s_or_saveexec_b32 s1, s0
                                        ; implicit-def: $vgpr5
	s_xor_b32 exec_lo, exec_lo, s1
	s_cbranch_execz .LBB99_2
; %bb.1:
	v_add_co_u32 v5, s0, s4, v1
	v_add_co_ci_u32_e64 v6, null, s5, 0, s0
	v_add_co_u32 v5, s0, v5, v0
	v_add_co_ci_u32_e64 v6, null, 0, v6, s0
	global_load_ubyte v5, v[5:6], off
.LBB99_2:
	s_or_b32 exec_lo, exec_lo, s1
	v_and_b32_e32 v6, 2, v7
	v_and_b32_e32 v10, 1, v7
	s_mov_b32 s2, 0
	s_mov_b32 s1, exec_lo
	v_min_i32_e32 v8, v4, v6
	; wave barrier
	v_add_nc_u32_e32 v6, 1, v8
	v_min_i32_e32 v6, v4, v6
	v_add_nc_u32_e32 v9, 1, v6
	v_sub_nc_u32_e32 v12, v6, v8
	v_min_i32_e32 v7, v4, v9
	v_min_i32_e32 v9, v4, v10
	v_sub_nc_u32_e32 v10, v7, v6
	v_sub_nc_u32_e32 v11, v9, v10
	v_cmp_ge_i32_e64 s0, v9, v10
	v_cndmask_b32_e64 v10, 0, v11, s0
	v_min_i32_e32 v11, v9, v12
	v_mad_u32_u24 v12, v3, 5, v0
	v_mul_u32_u24_e32 v3, 5, v3
	s_waitcnt vmcnt(0)
	ds_write_b8 v12, v5
	; wave barrier
	v_cmpx_lt_i32_e64 v10, v11
	s_cbranch_execz .LBB99_6
; %bb.3:
	v_add_nc_u32_e32 v12, v3, v8
	v_add3_u32 v13, v3, v6, v9
	.p2align	6
.LBB99_4:                               ; =>This Inner Loop Header: Depth=1
	v_sub_nc_u32_e32 v14, v11, v10
	v_lshrrev_b32_e32 v14, 1, v14
	v_add_nc_u32_e32 v14, v14, v10
	v_add_nc_u32_e32 v15, v12, v14
	v_xad_u32 v16, v14, -1, v13
	v_add_nc_u32_e32 v17, 1, v14
	ds_read_u8 v15, v15
	ds_read_u8 v16, v16
	s_waitcnt lgkmcnt(0)
	v_cmp_lt_u16_e64 s0, v16, v15
	v_cndmask_b32_e64 v11, v11, v14, s0
	v_cndmask_b32_e64 v10, v17, v10, s0
	v_cmp_ge_i32_e64 s0, v10, v11
	s_or_b32 s2, s0, s2
	s_andn2_b32 exec_lo, exec_lo, s2
	s_cbranch_execnz .LBB99_4
; %bb.5:
	s_or_b32 exec_lo, exec_lo, s2
.LBB99_6:
	s_or_b32 exec_lo, exec_lo, s1
	v_add_nc_u32_e32 v9, v6, v9
	v_add_nc_u32_e32 v11, v10, v8
	v_add_nc_u16 v5, v5, 1
	v_sub_nc_u32_e32 v9, v9, v10
	v_add_nc_u32_e32 v8, v3, v11
	v_cmp_le_i32_e64 s0, v6, v11
	v_add_nc_u32_e32 v10, v3, v9
	v_cmp_gt_i32_e64 s1, v7, v9
	v_add_nc_u32_e32 v7, v3, v0
	ds_read_u8 v12, v8
	ds_read_u8 v10, v10
	v_min_i32_e32 v8, 0, v4
	; wave barrier
	ds_write_b8 v7, v5
	v_add_nc_u32_e32 v6, 2, v8
	; wave barrier
	v_min_i32_e32 v6, v4, v6
	v_sub_nc_u32_e32 v13, v6, v8
	s_waitcnt lgkmcnt(1)
	v_cmp_lt_u16_sdwa s2, v10, v12 src0_sel:BYTE_0 src1_sel:BYTE_0
	s_or_b32 s0, s0, s2
	s_mov_b32 s2, 0
	s_and_b32 s0, s1, s0
	s_mov_b32 s1, exec_lo
	v_cndmask_b32_e64 v12, v12, v10, s0
	v_add_nc_u32_e32 v10, 2, v6
	v_cndmask_b32_e64 v9, v11, v9, s0
	v_min_i32_e32 v5, v4, v10
	v_add_nc_u32_e32 v10, v3, v9
	v_min_i32_e32 v9, v4, v0
	v_sub_nc_u32_e32 v11, v5, v6
	ds_read_u8 v4, v10
	; wave barrier
	ds_write_b8 v7, v12
	v_sub_nc_u32_e32 v10, v9, v11
	v_cmp_ge_i32_e64 s0, v9, v11
	v_min_i32_e32 v11, v9, v13
	; wave barrier
	v_cndmask_b32_e64 v10, 0, v10, s0
	v_cmpx_lt_i32_e64 v10, v11
	s_cbranch_execz .LBB99_10
; %bb.7:
	v_add_nc_u32_e32 v12, v3, v8
	v_add3_u32 v13, v3, v6, v9
	.p2align	6
.LBB99_8:                               ; =>This Inner Loop Header: Depth=1
	v_sub_nc_u32_e32 v14, v11, v10
	v_lshrrev_b32_e32 v14, 1, v14
	v_add_nc_u32_e32 v14, v14, v10
	v_add_nc_u32_e32 v15, v12, v14
	v_xad_u32 v16, v14, -1, v13
	v_add_nc_u32_e32 v17, 1, v14
	ds_read_u8 v15, v15
	ds_read_u8 v16, v16
	s_waitcnt lgkmcnt(0)
	v_cmp_lt_u16_e64 s0, v16, v15
	v_cndmask_b32_e64 v11, v11, v14, s0
	v_cndmask_b32_e64 v10, v17, v10, s0
	v_cmp_ge_i32_e64 s0, v10, v11
	s_or_b32 s2, s0, s2
	s_andn2_b32 exec_lo, exec_lo, s2
	s_cbranch_execnz .LBB99_8
; %bb.9:
	s_or_b32 exec_lo, exec_lo, s2
.LBB99_10:
	s_or_b32 exec_lo, exec_lo, s1
	v_add_nc_u32_e32 v9, v6, v9
	v_add_nc_u32_e32 v8, v10, v8
	v_sub_nc_u32_e32 v9, v9, v10
	v_add_nc_u32_e32 v10, v3, v8
	v_add_nc_u32_e32 v11, v3, v9
	ds_read_u8 v10, v10
	ds_read_u8 v11, v11
	; wave barrier
	s_waitcnt lgkmcnt(3)
	ds_write_b8 v7, v4
	; wave barrier
	s_and_saveexec_b32 s0, vcc_lo
	s_cbranch_execz .LBB99_12
; %bb.11:
	v_cmp_le_i32_e32 vcc_lo, v6, v8
	s_waitcnt lgkmcnt(1)
	v_cmp_lt_u16_sdwa s1, v11, v10 src0_sel:BYTE_0 src1_sel:BYTE_0
	v_cmp_gt_i32_e64 s0, v5, v9
	s_or_b32 s1, vcc_lo, s1
	s_and_b32 vcc_lo, s0, s1
	v_add_co_u32 v1, s0, s6, v1
	v_cndmask_b32_e32 v5, v8, v9, vcc_lo
	v_cndmask_b32_e32 v4, v10, v11, vcc_lo
	v_add_co_u32 v0, vcc_lo, v1, v0
	v_add_nc_u32_e32 v3, v3, v5
	v_add_co_ci_u32_e64 v5, null, s7, 0, s0
	ds_read_u8 v3, v3
	v_add_co_ci_u32_e64 v1, null, v5, v2, vcc_lo
	s_waitcnt lgkmcnt(0)
	v_add_nc_u16 v3, v3, v4
	global_store_byte v[0:1], v3, off
.LBB99_12:
	s_endpgm
	.section	.rodata,"a",@progbits
	.p2align	6, 0x0
	.amdhsa_kernel _Z20sort_pairs_segmentedILj256ELj4ELj1EhN10test_utils4lessEEvPKT2_PS2_PKjT3_
		.amdhsa_group_segment_fixed_size 320
		.amdhsa_private_segment_fixed_size 0
		.amdhsa_kernarg_size 28
		.amdhsa_user_sgpr_count 6
		.amdhsa_user_sgpr_private_segment_buffer 1
		.amdhsa_user_sgpr_dispatch_ptr 0
		.amdhsa_user_sgpr_queue_ptr 0
		.amdhsa_user_sgpr_kernarg_segment_ptr 1
		.amdhsa_user_sgpr_dispatch_id 0
		.amdhsa_user_sgpr_flat_scratch_init 0
		.amdhsa_user_sgpr_private_segment_size 0
		.amdhsa_wavefront_size32 1
		.amdhsa_uses_dynamic_stack 0
		.amdhsa_system_sgpr_private_segment_wavefront_offset 0
		.amdhsa_system_sgpr_workgroup_id_x 1
		.amdhsa_system_sgpr_workgroup_id_y 0
		.amdhsa_system_sgpr_workgroup_id_z 0
		.amdhsa_system_sgpr_workgroup_info 0
		.amdhsa_system_vgpr_workitem_id 0
		.amdhsa_next_free_vgpr 18
		.amdhsa_next_free_sgpr 8
		.amdhsa_reserve_vcc 1
		.amdhsa_reserve_flat_scratch 0
		.amdhsa_float_round_mode_32 0
		.amdhsa_float_round_mode_16_64 0
		.amdhsa_float_denorm_mode_32 3
		.amdhsa_float_denorm_mode_16_64 3
		.amdhsa_dx10_clamp 1
		.amdhsa_ieee_mode 1
		.amdhsa_fp16_overflow 0
		.amdhsa_workgroup_processor_mode 1
		.amdhsa_memory_ordered 1
		.amdhsa_forward_progress 1
		.amdhsa_shared_vgpr_count 0
		.amdhsa_exception_fp_ieee_invalid_op 0
		.amdhsa_exception_fp_denorm_src 0
		.amdhsa_exception_fp_ieee_div_zero 0
		.amdhsa_exception_fp_ieee_overflow 0
		.amdhsa_exception_fp_ieee_underflow 0
		.amdhsa_exception_fp_ieee_inexact 0
		.amdhsa_exception_int_div_zero 0
	.end_amdhsa_kernel
	.section	.text._Z20sort_pairs_segmentedILj256ELj4ELj1EhN10test_utils4lessEEvPKT2_PS2_PKjT3_,"axG",@progbits,_Z20sort_pairs_segmentedILj256ELj4ELj1EhN10test_utils4lessEEvPKT2_PS2_PKjT3_,comdat
.Lfunc_end99:
	.size	_Z20sort_pairs_segmentedILj256ELj4ELj1EhN10test_utils4lessEEvPKT2_PS2_PKjT3_, .Lfunc_end99-_Z20sort_pairs_segmentedILj256ELj4ELj1EhN10test_utils4lessEEvPKT2_PS2_PKjT3_
                                        ; -- End function
	.set _Z20sort_pairs_segmentedILj256ELj4ELj1EhN10test_utils4lessEEvPKT2_PS2_PKjT3_.num_vgpr, 18
	.set _Z20sort_pairs_segmentedILj256ELj4ELj1EhN10test_utils4lessEEvPKT2_PS2_PKjT3_.num_agpr, 0
	.set _Z20sort_pairs_segmentedILj256ELj4ELj1EhN10test_utils4lessEEvPKT2_PS2_PKjT3_.numbered_sgpr, 8
	.set _Z20sort_pairs_segmentedILj256ELj4ELj1EhN10test_utils4lessEEvPKT2_PS2_PKjT3_.num_named_barrier, 0
	.set _Z20sort_pairs_segmentedILj256ELj4ELj1EhN10test_utils4lessEEvPKT2_PS2_PKjT3_.private_seg_size, 0
	.set _Z20sort_pairs_segmentedILj256ELj4ELj1EhN10test_utils4lessEEvPKT2_PS2_PKjT3_.uses_vcc, 1
	.set _Z20sort_pairs_segmentedILj256ELj4ELj1EhN10test_utils4lessEEvPKT2_PS2_PKjT3_.uses_flat_scratch, 0
	.set _Z20sort_pairs_segmentedILj256ELj4ELj1EhN10test_utils4lessEEvPKT2_PS2_PKjT3_.has_dyn_sized_stack, 0
	.set _Z20sort_pairs_segmentedILj256ELj4ELj1EhN10test_utils4lessEEvPKT2_PS2_PKjT3_.has_recursion, 0
	.set _Z20sort_pairs_segmentedILj256ELj4ELj1EhN10test_utils4lessEEvPKT2_PS2_PKjT3_.has_indirect_call, 0
	.section	.AMDGPU.csdata,"",@progbits
; Kernel info:
; codeLenInByte = 904
; TotalNumSgprs: 10
; NumVgprs: 18
; ScratchSize: 0
; MemoryBound: 0
; FloatMode: 240
; IeeeMode: 1
; LDSByteSize: 320 bytes/workgroup (compile time only)
; SGPRBlocks: 0
; VGPRBlocks: 2
; NumSGPRsForWavesPerEU: 10
; NumVGPRsForWavesPerEU: 18
; Occupancy: 16
; WaveLimiterHint : 0
; COMPUTE_PGM_RSRC2:SCRATCH_EN: 0
; COMPUTE_PGM_RSRC2:USER_SGPR: 6
; COMPUTE_PGM_RSRC2:TRAP_HANDLER: 0
; COMPUTE_PGM_RSRC2:TGID_X_EN: 1
; COMPUTE_PGM_RSRC2:TGID_Y_EN: 0
; COMPUTE_PGM_RSRC2:TGID_Z_EN: 0
; COMPUTE_PGM_RSRC2:TIDIG_COMP_CNT: 0
	.section	.text._Z9sort_keysILj256ELj4ELj4EhN10test_utils4lessEEvPKT2_PS2_T3_,"axG",@progbits,_Z9sort_keysILj256ELj4ELj4EhN10test_utils4lessEEvPKT2_PS2_T3_,comdat
	.protected	_Z9sort_keysILj256ELj4ELj4EhN10test_utils4lessEEvPKT2_PS2_T3_ ; -- Begin function _Z9sort_keysILj256ELj4ELj4EhN10test_utils4lessEEvPKT2_PS2_T3_
	.globl	_Z9sort_keysILj256ELj4ELj4EhN10test_utils4lessEEvPKT2_PS2_T3_
	.p2align	8
	.type	_Z9sort_keysILj256ELj4ELj4EhN10test_utils4lessEEvPKT2_PS2_T3_,@function
_Z9sort_keysILj256ELj4ELj4EhN10test_utils4lessEEvPKT2_PS2_T3_: ; @_Z9sort_keysILj256ELj4ELj4EhN10test_utils4lessEEvPKT2_PS2_T3_
; %bb.0:
	s_load_dwordx4 s[8:11], s[4:5], 0x0
	s_lshl_b32 s3, s6, 10
	v_lshlrev_b32_e32 v1, 2, v0
	v_mov_b32_e32 v8, 0xffffff00
	v_lshrrev_b32_e32 v0, 2, v0
	s_waitcnt lgkmcnt(0)
	s_add_u32 s0, s8, s3
	s_addc_u32 s1, s9, 0
	global_load_dword v2, v1, s[0:1]
	s_mov_b32 s1, exec_lo
	; wave barrier
	s_waitcnt vmcnt(0)
	v_lshrrev_b32_e32 v3, 8, v2
	v_and_b32_e32 v4, 0xff, v2
	v_perm_b32 v5, v2, v2, 0x7060405
	v_and_b32_e32 v3, 0xff, v3
	v_cmp_lt_u16_e32 vcc_lo, v3, v4
	v_cndmask_b32_e32 v2, v2, v5, vcc_lo
	v_lshrrev_b32_e32 v5, 16, v2
	v_lshrrev_b32_e32 v7, 24, v2
	v_perm_b32 v6, 0, v5, 0xc0c0001
	v_and_b32_e32 v5, 0xff, v5
	v_lshlrev_b32_e32 v6, 16, v6
	v_cmp_lt_u16_e32 vcc_lo, v7, v5
	v_min_u16 v9, v7, v5
	v_and_or_b32 v6, 0xffff, v2, v6
	v_cndmask_b32_e32 v2, v2, v6, vcc_lo
	v_min_u16 v6, v3, v4
	v_max_u16 v3, v3, v4
	v_lshlrev_b16 v4, 8, v9
	v_and_b32_sdwa v10, v2, v8 dst_sel:DWORD dst_unused:UNUSED_PAD src0_sel:WORD_1 src1_sel:DWORD
	v_lshlrev_b16 v11, 8, v6
	v_min_u16 v12, v9, v3
	v_or_b32_sdwa v4, v2, v4 dst_sel:DWORD dst_unused:UNUSED_PAD src0_sel:BYTE_0 src1_sel:DWORD
	v_cmp_lt_u16_e32 vcc_lo, v9, v3
	v_or_b32_sdwa v10, v3, v10 dst_sel:WORD_1 dst_unused:UNUSED_PAD src0_sel:DWORD src1_sel:DWORD
	v_or_b32_e32 v11, v12, v11
	v_or_b32_sdwa v4, v4, v10 dst_sel:DWORD dst_unused:UNUSED_PAD src0_sel:WORD_0 src1_sel:DWORD
	v_max_u16 v10, v9, v3
	v_and_b32_e32 v11, 0xffff, v11
	v_cndmask_b32_e32 v2, v2, v4, vcc_lo
	v_max_u16 v4, v7, v5
	v_lshlrev_b16 v5, 8, v10
	v_cmp_lt_u16_e32 vcc_lo, v9, v6
	v_and_or_b32 v7, 0xffff0000, v2, v11
	v_cmp_gt_u16_e64 s0, v3, v4
	v_or_b32_sdwa v5, v4, v5 dst_sel:WORD_1 dst_unused:UNUSED_PAD src0_sel:DWORD src1_sel:DWORD
	v_cndmask_b32_e32 v11, v12, v6, vcc_lo
	v_cndmask_b32_e32 v2, v2, v7, vcc_lo
	v_mbcnt_lo_u32_b32 v7, -1, 0
	v_cndmask_b32_e64 v10, v10, v4, s0
	v_and_or_b32 v5, 0xffff, v2, v5
	v_lshlrev_b32_e32 v3, 2, v7
	v_lshlrev_b16 v6, 8, v10
	v_cmp_lt_u16_e32 vcc_lo, v10, v11
	v_cndmask_b32_e64 v7, v2, v5, s0
	v_and_b32_e32 v5, 8, v3
	s_mov_b32 s0, 0
	v_and_b32_sdwa v2, v7, v8 dst_sel:DWORD dst_unused:UNUSED_PAD src0_sel:WORD_1 src1_sel:DWORD
	v_or_b32_e32 v4, 4, v5
	v_or_b32_sdwa v6, v7, v6 dst_sel:DWORD dst_unused:UNUSED_PAD src0_sel:BYTE_0 src1_sel:DWORD
	v_and_b32_e32 v8, 4, v3
	v_or_b32_sdwa v9, v11, v2 dst_sel:WORD_1 dst_unused:UNUSED_PAD src0_sel:DWORD src1_sel:DWORD
	v_and_b32_e32 v2, 12, v3
	v_sub_nc_u32_e32 v12, v4, v5
	v_or_b32_sdwa v13, v6, v9 dst_sel:DWORD dst_unused:UNUSED_PAD src0_sel:WORD_0 src1_sel:DWORD
	v_mov_b32_e32 v9, 0
	v_mad_u32_u24 v3, v0, 17, v2
	v_min_i32_e32 v6, v8, v12
	v_mul_u32_u24_e32 v0, 17, v0
	v_cndmask_b32_e32 v7, v7, v13, vcc_lo
	ds_write_b32 v3, v7
	; wave barrier
	v_cmpx_lt_i32_e32 0, v6
	s_cbranch_execz .LBB100_4
; %bb.1:
	v_add_nc_u32_e32 v7, v0, v5
	v_mov_b32_e32 v9, 0
	v_add_nc_u32_e32 v10, v7, v8
	.p2align	6
.LBB100_2:                              ; =>This Inner Loop Header: Depth=1
	v_sub_nc_u32_e32 v11, v6, v9
	v_lshrrev_b32_e32 v11, 1, v11
	v_add_nc_u32_e32 v11, v11, v9
	v_add_nc_u32_e32 v12, v7, v11
	v_xad_u32 v13, v11, -1, v10
	v_add_nc_u32_e32 v14, 1, v11
	ds_read_u8 v12, v12
	ds_read_u8 v13, v13 offset:4
	s_waitcnt lgkmcnt(0)
	v_cmp_lt_u16_e32 vcc_lo, v13, v12
	v_cndmask_b32_e32 v6, v6, v11, vcc_lo
	v_cndmask_b32_e32 v9, v14, v9, vcc_lo
	v_cmp_ge_i32_e32 vcc_lo, v9, v6
	s_or_b32 s0, vcc_lo, s0
	s_andn2_b32 exec_lo, exec_lo, s0
	s_cbranch_execnz .LBB100_2
; %bb.3:
	s_or_b32 exec_lo, exec_lo, s0
.LBB100_4:
	s_or_b32 exec_lo, exec_lo, s1
	v_add_nc_u32_e32 v6, v5, v8
	v_add_nc_u32_e32 v10, v9, v5
	;; [unrolled: 1-line block ×4, first 2 shown]
	v_cmp_lt_i32_e32 vcc_lo, 3, v9
	v_sub_nc_u32_e32 v6, v6, v9
	v_add_nc_u32_e32 v13, v0, v10
	v_sub_nc_u32_e32 v11, v8, v9
                                        ; implicit-def: $vgpr8
	v_add_nc_u32_e32 v12, v0, v6
	ds_read_u8 v6, v13
	ds_read_u8 v7, v12 offset:4
	v_cmp_gt_i32_e64 s0, v5, v11
	s_waitcnt lgkmcnt(0)
	v_cmp_lt_u16_sdwa s1, v7, v6 src0_sel:BYTE_0 src1_sel:BYTE_0
	s_or_b32 s1, vcc_lo, s1
	s_and_b32 vcc_lo, s0, s1
	s_xor_b32 s0, vcc_lo, -1
	s_and_saveexec_b32 s1, s0
	s_xor_b32 s0, exec_lo, s1
; %bb.5:
	ds_read_u8 v8, v13 offset:1
                                        ; implicit-def: $vgpr12
; %bb.6:
	s_or_saveexec_b32 s0, s0
	v_mov_b32_e32 v9, v7
	s_xor_b32 exec_lo, exec_lo, s0
	s_cbranch_execz .LBB100_8
; %bb.7:
	ds_read_u8 v9, v12 offset:5
	s_waitcnt lgkmcnt(1)
	v_mov_b32_e32 v8, v6
.LBB100_8:
	s_or_b32 exec_lo, exec_lo, s0
	v_add_nc_u32_e32 v12, 1, v10
	v_add_nc_u32_e32 v14, 1, v11
	s_waitcnt lgkmcnt(0)
	v_cmp_lt_u16_sdwa s2, v9, v8 src0_sel:BYTE_0 src1_sel:BYTE_0
	v_cndmask_b32_e32 v13, v12, v10, vcc_lo
	v_cndmask_b32_e32 v12, v11, v14, vcc_lo
                                        ; implicit-def: $vgpr10
	v_cmp_ge_i32_e64 s0, v13, v4
	v_cmp_lt_i32_e64 s1, v12, v5
	s_or_b32 s0, s0, s2
	s_and_b32 s0, s1, s0
	s_xor_b32 s1, s0, -1
	s_and_saveexec_b32 s2, s1
	s_xor_b32 s1, exec_lo, s2
; %bb.9:
	v_add_nc_u32_e32 v10, v0, v13
	ds_read_u8 v10, v10 offset:1
; %bb.10:
	s_or_saveexec_b32 s1, s1
	v_mov_b32_e32 v11, v9
	s_xor_b32 exec_lo, exec_lo, s1
	s_cbranch_execz .LBB100_12
; %bb.11:
	s_waitcnt lgkmcnt(0)
	v_add_nc_u32_e32 v10, v0, v12
	ds_read_u8 v11, v10 offset:1
	v_mov_b32_e32 v10, v8
.LBB100_12:
	s_or_b32 exec_lo, exec_lo, s1
	v_add_nc_u32_e32 v14, 1, v13
	v_add_nc_u32_e32 v15, 1, v12
	s_waitcnt lgkmcnt(0)
	v_cmp_lt_u16_sdwa s4, v11, v10 src0_sel:BYTE_0 src1_sel:BYTE_0
	v_cndmask_b32_e64 v14, v14, v13, s0
	v_cndmask_b32_e64 v13, v12, v15, s0
                                        ; implicit-def: $vgpr12
	v_cmp_ge_i32_e64 s1, v14, v4
	v_cmp_lt_i32_e64 s2, v13, v5
	s_or_b32 s1, s1, s4
	s_and_b32 s1, s2, s1
	s_xor_b32 s2, s1, -1
	s_and_saveexec_b32 s4, s2
	s_xor_b32 s2, exec_lo, s4
; %bb.13:
	v_add_nc_u32_e32 v12, v0, v14
	ds_read_u8 v12, v12 offset:1
; %bb.14:
	s_or_saveexec_b32 s2, s2
	v_mov_b32_e32 v15, v11
	s_xor_b32 exec_lo, exec_lo, s2
	s_cbranch_execz .LBB100_16
; %bb.15:
	s_waitcnt lgkmcnt(0)
	v_add_nc_u32_e32 v12, v0, v13
	ds_read_u8 v15, v12 offset:1
	v_mov_b32_e32 v12, v10
.LBB100_16:
	s_or_b32 exec_lo, exec_lo, s2
	v_add_nc_u32_e32 v16, 1, v14
	v_add_nc_u32_e32 v17, 1, v13
	v_cndmask_b32_e64 v10, v10, v11, s1
	v_cndmask_b32_e64 v8, v8, v9, s0
	v_cndmask_b32_e32 v7, v6, v7, vcc_lo
	v_cndmask_b32_e64 v11, v16, v14, s1
	v_cndmask_b32_e64 v9, v13, v17, s1
	s_waitcnt lgkmcnt(0)
	v_cmp_lt_u16_sdwa s1, v15, v12 src0_sel:BYTE_0 src1_sel:BYTE_0
	v_sub_nc_u32_e64 v6, v2, 8 clamp
	v_cmp_ge_i32_e32 vcc_lo, v11, v4
	v_cmp_lt_i32_e64 s0, v9, v5
	v_min_u32_e32 v4, 8, v2
	; wave barrier
	s_or_b32 s1, vcc_lo, s1
	s_and_b32 vcc_lo, s0, s1
	s_mov_b32 s0, exec_lo
	v_cndmask_b32_e32 v5, v12, v15, vcc_lo
	ds_write_b8 v3, v7
	ds_write_b8 v3, v8 offset:1
	ds_write_b8 v3, v10 offset:2
	;; [unrolled: 1-line block ×3, first 2 shown]
	; wave barrier
	v_cmpx_lt_u32_e64 v6, v4
	s_cbranch_execz .LBB100_20
; %bb.17:
	s_mov_b32 s1, 0
	.p2align	6
.LBB100_18:                             ; =>This Inner Loop Header: Depth=1
	v_sub_nc_u32_e32 v5, v4, v6
	v_lshrrev_b32_e32 v5, 1, v5
	v_add_nc_u32_e32 v5, v5, v6
	v_add_nc_u32_e32 v7, v0, v5
	v_xad_u32 v8, v5, -1, v3
	v_add_nc_u32_e32 v9, 1, v5
	ds_read_u8 v7, v7
	ds_read_u8 v8, v8 offset:8
	s_waitcnt lgkmcnt(0)
	v_cmp_lt_u16_e32 vcc_lo, v8, v7
	v_cndmask_b32_e32 v4, v4, v5, vcc_lo
	v_cndmask_b32_e32 v6, v9, v6, vcc_lo
	v_cmp_ge_i32_e32 vcc_lo, v6, v4
	s_or_b32 s1, vcc_lo, s1
	s_andn2_b32 exec_lo, exec_lo, s1
	s_cbranch_execnz .LBB100_18
; %bb.19:
	s_or_b32 exec_lo, exec_lo, s1
.LBB100_20:
	s_or_b32 exec_lo, exec_lo, s0
	v_sub_nc_u32_e32 v4, v2, v6
	v_add_nc_u32_e32 v5, v0, v6
	v_cmp_lt_i32_e32 vcc_lo, 7, v6
	v_add_nc_u32_e32 v8, v0, v4
	v_add_nc_u32_e32 v7, 8, v4
                                        ; implicit-def: $vgpr4
	ds_read_u8 v2, v5
	ds_read_u8 v3, v8 offset:8
	v_cmp_gt_i32_e64 s0, 16, v7
	s_waitcnt lgkmcnt(0)
	v_cmp_lt_u16_sdwa s1, v3, v2 src0_sel:BYTE_0 src1_sel:BYTE_0
	s_or_b32 s1, vcc_lo, s1
	s_and_b32 s0, s0, s1
	s_xor_b32 s1, s0, -1
	s_and_saveexec_b32 s2, s1
	s_xor_b32 s1, exec_lo, s2
; %bb.21:
	ds_read_u8 v4, v5 offset:1
                                        ; implicit-def: $vgpr8
; %bb.22:
	s_or_saveexec_b32 s1, s1
	v_mov_b32_e32 v5, v3
	s_xor_b32 exec_lo, exec_lo, s1
	s_cbranch_execz .LBB100_24
; %bb.23:
	ds_read_u8 v5, v8 offset:9
	s_waitcnt lgkmcnt(1)
	v_mov_b32_e32 v4, v2
.LBB100_24:
	s_or_b32 exec_lo, exec_lo, s1
	v_add_nc_u32_e32 v8, 1, v6
	v_add_nc_u32_e32 v10, 1, v7
	s_waitcnt lgkmcnt(0)
	v_cmp_lt_u16_sdwa s2, v5, v4 src0_sel:BYTE_0 src1_sel:BYTE_0
	v_cndmask_b32_e64 v9, v8, v6, s0
	v_cndmask_b32_e64 v8, v7, v10, s0
                                        ; implicit-def: $vgpr7
	v_cmp_lt_i32_e32 vcc_lo, 7, v9
	v_cmp_gt_i32_e64 s1, 16, v8
	s_or_b32 s2, vcc_lo, s2
	s_and_b32 vcc_lo, s1, s2
	s_xor_b32 s1, vcc_lo, -1
	s_and_saveexec_b32 s2, s1
	s_xor_b32 s1, exec_lo, s2
; %bb.25:
	v_add_nc_u32_e32 v6, v0, v9
	ds_read_u8 v7, v6 offset:1
; %bb.26:
	s_or_saveexec_b32 s1, s1
	v_mov_b32_e32 v6, v5
	s_xor_b32 exec_lo, exec_lo, s1
	s_cbranch_execz .LBB100_28
; %bb.27:
	v_add_nc_u32_e32 v6, v0, v8
	s_waitcnt lgkmcnt(0)
	v_mov_b32_e32 v7, v4
	ds_read_u8 v6, v6 offset:1
.LBB100_28:
	s_or_b32 exec_lo, exec_lo, s1
	v_add_nc_u32_e32 v10, 1, v9
	v_add_nc_u32_e32 v11, 1, v8
	s_waitcnt lgkmcnt(0)
	v_cmp_ge_u16_sdwa s4, v6, v7 src0_sel:BYTE_0 src1_sel:BYTE_0
                                        ; implicit-def: $vgpr12
	v_cndmask_b32_e32 v10, v10, v9, vcc_lo
	v_cndmask_b32_e32 v8, v8, v11, vcc_lo
                                        ; implicit-def: $vgpr9
	v_cmp_gt_i32_e64 s1, 8, v10
	v_cmp_lt_i32_e64 s2, 15, v8
	s_and_b32 s1, s1, s4
	s_or_b32 s1, s2, s1
	s_and_saveexec_b32 s2, s1
	s_xor_b32 s1, exec_lo, s2
; %bb.29:
	v_add_nc_u32_e32 v0, v0, v10
	v_add_nc_u32_e32 v12, 1, v10
                                        ; implicit-def: $vgpr10
	ds_read_u8 v9, v0 offset:1
                                        ; implicit-def: $vgpr0
; %bb.30:
	s_or_saveexec_b32 s1, s1
	v_mov_b32_e32 v11, v7
	s_xor_b32 exec_lo, exec_lo, s1
	s_cbranch_execz .LBB100_32
; %bb.31:
	v_add_nc_u32_e32 v0, v0, v8
	v_add_nc_u32_e32 v8, 1, v8
	v_mov_b32_e32 v11, v6
	v_mov_b32_e32 v12, v10
	s_waitcnt lgkmcnt(0)
	v_mov_b32_e32 v9, v7
	ds_read_u8 v0, v0 offset:1
	s_waitcnt lgkmcnt(0)
	v_mov_b32_e32 v6, v0
.LBB100_32:
	s_or_b32 exec_lo, exec_lo, s1
	v_cmp_lt_i32_e64 s1, 7, v12
	s_waitcnt lgkmcnt(0)
	v_cmp_lt_u16_sdwa s4, v6, v9 src0_sel:BYTE_0 src1_sel:BYTE_0
	v_cmp_gt_i32_e64 s2, 16, v8
	v_cndmask_b32_sdwa v4, v4, v5, vcc_lo dst_sel:BYTE_1 dst_unused:UNUSED_PAD src0_sel:DWORD src1_sel:DWORD
	v_cndmask_b32_e64 v2, v2, v3, s0
	s_or_b32 s1, s1, s4
	s_and_b32 s1, s2, s1
	v_or_b32_sdwa v2, v2, v4 dst_sel:DWORD dst_unused:UNUSED_PAD src0_sel:BYTE_0 src1_sel:DWORD
	v_cndmask_b32_e64 v0, v9, v6, s1
	s_add_u32 s0, s10, s3
	s_addc_u32 s1, s11, 0
	v_lshlrev_b16 v0, 8, v0
	v_or_b32_sdwa v3, v11, v0 dst_sel:WORD_1 dst_unused:UNUSED_PAD src0_sel:BYTE_0 src1_sel:DWORD
	v_add_co_u32 v0, s0, s0, v1
	v_add_co_ci_u32_e64 v1, null, s1, 0, s0
	v_or_b32_sdwa v2, v2, v3 dst_sel:DWORD dst_unused:UNUSED_PAD src0_sel:WORD_0 src1_sel:DWORD
	global_store_dword v[0:1], v2, off
	s_endpgm
	.section	.rodata,"a",@progbits
	.p2align	6, 0x0
	.amdhsa_kernel _Z9sort_keysILj256ELj4ELj4EhN10test_utils4lessEEvPKT2_PS2_T3_
		.amdhsa_group_segment_fixed_size 1088
		.amdhsa_private_segment_fixed_size 0
		.amdhsa_kernarg_size 20
		.amdhsa_user_sgpr_count 6
		.amdhsa_user_sgpr_private_segment_buffer 1
		.amdhsa_user_sgpr_dispatch_ptr 0
		.amdhsa_user_sgpr_queue_ptr 0
		.amdhsa_user_sgpr_kernarg_segment_ptr 1
		.amdhsa_user_sgpr_dispatch_id 0
		.amdhsa_user_sgpr_flat_scratch_init 0
		.amdhsa_user_sgpr_private_segment_size 0
		.amdhsa_wavefront_size32 1
		.amdhsa_uses_dynamic_stack 0
		.amdhsa_system_sgpr_private_segment_wavefront_offset 0
		.amdhsa_system_sgpr_workgroup_id_x 1
		.amdhsa_system_sgpr_workgroup_id_y 0
		.amdhsa_system_sgpr_workgroup_id_z 0
		.amdhsa_system_sgpr_workgroup_info 0
		.amdhsa_system_vgpr_workitem_id 0
		.amdhsa_next_free_vgpr 18
		.amdhsa_next_free_sgpr 12
		.amdhsa_reserve_vcc 1
		.amdhsa_reserve_flat_scratch 0
		.amdhsa_float_round_mode_32 0
		.amdhsa_float_round_mode_16_64 0
		.amdhsa_float_denorm_mode_32 3
		.amdhsa_float_denorm_mode_16_64 3
		.amdhsa_dx10_clamp 1
		.amdhsa_ieee_mode 1
		.amdhsa_fp16_overflow 0
		.amdhsa_workgroup_processor_mode 1
		.amdhsa_memory_ordered 1
		.amdhsa_forward_progress 1
		.amdhsa_shared_vgpr_count 0
		.amdhsa_exception_fp_ieee_invalid_op 0
		.amdhsa_exception_fp_denorm_src 0
		.amdhsa_exception_fp_ieee_div_zero 0
		.amdhsa_exception_fp_ieee_overflow 0
		.amdhsa_exception_fp_ieee_underflow 0
		.amdhsa_exception_fp_ieee_inexact 0
		.amdhsa_exception_int_div_zero 0
	.end_amdhsa_kernel
	.section	.text._Z9sort_keysILj256ELj4ELj4EhN10test_utils4lessEEvPKT2_PS2_T3_,"axG",@progbits,_Z9sort_keysILj256ELj4ELj4EhN10test_utils4lessEEvPKT2_PS2_T3_,comdat
.Lfunc_end100:
	.size	_Z9sort_keysILj256ELj4ELj4EhN10test_utils4lessEEvPKT2_PS2_T3_, .Lfunc_end100-_Z9sort_keysILj256ELj4ELj4EhN10test_utils4lessEEvPKT2_PS2_T3_
                                        ; -- End function
	.set _Z9sort_keysILj256ELj4ELj4EhN10test_utils4lessEEvPKT2_PS2_T3_.num_vgpr, 18
	.set _Z9sort_keysILj256ELj4ELj4EhN10test_utils4lessEEvPKT2_PS2_T3_.num_agpr, 0
	.set _Z9sort_keysILj256ELj4ELj4EhN10test_utils4lessEEvPKT2_PS2_T3_.numbered_sgpr, 12
	.set _Z9sort_keysILj256ELj4ELj4EhN10test_utils4lessEEvPKT2_PS2_T3_.num_named_barrier, 0
	.set _Z9sort_keysILj256ELj4ELj4EhN10test_utils4lessEEvPKT2_PS2_T3_.private_seg_size, 0
	.set _Z9sort_keysILj256ELj4ELj4EhN10test_utils4lessEEvPKT2_PS2_T3_.uses_vcc, 1
	.set _Z9sort_keysILj256ELj4ELj4EhN10test_utils4lessEEvPKT2_PS2_T3_.uses_flat_scratch, 0
	.set _Z9sort_keysILj256ELj4ELj4EhN10test_utils4lessEEvPKT2_PS2_T3_.has_dyn_sized_stack, 0
	.set _Z9sort_keysILj256ELj4ELj4EhN10test_utils4lessEEvPKT2_PS2_T3_.has_recursion, 0
	.set _Z9sort_keysILj256ELj4ELj4EhN10test_utils4lessEEvPKT2_PS2_T3_.has_indirect_call, 0
	.section	.AMDGPU.csdata,"",@progbits
; Kernel info:
; codeLenInByte = 1740
; TotalNumSgprs: 14
; NumVgprs: 18
; ScratchSize: 0
; MemoryBound: 0
; FloatMode: 240
; IeeeMode: 1
; LDSByteSize: 1088 bytes/workgroup (compile time only)
; SGPRBlocks: 0
; VGPRBlocks: 2
; NumSGPRsForWavesPerEU: 14
; NumVGPRsForWavesPerEU: 18
; Occupancy: 16
; WaveLimiterHint : 0
; COMPUTE_PGM_RSRC2:SCRATCH_EN: 0
; COMPUTE_PGM_RSRC2:USER_SGPR: 6
; COMPUTE_PGM_RSRC2:TRAP_HANDLER: 0
; COMPUTE_PGM_RSRC2:TGID_X_EN: 1
; COMPUTE_PGM_RSRC2:TGID_Y_EN: 0
; COMPUTE_PGM_RSRC2:TGID_Z_EN: 0
; COMPUTE_PGM_RSRC2:TIDIG_COMP_CNT: 0
	.section	.text._Z10sort_pairsILj256ELj4ELj4EhN10test_utils4lessEEvPKT2_PS2_T3_,"axG",@progbits,_Z10sort_pairsILj256ELj4ELj4EhN10test_utils4lessEEvPKT2_PS2_T3_,comdat
	.protected	_Z10sort_pairsILj256ELj4ELj4EhN10test_utils4lessEEvPKT2_PS2_T3_ ; -- Begin function _Z10sort_pairsILj256ELj4ELj4EhN10test_utils4lessEEvPKT2_PS2_T3_
	.globl	_Z10sort_pairsILj256ELj4ELj4EhN10test_utils4lessEEvPKT2_PS2_T3_
	.p2align	8
	.type	_Z10sort_pairsILj256ELj4ELj4EhN10test_utils4lessEEvPKT2_PS2_T3_,@function
_Z10sort_pairsILj256ELj4ELj4EhN10test_utils4lessEEvPKT2_PS2_T3_: ; @_Z10sort_pairsILj256ELj4ELj4EhN10test_utils4lessEEvPKT2_PS2_T3_
; %bb.0:
	s_load_dwordx4 s[8:11], s[4:5], 0x0
	s_lshl_b32 s12, s6, 10
	v_lshlrev_b32_e32 v1, 2, v0
	v_mov_b32_e32 v8, 0xffffff00
	v_lshrrev_b32_e32 v0, 2, v0
	v_mov_b32_e32 v11, 0
	s_mov_b32 s6, 0
	s_mov_b32 s7, exec_lo
	s_waitcnt lgkmcnt(0)
	s_add_u32 s0, s8, s12
	s_addc_u32 s1, s9, 0
	global_load_dword v4, v1, s[0:1]
	; wave barrier
	s_waitcnt vmcnt(0)
	v_lshrrev_b32_e32 v5, 8, v4
	v_perm_b32 v2, v4, v4, 0x7060405
	v_cmp_lt_u16_sdwa vcc_lo, v5, v4 src0_sel:BYTE_0 src1_sel:BYTE_0
	v_cndmask_b32_e32 v2, v4, v2, vcc_lo
	v_lshrrev_b32_e32 v3, 16, v2
	v_lshrrev_b32_e32 v7, 24, v2
	v_perm_b32 v6, 0, v3, 0xc0c0001
	v_and_b32_e32 v3, 0xff, v3
	v_lshlrev_b32_e32 v6, 16, v6
	v_cmp_lt_u16_e64 s0, v7, v3
	v_min_u16 v9, v7, v3
	v_and_or_b32 v6, 0xffff, v2, v6
	v_lshlrev_b16 v3, 8, v9
	v_cndmask_b32_e64 v2, v2, v6, s0
	v_and_b32_sdwa v6, v2, v8 dst_sel:DWORD dst_unused:UNUSED_PAD src0_sel:WORD_1 src1_sel:DWORD
	v_lshrrev_b32_e32 v7, 8, v2
	v_or_b32_sdwa v3, v2, v3 dst_sel:DWORD dst_unused:UNUSED_PAD src0_sel:BYTE_0 src1_sel:DWORD
	v_or_b32_sdwa v6, v2, v6 dst_sel:WORD_1 dst_unused:UNUSED_PAD src0_sel:BYTE_1 src1_sel:DWORD
	v_and_b32_e32 v7, 0xff, v7
	v_or_b32_sdwa v3, v3, v6 dst_sel:DWORD dst_unused:UNUSED_PAD src0_sel:WORD_0 src1_sel:DWORD
	v_cmp_lt_u16_e64 s1, v9, v7
	v_cndmask_b32_e64 v2, v2, v3, s1
	v_min_u16 v3, v9, v7
	v_mbcnt_lo_u32_b32 v7, -1, 0
	v_lshlrev_b16 v6, 8, v2
	v_cmp_lt_u16_sdwa s2, v3, v2 src0_sel:DWORD src1_sel:BYTE_0
	v_lshlrev_b32_e32 v10, 2, v7
	v_or_b32_e32 v6, v3, v6
	v_and_b32_e32 v7, 8, v10
	v_and_b32_e32 v6, 0xffff, v6
	v_and_or_b32 v6, 0xffff0000, v2, v6
	v_cndmask_b32_e64 v2, v2, v6, s2
	v_lshrrev_b32_e32 v3, 16, v2
	v_lshrrev_b32_e32 v9, 24, v2
	v_perm_b32 v6, 0, v3, 0xc0c0001
	v_and_b32_e32 v3, 0xff, v3
	v_lshlrev_b32_e32 v6, 16, v6
	v_cmp_lt_u16_e64 s3, v9, v3
	v_min_u16 v12, v9, v3
	v_and_or_b32 v6, 0xffff, v2, v6
	v_cndmask_b32_e64 v9, v2, v6, s3
	v_lshlrev_b16 v2, 8, v12
	v_or_b32_e32 v6, 4, v7
	v_and_b32_sdwa v3, v9, v8 dst_sel:DWORD dst_unused:UNUSED_PAD src0_sel:WORD_1 src1_sel:DWORD
	v_or_b32_sdwa v2, v9, v2 dst_sel:DWORD dst_unused:UNUSED_PAD src0_sel:BYTE_0 src1_sel:DWORD
	v_lshrrev_b32_e32 v14, 8, v9
	v_sub_nc_u32_e32 v13, v6, v7
	v_or_b32_sdwa v8, v9, v3 dst_sel:WORD_1 dst_unused:UNUSED_PAD src0_sel:BYTE_1 src1_sel:DWORD
	v_and_b32_e32 v3, 12, v10
	v_and_b32_e32 v10, 4, v10
	v_cmp_lt_u16_sdwa s4, v12, v14 src0_sel:DWORD src1_sel:BYTE_0
	v_or_b32_sdwa v15, v2, v8 dst_sel:DWORD dst_unused:UNUSED_PAD src0_sel:WORD_0 src1_sel:DWORD
	v_mad_u32_u24 v2, v0, 17, v3
	v_min_i32_e32 v8, v10, v13
	v_mul_u32_u24_e32 v0, 17, v0
	v_cndmask_b32_e64 v9, v9, v15, s4
	ds_write_b32 v2, v9
	; wave barrier
	v_cmpx_lt_i32_e32 0, v8
	s_cbranch_execz .LBB101_4
; %bb.1:
	v_add_nc_u32_e32 v9, v0, v7
	v_mov_b32_e32 v11, 0
	v_add_nc_u32_e32 v12, v9, v10
	.p2align	6
.LBB101_2:                              ; =>This Inner Loop Header: Depth=1
	v_sub_nc_u32_e32 v13, v8, v11
	v_lshrrev_b32_e32 v13, 1, v13
	v_add_nc_u32_e32 v13, v13, v11
	v_add_nc_u32_e32 v14, v9, v13
	v_xad_u32 v15, v13, -1, v12
	v_add_nc_u32_e32 v16, 1, v13
	ds_read_u8 v14, v14
	ds_read_u8 v15, v15 offset:4
	s_waitcnt lgkmcnt(0)
	v_cmp_lt_u16_e64 s5, v15, v14
	v_cndmask_b32_e64 v8, v8, v13, s5
	v_cndmask_b32_e64 v11, v16, v11, s5
	v_cmp_ge_i32_e64 s5, v11, v8
	s_or_b32 s6, s5, s6
	s_andn2_b32 exec_lo, exec_lo, s6
	s_cbranch_execnz .LBB101_2
; %bb.3:
	s_or_b32 exec_lo, exec_lo, s6
.LBB101_4:
	s_or_b32 exec_lo, exec_lo, s7
	v_mov_b32_e32 v8, 24
	v_add_nc_u32_e32 v12, v11, v7
	v_cmp_lt_i32_e64 s5, 3, v11
	v_lshrrev_b32_e32 v15, 16, v4
	v_lshrrev_b32_sdwa v14, v8, v4 dst_sel:BYTE_1 dst_unused:UNUSED_PAD src0_sel:DWORD src1_sel:DWORD
	v_add_nc_u32_e32 v8, v7, v10
	v_add_nc_u32_e32 v17, v0, v12
	;; [unrolled: 1-line block ×4, first 2 shown]
	v_sub_nc_u32_e32 v8, v8, v11
	v_sub_nc_u32_e32 v13, v10, v11
                                        ; implicit-def: $vgpr10
	v_add_nc_u32_e32 v16, v0, v8
	ds_read_u8 v8, v17
	ds_read_u8 v9, v16 offset:4
	v_cmp_gt_i32_e64 s6, v7, v13
	s_waitcnt lgkmcnt(0)
	v_cmp_lt_u16_sdwa s7, v9, v8 src0_sel:BYTE_0 src1_sel:BYTE_0
	s_or_b32 s5, s5, s7
	s_and_b32 s5, s6, s5
	s_xor_b32 s6, s5, -1
	s_and_saveexec_b32 s7, s6
	s_xor_b32 s6, exec_lo, s7
; %bb.5:
	ds_read_u8 v10, v17 offset:1
                                        ; implicit-def: $vgpr16
; %bb.6:
	s_or_saveexec_b32 s6, s6
	v_mov_b32_e32 v11, v9
	s_xor_b32 exec_lo, exec_lo, s6
	s_cbranch_execz .LBB101_8
; %bb.7:
	ds_read_u8 v11, v16 offset:5
	s_waitcnt lgkmcnt(1)
	v_mov_b32_e32 v10, v8
.LBB101_8:
	s_or_b32 exec_lo, exec_lo, s6
	v_add_nc_u32_e32 v16, 1, v12
	v_add_nc_u32_e32 v17, 1, v13
	s_waitcnt lgkmcnt(0)
	v_cmp_lt_u16_sdwa s8, v11, v10 src0_sel:BYTE_0 src1_sel:BYTE_0
	v_cndmask_b32_e64 v18, v16, v12, s5
	v_cndmask_b32_e64 v19, v13, v17, s5
                                        ; implicit-def: $vgpr16
	v_cmp_ge_i32_e64 s6, v18, v6
	v_cmp_lt_i32_e64 s7, v19, v7
	s_or_b32 s6, s6, s8
	s_and_b32 s6, s7, s6
	s_xor_b32 s7, s6, -1
	s_and_saveexec_b32 s8, s7
	s_xor_b32 s7, exec_lo, s8
; %bb.9:
	v_add_nc_u32_e32 v16, v0, v18
	ds_read_u8 v16, v16 offset:1
; %bb.10:
	s_or_saveexec_b32 s7, s7
	v_mov_b32_e32 v17, v11
	s_xor_b32 exec_lo, exec_lo, s7
	s_cbranch_execz .LBB101_12
; %bb.11:
	s_waitcnt lgkmcnt(0)
	v_add_nc_u32_e32 v16, v0, v19
	ds_read_u8 v17, v16 offset:1
	v_mov_b32_e32 v16, v10
.LBB101_12:
	s_or_b32 exec_lo, exec_lo, s7
	v_add_nc_u32_e32 v20, 1, v18
	v_add_nc_u32_e32 v21, 1, v19
	s_waitcnt lgkmcnt(0)
	v_cmp_lt_u16_sdwa s9, v17, v16 src0_sel:BYTE_0 src1_sel:BYTE_0
	v_cndmask_b32_e64 v22, v20, v18, s6
	v_cndmask_b32_e64 v21, v19, v21, s6
                                        ; implicit-def: $vgpr20
	v_cmp_ge_i32_e64 s7, v22, v6
	v_cmp_lt_i32_e64 s8, v21, v7
	s_or_b32 s7, s7, s9
	s_and_b32 s7, s8, s7
	s_xor_b32 s8, s7, -1
	s_and_saveexec_b32 s9, s8
	s_xor_b32 s8, exec_lo, s9
; %bb.13:
	v_add_nc_u32_e32 v20, v0, v22
	ds_read_u8 v20, v20 offset:1
; %bb.14:
	s_or_saveexec_b32 s8, s8
	v_mov_b32_e32 v23, v17
	s_xor_b32 exec_lo, exec_lo, s8
	s_cbranch_execz .LBB101_16
; %bb.15:
	s_waitcnt lgkmcnt(0)
	v_add_nc_u32_e32 v20, v0, v21
	ds_read_u8 v23, v20 offset:1
	v_mov_b32_e32 v20, v16
.LBB101_16:
	s_or_b32 exec_lo, exec_lo, s8
	v_add_nc_u16 v5, v5, 1
	v_add_nc_u16 v4, v4, 1
	;; [unrolled: 1-line block ×3, first 2 shown]
	v_cndmask_b32_e64 v12, v12, v13, s5
	v_cndmask_b32_e64 v18, v18, v19, s6
	v_lshlrev_b16 v24, 8, v5
	v_lshlrev_b16 v25, 8, v4
	v_or_b32_sdwa v14, v14, v15 dst_sel:DWORD dst_unused:UNUSED_PAD src0_sel:DWORD src1_sel:BYTE_0
	; wave barrier
	v_or_b32_sdwa v4, v4, v24 dst_sel:DWORD dst_unused:UNUSED_PAD src0_sel:BYTE_0 src1_sel:DWORD
	v_or_b32_sdwa v5, v5, v25 dst_sel:DWORD dst_unused:UNUSED_PAD src0_sel:BYTE_0 src1_sel:DWORD
	v_add_nc_u16 v14, 0x100, v14
	v_cndmask_b32_e64 v24, v22, v21, s7
	v_cndmask_b32_e64 v10, v10, v11, s6
	v_and_b32_e32 v4, 0xffff, v4
	v_and_b32_e32 v5, 0xffff, v5
	v_lshlrev_b32_e32 v15, 16, v14
	v_perm_b32 v14, 0, v14, 0xc0c0001
	v_cndmask_b32_e64 v11, v8, v9, s5
	v_sub_nc_u32_e64 v8, v3, 8 clamp
	v_cndmask_b32_e32 v4, v4, v5, vcc_lo
	v_min_u32_e32 v9, 8, v3
	v_lshlrev_b32_e32 v5, 16, v14
	v_add_nc_u32_e32 v14, 1, v22
	v_or_b32_e32 v4, v4, v15
	v_add_nc_u32_e32 v15, 1, v21
	v_cndmask_b32_e64 v14, v14, v22, s7
	v_and_or_b32 v5, 0xffff, v4, v5
	v_cndmask_b32_e64 v13, v21, v15, s7
	v_add_nc_u32_e32 v15, v0, v3
	v_cmp_ge_i32_e32 vcc_lo, v14, v6
	v_cndmask_b32_e64 v4, v4, v5, s0
	v_cmp_lt_i32_e64 s0, v13, v7
	v_add_nc_u32_e32 v7, v0, v18
	v_perm_b32 v5, v4, v4, 0x7050604
	v_cndmask_b32_e64 v4, v4, v5, s1
	s_waitcnt lgkmcnt(0)
	v_cmp_lt_u16_sdwa s1, v23, v20 src0_sel:BYTE_0 src1_sel:BYTE_0
	v_perm_b32 v5, 0, v4, 0xc0c0001
	s_or_b32 s1, vcc_lo, s1
	s_and_b32 vcc_lo, s0, s1
	s_mov_b32 s0, exec_lo
	v_and_or_b32 v5, 0xffff0000, v4, v5
	v_cndmask_b32_e32 v6, v14, v13, vcc_lo
	v_cndmask_b32_e32 v19, v20, v23, vcc_lo
	v_cndmask_b32_e64 v4, v4, v5, s2
	v_add_nc_u32_e32 v13, v0, v6
	v_lshrrev_b32_e32 v5, 16, v4
	v_perm_b32 v5, 0, v5, 0xc0c0001
	v_lshlrev_b32_e32 v5, 16, v5
	v_and_or_b32 v5, 0xffff, v4, v5
	v_cndmask_b32_e64 v4, v4, v5, s3
	v_perm_b32 v5, v4, v4, 0x7050604
	v_cndmask_b32_e64 v4, v4, v5, s4
	v_add_nc_u32_e32 v5, v0, v12
	v_add_nc_u32_e32 v12, v0, v24
	ds_write_b32 v15, v4
	; wave barrier
	ds_read_u8 v4, v5
	ds_read_u8 v5, v7
	ds_read_u8 v6, v12
	ds_read_u8 v7, v13
	v_cndmask_b32_e64 v12, v16, v17, s7
	; wave barrier
	ds_write_b8 v15, v11
	ds_write_b8 v15, v10 offset:1
	ds_write_b8 v15, v12 offset:2
	;; [unrolled: 1-line block ×3, first 2 shown]
	; wave barrier
	v_cmpx_lt_u32_e64 v8, v9
	s_cbranch_execz .LBB101_20
; %bb.17:
	s_mov_b32 s1, 0
	.p2align	6
.LBB101_18:                             ; =>This Inner Loop Header: Depth=1
	v_sub_nc_u32_e32 v10, v9, v8
	v_lshrrev_b32_e32 v10, 1, v10
	v_add_nc_u32_e32 v10, v10, v8
	v_add_nc_u32_e32 v11, v0, v10
	v_xad_u32 v12, v10, -1, v2
	v_add_nc_u32_e32 v13, 1, v10
	ds_read_u8 v11, v11
	ds_read_u8 v12, v12 offset:8
	s_waitcnt lgkmcnt(0)
	v_cmp_lt_u16_e32 vcc_lo, v12, v11
	v_cndmask_b32_e32 v9, v9, v10, vcc_lo
	v_cndmask_b32_e32 v8, v13, v8, vcc_lo
	v_cmp_ge_i32_e32 vcc_lo, v8, v9
	s_or_b32 s1, vcc_lo, s1
	s_andn2_b32 exec_lo, exec_lo, s1
	s_cbranch_execnz .LBB101_18
; %bb.19:
	s_or_b32 exec_lo, exec_lo, s1
.LBB101_20:
	s_or_b32 exec_lo, exec_lo, s0
	v_sub_nc_u32_e32 v10, v3, v8
	v_add_nc_u32_e32 v11, v0, v8
	v_cmp_lt_i32_e32 vcc_lo, 7, v8
	v_add_nc_u32_e32 v13, v0, v10
	v_add_nc_u32_e32 v12, 8, v10
                                        ; implicit-def: $vgpr10
	ds_read_u8 v3, v11
	ds_read_u8 v9, v13 offset:8
	v_cmp_gt_i32_e64 s0, 16, v12
	s_waitcnt lgkmcnt(0)
	v_cmp_lt_u16_sdwa s1, v9, v3 src0_sel:BYTE_0 src1_sel:BYTE_0
	s_or_b32 s1, vcc_lo, s1
	s_and_b32 vcc_lo, s0, s1
	s_xor_b32 s0, vcc_lo, -1
	s_and_saveexec_b32 s1, s0
	s_xor_b32 s0, exec_lo, s1
; %bb.21:
	ds_read_u8 v10, v11 offset:1
                                        ; implicit-def: $vgpr13
; %bb.22:
	s_or_saveexec_b32 s0, s0
	v_mov_b32_e32 v11, v9
	s_xor_b32 exec_lo, exec_lo, s0
	s_cbranch_execz .LBB101_24
; %bb.23:
	ds_read_u8 v11, v13 offset:9
	s_waitcnt lgkmcnt(1)
	v_mov_b32_e32 v10, v3
.LBB101_24:
	s_or_b32 exec_lo, exec_lo, s0
	v_add_nc_u32_e32 v13, 1, v8
	v_add_nc_u32_e32 v14, 1, v12
	s_waitcnt lgkmcnt(0)
	v_cmp_lt_u16_sdwa s2, v11, v10 src0_sel:BYTE_0 src1_sel:BYTE_0
                                        ; implicit-def: $vgpr16
	v_cndmask_b32_e32 v13, v13, v8, vcc_lo
	v_cndmask_b32_e32 v14, v12, v14, vcc_lo
	v_cmp_lt_i32_e64 s0, 7, v13
	v_cmp_gt_i32_e64 s1, 16, v14
	s_or_b32 s0, s0, s2
	s_and_b32 s0, s1, s0
	s_xor_b32 s1, s0, -1
	s_and_saveexec_b32 s2, s1
	s_xor_b32 s1, exec_lo, s2
; %bb.25:
	v_add_nc_u32_e32 v15, v0, v13
	ds_read_u8 v16, v15 offset:1
; %bb.26:
	s_or_saveexec_b32 s1, s1
	v_mov_b32_e32 v15, v11
	s_xor_b32 exec_lo, exec_lo, s1
	s_cbranch_execz .LBB101_28
; %bb.27:
	v_add_nc_u32_e32 v15, v0, v14
	s_waitcnt lgkmcnt(0)
	v_mov_b32_e32 v16, v10
	ds_read_u8 v15, v15 offset:1
.LBB101_28:
	s_or_b32 exec_lo, exec_lo, s1
	v_add_nc_u32_e32 v17, 1, v13
	v_add_nc_u32_e32 v18, 1, v14
	s_waitcnt lgkmcnt(0)
	v_cmp_ge_u16_sdwa s3, v15, v16 src0_sel:BYTE_0 src1_sel:BYTE_0
                                        ; implicit-def: $vgpr21
                                        ; implicit-def: $vgpr20
	v_cndmask_b32_e64 v22, v17, v13, s0
	v_cndmask_b32_e64 v18, v14, v18, s0
	v_cmp_gt_i32_e64 s1, 8, v22
	v_cmp_lt_i32_e64 s2, 15, v18
	s_and_b32 s1, s1, s3
	s_or_b32 s1, s2, s1
	s_and_saveexec_b32 s2, s1
	s_xor_b32 s1, exec_lo, s2
; %bb.29:
	v_add_nc_u32_e32 v17, v0, v22
	v_add_nc_u32_e32 v20, 1, v22
	ds_read_u8 v21, v17 offset:1
; %bb.30:
	s_or_saveexec_b32 s1, s1
	v_mov_b32_e32 v17, v16
	v_mov_b32_e32 v19, v22
	s_xor_b32 exec_lo, exec_lo, s1
	s_cbranch_execz .LBB101_32
; %bb.31:
	v_add_nc_u32_e32 v17, v0, v18
	s_waitcnt lgkmcnt(0)
	v_add_nc_u32_e32 v21, 1, v18
	v_mov_b32_e32 v19, v18
	v_mov_b32_e32 v20, v22
	ds_read_u8 v23, v17 offset:1
	v_mov_b32_e32 v17, v15
	v_mov_b32_e32 v18, v21
	;; [unrolled: 1-line block ×3, first 2 shown]
	s_waitcnt lgkmcnt(0)
	v_mov_b32_e32 v15, v23
.LBB101_32:
	s_or_b32 exec_lo, exec_lo, s1
	v_cmp_lt_i32_e64 s1, 7, v20
	s_waitcnt lgkmcnt(0)
	v_cmp_lt_u16_sdwa s3, v15, v21 src0_sel:BYTE_0 src1_sel:BYTE_0
	v_cmp_gt_i32_e64 s2, 16, v18
	v_cndmask_b32_e64 v13, v13, v14, s0
	v_cndmask_b32_e32 v8, v8, v12, vcc_lo
	s_or_b32 s1, s1, s3
	; wave barrier
	s_and_b32 s1, s2, s1
	ds_write_b8 v2, v4
	ds_write_b8 v2, v5 offset:1
	ds_write_b8 v2, v6 offset:2
	;; [unrolled: 1-line block ×3, first 2 shown]
	v_cndmask_b32_e64 v14, v20, v18, s1
	v_add_nc_u32_e32 v2, v0, v13
	v_add_nc_u32_e32 v5, v0, v8
	; wave barrier
	v_add_nc_u32_e32 v4, v0, v14
	v_add_nc_u32_e32 v0, v0, v19
	v_cndmask_b32_e64 v12, v21, v15, s1
	ds_read_u8 v2, v2
	ds_read_u8 v4, v4
	;; [unrolled: 1-line block ×4, first 2 shown]
	v_cndmask_b32_e64 v6, v10, v11, s0
	v_cndmask_b32_e32 v3, v3, v9, vcc_lo
	s_add_u32 s0, s10, s12
	s_addc_u32 s1, s11, 0
	s_waitcnt lgkmcnt(3)
	v_add_nc_u16 v2, v2, v6
	s_waitcnt lgkmcnt(2)
	v_add_nc_u16 v4, v4, v12
	s_waitcnt lgkmcnt(1)
	v_add_nc_u16 v3, v5, v3
	s_waitcnt lgkmcnt(0)
	v_add_nc_u16 v0, v0, v17
	v_lshlrev_b16 v2, 8, v2
	v_lshlrev_b16 v4, 8, v4
	v_or_b32_sdwa v2, v3, v2 dst_sel:DWORD dst_unused:UNUSED_PAD src0_sel:BYTE_0 src1_sel:DWORD
	v_or_b32_sdwa v3, v0, v4 dst_sel:WORD_1 dst_unused:UNUSED_PAD src0_sel:BYTE_0 src1_sel:DWORD
	v_add_co_u32 v0, s0, s0, v1
	v_add_co_ci_u32_e64 v1, null, s1, 0, s0
	v_or_b32_sdwa v2, v2, v3 dst_sel:DWORD dst_unused:UNUSED_PAD src0_sel:WORD_0 src1_sel:DWORD
	global_store_dword v[0:1], v2, off
	s_endpgm
	.section	.rodata,"a",@progbits
	.p2align	6, 0x0
	.amdhsa_kernel _Z10sort_pairsILj256ELj4ELj4EhN10test_utils4lessEEvPKT2_PS2_T3_
		.amdhsa_group_segment_fixed_size 1088
		.amdhsa_private_segment_fixed_size 0
		.amdhsa_kernarg_size 20
		.amdhsa_user_sgpr_count 6
		.amdhsa_user_sgpr_private_segment_buffer 1
		.amdhsa_user_sgpr_dispatch_ptr 0
		.amdhsa_user_sgpr_queue_ptr 0
		.amdhsa_user_sgpr_kernarg_segment_ptr 1
		.amdhsa_user_sgpr_dispatch_id 0
		.amdhsa_user_sgpr_flat_scratch_init 0
		.amdhsa_user_sgpr_private_segment_size 0
		.amdhsa_wavefront_size32 1
		.amdhsa_uses_dynamic_stack 0
		.amdhsa_system_sgpr_private_segment_wavefront_offset 0
		.amdhsa_system_sgpr_workgroup_id_x 1
		.amdhsa_system_sgpr_workgroup_id_y 0
		.amdhsa_system_sgpr_workgroup_id_z 0
		.amdhsa_system_sgpr_workgroup_info 0
		.amdhsa_system_vgpr_workitem_id 0
		.amdhsa_next_free_vgpr 26
		.amdhsa_next_free_sgpr 13
		.amdhsa_reserve_vcc 1
		.amdhsa_reserve_flat_scratch 0
		.amdhsa_float_round_mode_32 0
		.amdhsa_float_round_mode_16_64 0
		.amdhsa_float_denorm_mode_32 3
		.amdhsa_float_denorm_mode_16_64 3
		.amdhsa_dx10_clamp 1
		.amdhsa_ieee_mode 1
		.amdhsa_fp16_overflow 0
		.amdhsa_workgroup_processor_mode 1
		.amdhsa_memory_ordered 1
		.amdhsa_forward_progress 1
		.amdhsa_shared_vgpr_count 0
		.amdhsa_exception_fp_ieee_invalid_op 0
		.amdhsa_exception_fp_denorm_src 0
		.amdhsa_exception_fp_ieee_div_zero 0
		.amdhsa_exception_fp_ieee_overflow 0
		.amdhsa_exception_fp_ieee_underflow 0
		.amdhsa_exception_fp_ieee_inexact 0
		.amdhsa_exception_int_div_zero 0
	.end_amdhsa_kernel
	.section	.text._Z10sort_pairsILj256ELj4ELj4EhN10test_utils4lessEEvPKT2_PS2_T3_,"axG",@progbits,_Z10sort_pairsILj256ELj4ELj4EhN10test_utils4lessEEvPKT2_PS2_T3_,comdat
.Lfunc_end101:
	.size	_Z10sort_pairsILj256ELj4ELj4EhN10test_utils4lessEEvPKT2_PS2_T3_, .Lfunc_end101-_Z10sort_pairsILj256ELj4ELj4EhN10test_utils4lessEEvPKT2_PS2_T3_
                                        ; -- End function
	.set _Z10sort_pairsILj256ELj4ELj4EhN10test_utils4lessEEvPKT2_PS2_T3_.num_vgpr, 26
	.set _Z10sort_pairsILj256ELj4ELj4EhN10test_utils4lessEEvPKT2_PS2_T3_.num_agpr, 0
	.set _Z10sort_pairsILj256ELj4ELj4EhN10test_utils4lessEEvPKT2_PS2_T3_.numbered_sgpr, 13
	.set _Z10sort_pairsILj256ELj4ELj4EhN10test_utils4lessEEvPKT2_PS2_T3_.num_named_barrier, 0
	.set _Z10sort_pairsILj256ELj4ELj4EhN10test_utils4lessEEvPKT2_PS2_T3_.private_seg_size, 0
	.set _Z10sort_pairsILj256ELj4ELj4EhN10test_utils4lessEEvPKT2_PS2_T3_.uses_vcc, 1
	.set _Z10sort_pairsILj256ELj4ELj4EhN10test_utils4lessEEvPKT2_PS2_T3_.uses_flat_scratch, 0
	.set _Z10sort_pairsILj256ELj4ELj4EhN10test_utils4lessEEvPKT2_PS2_T3_.has_dyn_sized_stack, 0
	.set _Z10sort_pairsILj256ELj4ELj4EhN10test_utils4lessEEvPKT2_PS2_T3_.has_recursion, 0
	.set _Z10sort_pairsILj256ELj4ELj4EhN10test_utils4lessEEvPKT2_PS2_T3_.has_indirect_call, 0
	.section	.AMDGPU.csdata,"",@progbits
; Kernel info:
; codeLenInByte = 2292
; TotalNumSgprs: 15
; NumVgprs: 26
; ScratchSize: 0
; MemoryBound: 0
; FloatMode: 240
; IeeeMode: 1
; LDSByteSize: 1088 bytes/workgroup (compile time only)
; SGPRBlocks: 0
; VGPRBlocks: 3
; NumSGPRsForWavesPerEU: 15
; NumVGPRsForWavesPerEU: 26
; Occupancy: 16
; WaveLimiterHint : 0
; COMPUTE_PGM_RSRC2:SCRATCH_EN: 0
; COMPUTE_PGM_RSRC2:USER_SGPR: 6
; COMPUTE_PGM_RSRC2:TRAP_HANDLER: 0
; COMPUTE_PGM_RSRC2:TGID_X_EN: 1
; COMPUTE_PGM_RSRC2:TGID_Y_EN: 0
; COMPUTE_PGM_RSRC2:TGID_Z_EN: 0
; COMPUTE_PGM_RSRC2:TIDIG_COMP_CNT: 0
	.section	.text._Z19sort_keys_segmentedILj256ELj4ELj4EhN10test_utils4lessEEvPKT2_PS2_PKjT3_,"axG",@progbits,_Z19sort_keys_segmentedILj256ELj4ELj4EhN10test_utils4lessEEvPKT2_PS2_PKjT3_,comdat
	.protected	_Z19sort_keys_segmentedILj256ELj4ELj4EhN10test_utils4lessEEvPKT2_PS2_PKjT3_ ; -- Begin function _Z19sort_keys_segmentedILj256ELj4ELj4EhN10test_utils4lessEEvPKT2_PS2_PKjT3_
	.globl	_Z19sort_keys_segmentedILj256ELj4ELj4EhN10test_utils4lessEEvPKT2_PS2_PKjT3_
	.p2align	8
	.type	_Z19sort_keys_segmentedILj256ELj4ELj4EhN10test_utils4lessEEvPKT2_PS2_PKjT3_,@function
_Z19sort_keys_segmentedILj256ELj4ELj4EhN10test_utils4lessEEvPKT2_PS2_PKjT3_: ; @_Z19sort_keys_segmentedILj256ELj4ELj4EhN10test_utils4lessEEvPKT2_PS2_PKjT3_
; %bb.0:
	s_clause 0x1
	s_load_dwordx2 s[0:1], s[4:5], 0x10
	s_load_dwordx4 s[8:11], s[4:5], 0x0
	v_lshrrev_b32_e32 v6, 2, v0
	v_mov_b32_e32 v1, 0
	v_mov_b32_e32 v8, 0
	;; [unrolled: 1-line block ×3, first 2 shown]
	v_lshl_or_b32 v0, s6, 6, v6
	v_lshlrev_b64 v[2:3], 2, v[0:1]
	v_lshlrev_b32_e32 v4, 4, v0
	s_waitcnt lgkmcnt(0)
	v_add_co_u32 v2, vcc_lo, s0, v2
	v_add_co_ci_u32_e64 v3, null, s1, v3, vcc_lo
	global_load_dword v5, v[2:3], off
	v_mbcnt_lo_u32_b32 v2, -1, 0
	v_lshlrev_b32_e32 v7, 2, v2
	v_add_co_u32 v2, s0, s8, v4
	v_add_co_ci_u32_e64 v3, null, s9, 0, s0
	v_and_b32_e32 v0, 12, v7
	v_add_co_u32 v2, vcc_lo, v2, v0
	v_add_co_ci_u32_e64 v3, null, 0, v3, vcc_lo
	s_waitcnt vmcnt(0)
	v_cmp_lt_u32_e32 vcc_lo, v0, v5
	s_and_saveexec_b32 s0, vcc_lo
	s_cbranch_execz .LBB102_2
; %bb.1:
	global_load_ubyte v8, v[2:3], off
	v_mov_b32_e32 v9, 0
.LBB102_2:
	s_or_b32 exec_lo, exec_lo, s0
	v_or_b32_e32 v10, 1, v0
	v_mov_b32_e32 v11, v1
	v_cmp_lt_u32_e64 s0, v10, v5
	s_and_saveexec_b32 s1, s0
	s_cbranch_execz .LBB102_4
; %bb.3:
	global_load_ubyte v11, v[2:3], off offset:1
.LBB102_4:
	s_or_b32 exec_lo, exec_lo, s1
	v_or_b32_e32 v12, 2, v0
	v_cmp_lt_u32_e64 s1, v12, v5
	s_and_saveexec_b32 s2, s1
	s_cbranch_execz .LBB102_6
; %bb.5:
	global_load_ubyte v1, v[2:3], off offset:2
.LBB102_6:
	s_or_b32 exec_lo, exec_lo, s2
	v_or_b32_e32 v13, 3, v0
	v_cmp_lt_u32_e64 s2, v13, v5
	s_and_saveexec_b32 s3, s2
	s_cbranch_execz .LBB102_8
; %bb.7:
	global_load_ubyte v9, v[2:3], off offset:3
.LBB102_8:
	s_or_b32 exec_lo, exec_lo, s3
	s_waitcnt vmcnt(0)
	v_perm_b32 v1, v1, v9, 0xc0c0004
	v_perm_b32 v2, v8, v11, 0xc0c0004
	v_or_b32_e32 v3, 0xffffff00, v8
	v_cmp_lt_i32_e64 s3, v10, v5
	v_cmp_lt_i32_e64 s4, v13, v5
	v_lshlrev_b32_e32 v1, 16, v1
	s_mov_b32 s5, exec_lo
	v_or_b32_e32 v2, v2, v1
	v_or_b32_sdwa v1, v3, v1 dst_sel:DWORD dst_unused:UNUSED_PAD src0_sel:WORD_0 src1_sel:DWORD
	v_mov_b32_e32 v3, 0xff
	v_cndmask_b32_e64 v1, v1, v2, s3
	v_cmp_lt_i32_e64 s3, v12, v5
	v_or_b32_sdwa v3, v1, v3 dst_sel:WORD_1 dst_unused:UNUSED_PAD src0_sel:WORD_1 src1_sel:DWORD
	v_and_or_b32 v1, 0xffff, v1, v3
	v_cndmask_b32_e64 v2, v1, v2, s3
	v_cmpx_ge_i32_e64 v13, v5
; %bb.9:
	v_mov_b32_e32 v1, 0xffffff00
	v_cmp_lt_i32_e64 s3, v0, v5
	s_andn2_b32 s4, s4, exec_lo
	v_or_b32_sdwa v1, v2, v1 dst_sel:WORD_1 dst_unused:UNUSED_PAD src0_sel:WORD_1 src1_sel:DWORD
	s_and_b32 s3, s3, exec_lo
	s_or_b32 s4, s4, s3
	v_and_or_b32 v2, 0xffff, v2, v1
; %bb.10:
	s_or_b32 exec_lo, exec_lo, s5
	s_and_saveexec_b32 s5, s4
	s_cbranch_execz .LBB102_14
; %bb.11:
	v_lshrrev_b32_e32 v1, 8, v2
	v_and_b32_e32 v3, 0xff, v2
	v_and_b32_e32 v8, 0xff, v1
	v_perm_b32 v1, v2, v2, 0x7060405
	v_cmp_lt_u16_e64 s3, v8, v3
	v_cndmask_b32_e64 v2, v2, v1, s3
	v_lshrrev_b32_e32 v1, 16, v2
	v_lshrrev_b32_e32 v10, 24, v2
	v_perm_b32 v9, 0, v1, 0xc0c0001
	v_and_b32_e32 v11, 0xff, v1
	v_mov_b32_e32 v1, 0xffffff00
	v_lshlrev_b32_e32 v9, 16, v9
	v_cmp_lt_u16_e64 s3, v10, v11
	v_min_u16 v12, v10, v11
	v_and_or_b32 v9, 0xffff, v2, v9
	v_cndmask_b32_e64 v2, v2, v9, s3
	v_min_u16 v9, v8, v3
	v_max_u16 v3, v8, v3
	v_lshlrev_b16 v8, 8, v12
	v_and_b32_sdwa v13, v2, v1 dst_sel:DWORD dst_unused:UNUSED_PAD src0_sel:WORD_1 src1_sel:DWORD
	v_lshlrev_b16 v14, 8, v9
	v_min_u16 v15, v12, v3
	v_or_b32_sdwa v8, v2, v8 dst_sel:DWORD dst_unused:UNUSED_PAD src0_sel:BYTE_0 src1_sel:DWORD
	v_cmp_lt_u16_e64 s3, v12, v3
	v_or_b32_sdwa v13, v3, v13 dst_sel:WORD_1 dst_unused:UNUSED_PAD src0_sel:DWORD src1_sel:DWORD
	v_or_b32_e32 v14, v15, v14
	v_or_b32_sdwa v8, v8, v13 dst_sel:DWORD dst_unused:UNUSED_PAD src0_sel:WORD_0 src1_sel:DWORD
	v_max_u16 v13, v12, v3
	v_and_b32_e32 v14, 0xffff, v14
	v_cndmask_b32_e64 v2, v2, v8, s3
	v_max_u16 v8, v10, v11
	v_lshlrev_b16 v10, 8, v13
	v_cmp_lt_u16_e64 s3, v12, v9
	v_and_or_b32 v11, 0xffff0000, v2, v14
	v_cmp_gt_u16_e64 s4, v3, v8
	v_or_b32_sdwa v10, v8, v10 dst_sel:WORD_1 dst_unused:UNUSED_PAD src0_sel:DWORD src1_sel:DWORD
	v_cndmask_b32_e64 v3, v15, v9, s3
	v_cndmask_b32_e64 v2, v2, v11, s3
	;; [unrolled: 1-line block ×3, first 2 shown]
	v_and_or_b32 v10, 0xffff, v2, v10
	v_cndmask_b32_e64 v2, v2, v10, s4
	s_mov_b32 s4, exec_lo
	v_cmpx_lt_u16_e64 v8, v3
; %bb.12:
	v_and_b32_sdwa v1, v2, v1 dst_sel:DWORD dst_unused:UNUSED_PAD src0_sel:WORD_1 src1_sel:DWORD
	v_perm_b32 v2, v2, v8, 0xc0c0004
	v_or_b32_sdwa v1, v3, v1 dst_sel:WORD_1 dst_unused:UNUSED_PAD src0_sel:DWORD src1_sel:DWORD
	v_or_b32_e32 v2, v2, v1
; %bb.13:
	s_or_b32 exec_lo, exec_lo, s4
.LBB102_14:
	s_or_b32 exec_lo, exec_lo, s5
	v_and_b32_e32 v1, 8, v7
	v_and_b32_e32 v9, 4, v7
	v_mad_u32_u24 v12, v6, 17, v0
	s_mov_b32 s5, 0
	s_mov_b32 s4, exec_lo
	v_min_i32_e32 v3, v5, v1
	v_min_i32_e32 v9, v5, v9
	; wave barrier
	ds_write_b32 v12, v2
	v_add_nc_u32_e32 v1, 4, v3
	; wave barrier
	v_min_i32_e32 v8, v5, v1
	v_add_nc_u32_e32 v1, 4, v8
	v_sub_nc_u32_e32 v11, v8, v3
	v_min_i32_e32 v7, v5, v1
	v_min_i32_e32 v11, v9, v11
	v_sub_nc_u32_e32 v1, v7, v8
	v_sub_nc_u32_e32 v10, v9, v1
	v_cmp_ge_i32_e64 s3, v9, v1
	v_mul_u32_u24_e32 v1, 17, v6
	v_cndmask_b32_e64 v10, 0, v10, s3
	v_cmpx_lt_i32_e64 v10, v11
	s_cbranch_execz .LBB102_18
; %bb.15:
	v_add_nc_u32_e32 v2, v1, v3
	v_add3_u32 v6, v1, v8, v9
	.p2align	6
.LBB102_16:                             ; =>This Inner Loop Header: Depth=1
	v_sub_nc_u32_e32 v12, v11, v10
	v_lshrrev_b32_e32 v12, 1, v12
	v_add_nc_u32_e32 v12, v12, v10
	v_add_nc_u32_e32 v13, v2, v12
	v_xad_u32 v14, v12, -1, v6
	v_add_nc_u32_e32 v15, 1, v12
	ds_read_u8 v13, v13
	ds_read_u8 v14, v14
	s_waitcnt lgkmcnt(0)
	v_cmp_lt_u16_e64 s3, v14, v13
	v_cndmask_b32_e64 v11, v11, v12, s3
	v_cndmask_b32_e64 v10, v15, v10, s3
	v_cmp_ge_i32_e64 s3, v10, v11
	s_or_b32 s5, s3, s5
	s_andn2_b32 exec_lo, exec_lo, s5
	s_cbranch_execnz .LBB102_16
; %bb.17:
	s_or_b32 exec_lo, exec_lo, s5
.LBB102_18:
	s_or_b32 exec_lo, exec_lo, s4
	v_add_nc_u32_e32 v6, v8, v9
	v_add_nc_u32_e32 v2, v10, v3
                                        ; implicit-def: $vgpr9
	v_sub_nc_u32_e32 v11, v6, v10
	v_add_nc_u32_e32 v10, v1, v2
	v_cmp_le_i32_e64 s3, v8, v2
	v_add_nc_u32_e32 v12, v1, v11
	v_cmp_gt_i32_e64 s4, v7, v11
	ds_read_u8 v3, v10
	ds_read_u8 v6, v12
	s_waitcnt lgkmcnt(0)
	v_cmp_lt_u16_sdwa s5, v6, v3 src0_sel:BYTE_0 src1_sel:BYTE_0
	s_or_b32 s3, s3, s5
	s_and_b32 s3, s4, s3
	s_xor_b32 s4, s3, -1
	s_and_saveexec_b32 s5, s4
	s_xor_b32 s4, exec_lo, s5
; %bb.19:
	ds_read_u8 v9, v10 offset:1
                                        ; implicit-def: $vgpr12
; %bb.20:
	s_or_saveexec_b32 s4, s4
	v_mov_b32_e32 v10, v6
	s_xor_b32 exec_lo, exec_lo, s4
	s_cbranch_execz .LBB102_22
; %bb.21:
	ds_read_u8 v10, v12 offset:1
	s_waitcnt lgkmcnt(1)
	v_mov_b32_e32 v9, v3
.LBB102_22:
	s_or_b32 exec_lo, exec_lo, s4
	v_add_nc_u32_e32 v12, 1, v2
	v_add_nc_u32_e32 v13, 1, v11
	s_waitcnt lgkmcnt(0)
	v_cmp_lt_u16_sdwa s6, v10, v9 src0_sel:BYTE_0 src1_sel:BYTE_0
	v_cndmask_b32_e64 v12, v12, v2, s3
	v_cndmask_b32_e64 v2, v11, v13, s3
                                        ; implicit-def: $vgpr11
	v_cmp_ge_i32_e64 s4, v12, v8
	v_cmp_lt_i32_e64 s5, v2, v7
	s_or_b32 s4, s4, s6
	s_and_b32 s4, s5, s4
	s_xor_b32 s5, s4, -1
	s_and_saveexec_b32 s6, s5
	s_xor_b32 s5, exec_lo, s6
; %bb.23:
	v_add_nc_u32_e32 v11, v1, v12
	ds_read_u8 v11, v11 offset:1
; %bb.24:
	s_or_saveexec_b32 s5, s5
	v_mov_b32_e32 v13, v10
	s_xor_b32 exec_lo, exec_lo, s5
	s_cbranch_execz .LBB102_26
; %bb.25:
	s_waitcnt lgkmcnt(0)
	v_add_nc_u32_e32 v11, v1, v2
	ds_read_u8 v13, v11 offset:1
	v_mov_b32_e32 v11, v9
.LBB102_26:
	s_or_b32 exec_lo, exec_lo, s5
	v_add_nc_u32_e32 v14, 1, v12
	v_add_nc_u32_e32 v15, 1, v2
	s_waitcnt lgkmcnt(0)
	v_cmp_lt_u16_sdwa s7, v13, v11 src0_sel:BYTE_0 src1_sel:BYTE_0
	v_cndmask_b32_e64 v16, v14, v12, s4
	v_cndmask_b32_e64 v14, v2, v15, s4
                                        ; implicit-def: $vgpr15
	v_cmp_ge_i32_e64 s5, v16, v8
	v_cmp_lt_i32_e64 s6, v14, v7
	s_or_b32 s5, s5, s7
	s_and_b32 s5, s6, s5
	s_xor_b32 s6, s5, -1
	s_and_saveexec_b32 s7, s6
	s_xor_b32 s6, exec_lo, s7
; %bb.27:
	v_add_nc_u32_e32 v2, v1, v16
	ds_read_u8 v15, v2 offset:1
; %bb.28:
	s_or_saveexec_b32 s6, s6
	v_mov_b32_e32 v17, v13
	s_xor_b32 exec_lo, exec_lo, s6
	s_cbranch_execz .LBB102_30
; %bb.29:
	v_add_nc_u32_e32 v2, v1, v14
	s_waitcnt lgkmcnt(0)
	v_mov_b32_e32 v15, v11
	ds_read_u8 v17, v2 offset:1
.LBB102_30:
	s_or_b32 exec_lo, exec_lo, s6
	v_min_i32_e32 v12, 0, v5
	v_cndmask_b32_e64 v11, v11, v13, s5
	v_add_nc_u32_e32 v13, 1, v16
	v_add_nc_u32_e32 v19, 1, v14
	v_cndmask_b32_e64 v9, v9, v10, s4
	v_add_nc_u32_e32 v2, 8, v12
	v_cndmask_b32_e64 v10, v3, v6, s3
	v_cndmask_b32_e64 v6, v13, v16, s5
	;; [unrolled: 1-line block ×3, first 2 shown]
	s_waitcnt lgkmcnt(0)
	v_cmp_lt_u16_sdwa s6, v17, v15 src0_sel:BYTE_0 src1_sel:BYTE_0
	v_min_i32_e32 v2, v5, v2
	s_mov_b32 s5, 0
	v_cmp_ge_i32_e64 s3, v6, v8
	v_cmp_lt_i32_e64 s4, v13, v7
	v_add_nc_u32_e32 v8, v1, v0
	v_add_nc_u32_e32 v18, 8, v2
	v_sub_nc_u32_e32 v13, v2, v12
	s_or_b32 s3, s3, s6
	s_and_b32 s3, s4, s3
	v_min_i32_e32 v3, v5, v18
	v_min_i32_e32 v5, v5, v0
	v_cndmask_b32_e64 v14, v15, v17, s3
	s_mov_b32 s4, exec_lo
	; wave barrier
	v_sub_nc_u32_e32 v6, v3, v2
	ds_write_b8 v8, v10
	ds_write_b8 v8, v9 offset:1
	ds_write_b8 v8, v11 offset:2
	;; [unrolled: 1-line block ×3, first 2 shown]
	; wave barrier
	v_sub_nc_u32_e32 v7, v5, v6
	v_cmp_ge_i32_e64 s3, v5, v6
	v_cndmask_b32_e64 v6, 0, v7, s3
	v_min_i32_e32 v7, v5, v13
	v_cmpx_lt_i32_e64 v6, v7
	s_cbranch_execz .LBB102_34
; %bb.31:
	v_add_nc_u32_e32 v8, v1, v12
	v_add3_u32 v9, v1, v2, v5
	.p2align	6
.LBB102_32:                             ; =>This Inner Loop Header: Depth=1
	v_sub_nc_u32_e32 v10, v7, v6
	v_lshrrev_b32_e32 v10, 1, v10
	v_add_nc_u32_e32 v10, v10, v6
	v_add_nc_u32_e32 v11, v8, v10
	v_xad_u32 v13, v10, -1, v9
	v_add_nc_u32_e32 v14, 1, v10
	ds_read_u8 v11, v11
	ds_read_u8 v13, v13
	s_waitcnt lgkmcnt(0)
	v_cmp_lt_u16_e64 s3, v13, v11
	v_cndmask_b32_e64 v7, v7, v10, s3
	v_cndmask_b32_e64 v6, v14, v6, s3
	v_cmp_ge_i32_e64 s3, v6, v7
	s_or_b32 s5, s3, s5
	s_andn2_b32 exec_lo, exec_lo, s5
	s_cbranch_execnz .LBB102_32
; %bb.33:
	s_or_b32 exec_lo, exec_lo, s5
.LBB102_34:
	s_or_b32 exec_lo, exec_lo, s4
	v_add_nc_u32_e32 v5, v2, v5
	v_add_nc_u32_e32 v9, v6, v12
                                        ; implicit-def: $vgpr7
	v_sub_nc_u32_e32 v10, v5, v6
	v_add_nc_u32_e32 v8, v1, v9
	v_cmp_le_i32_e64 s3, v2, v9
	v_add_nc_u32_e32 v11, v1, v10
	v_cmp_gt_i32_e64 s4, v3, v10
	ds_read_u8 v5, v8
	ds_read_u8 v6, v11
	s_waitcnt lgkmcnt(0)
	v_cmp_lt_u16_sdwa s5, v6, v5 src0_sel:BYTE_0 src1_sel:BYTE_0
	s_or_b32 s3, s3, s5
	s_and_b32 s3, s4, s3
	s_xor_b32 s4, s3, -1
	s_and_saveexec_b32 s5, s4
	s_xor_b32 s4, exec_lo, s5
; %bb.35:
	ds_read_u8 v7, v8 offset:1
                                        ; implicit-def: $vgpr11
; %bb.36:
	s_or_saveexec_b32 s4, s4
	v_mov_b32_e32 v8, v6
	s_xor_b32 exec_lo, exec_lo, s4
	s_cbranch_execz .LBB102_38
; %bb.37:
	ds_read_u8 v8, v11 offset:1
	s_waitcnt lgkmcnt(1)
	v_mov_b32_e32 v7, v5
.LBB102_38:
	s_or_b32 exec_lo, exec_lo, s4
	v_add_nc_u32_e32 v11, 1, v9
	v_add_nc_u32_e32 v13, 1, v10
	s_waitcnt lgkmcnt(0)
	v_cmp_lt_u16_sdwa s6, v8, v7 src0_sel:BYTE_0 src1_sel:BYTE_0
	v_cndmask_b32_e64 v12, v11, v9, s3
	v_cndmask_b32_e64 v11, v10, v13, s3
                                        ; implicit-def: $vgpr9
	v_cmp_ge_i32_e64 s4, v12, v2
	v_cmp_lt_i32_e64 s5, v11, v3
	s_or_b32 s4, s4, s6
	s_and_b32 s4, s5, s4
	s_xor_b32 s5, s4, -1
	s_and_saveexec_b32 s6, s5
	s_xor_b32 s5, exec_lo, s6
; %bb.39:
	v_add_nc_u32_e32 v9, v1, v12
	ds_read_u8 v9, v9 offset:1
; %bb.40:
	s_or_saveexec_b32 s5, s5
	v_mov_b32_e32 v10, v8
	s_xor_b32 exec_lo, exec_lo, s5
	s_cbranch_execz .LBB102_42
; %bb.41:
	s_waitcnt lgkmcnt(0)
	v_add_nc_u32_e32 v9, v1, v11
	ds_read_u8 v10, v9 offset:1
	v_mov_b32_e32 v9, v7
.LBB102_42:
	s_or_b32 exec_lo, exec_lo, s5
	v_add_nc_u32_e32 v13, 1, v12
	v_add_nc_u32_e32 v14, 1, v11
	s_waitcnt lgkmcnt(0)
	v_cmp_lt_u16_sdwa s7, v10, v9 src0_sel:BYTE_0 src1_sel:BYTE_0
	v_cndmask_b32_e64 v15, v13, v12, s4
	v_cndmask_b32_e64 v11, v11, v14, s4
                                        ; implicit-def: $vgpr12
                                        ; implicit-def: $vgpr13
	v_cmp_ge_i32_e64 s5, v15, v2
	v_cmp_lt_i32_e64 s6, v11, v3
	s_or_b32 s5, s5, s7
	s_and_b32 s5, s6, s5
	s_xor_b32 s6, s5, -1
	s_and_saveexec_b32 s7, s6
	s_xor_b32 s6, exec_lo, s7
; %bb.43:
	v_add_nc_u32_e32 v1, v1, v15
	v_add_nc_u32_e32 v13, 1, v15
                                        ; implicit-def: $vgpr15
	ds_read_u8 v12, v1 offset:1
                                        ; implicit-def: $vgpr1
; %bb.44:
	s_or_saveexec_b32 s6, s6
	v_mov_b32_e32 v14, v10
	s_xor_b32 exec_lo, exec_lo, s6
	s_cbranch_execz .LBB102_46
; %bb.45:
	v_add_nc_u32_e32 v1, v1, v11
	v_add_nc_u32_e32 v11, 1, v11
	v_mov_b32_e32 v13, v15
	s_waitcnt lgkmcnt(0)
	v_mov_b32_e32 v12, v9
	ds_read_u8 v14, v1 offset:1
.LBB102_46:
	s_or_b32 exec_lo, exec_lo, s6
	v_add_co_u32 v1, s6, s10, v4
	v_add_co_ci_u32_e64 v4, null, s11, 0, s6
	v_add_co_u32 v0, s6, v1, v0
	v_add_co_ci_u32_e64 v1, null, 0, v4, s6
	s_and_saveexec_b32 s6, vcc_lo
	s_cbranch_execnz .LBB102_51
; %bb.47:
	s_or_b32 exec_lo, exec_lo, s6
	s_and_saveexec_b32 s3, s0
	s_cbranch_execnz .LBB102_52
.LBB102_48:
	s_or_b32 exec_lo, exec_lo, s3
	s_and_saveexec_b32 s0, s1
	s_cbranch_execnz .LBB102_53
.LBB102_49:
	s_or_b32 exec_lo, exec_lo, s0
	s_and_saveexec_b32 s0, s2
	s_cbranch_execnz .LBB102_54
.LBB102_50:
	s_endpgm
.LBB102_51:
	v_cndmask_b32_e64 v4, v5, v6, s3
	global_store_byte v[0:1], v4, off
	s_or_b32 exec_lo, exec_lo, s6
	s_and_saveexec_b32 s3, s0
	s_cbranch_execz .LBB102_48
.LBB102_52:
	v_cndmask_b32_e64 v4, v7, v8, s4
	global_store_byte v[0:1], v4, off offset:1
	s_or_b32 exec_lo, exec_lo, s3
	s_and_saveexec_b32 s0, s1
	s_cbranch_execz .LBB102_49
.LBB102_53:
	v_cndmask_b32_e64 v4, v9, v10, s5
	global_store_byte v[0:1], v4, off offset:2
	s_or_b32 exec_lo, exec_lo, s0
	s_and_saveexec_b32 s0, s2
	s_cbranch_execz .LBB102_50
.LBB102_54:
	v_cmp_ge_i32_e32 vcc_lo, v13, v2
	s_waitcnt lgkmcnt(0)
	v_cmp_lt_u16_sdwa s1, v14, v12 src0_sel:BYTE_0 src1_sel:BYTE_0
	v_cmp_lt_i32_e64 s0, v11, v3
	s_or_b32 s1, vcc_lo, s1
	s_and_b32 vcc_lo, s0, s1
	v_cndmask_b32_e32 v2, v12, v14, vcc_lo
	global_store_byte v[0:1], v2, off offset:3
	s_endpgm
	.section	.rodata,"a",@progbits
	.p2align	6, 0x0
	.amdhsa_kernel _Z19sort_keys_segmentedILj256ELj4ELj4EhN10test_utils4lessEEvPKT2_PS2_PKjT3_
		.amdhsa_group_segment_fixed_size 1088
		.amdhsa_private_segment_fixed_size 0
		.amdhsa_kernarg_size 28
		.amdhsa_user_sgpr_count 6
		.amdhsa_user_sgpr_private_segment_buffer 1
		.amdhsa_user_sgpr_dispatch_ptr 0
		.amdhsa_user_sgpr_queue_ptr 0
		.amdhsa_user_sgpr_kernarg_segment_ptr 1
		.amdhsa_user_sgpr_dispatch_id 0
		.amdhsa_user_sgpr_flat_scratch_init 0
		.amdhsa_user_sgpr_private_segment_size 0
		.amdhsa_wavefront_size32 1
		.amdhsa_uses_dynamic_stack 0
		.amdhsa_system_sgpr_private_segment_wavefront_offset 0
		.amdhsa_system_sgpr_workgroup_id_x 1
		.amdhsa_system_sgpr_workgroup_id_y 0
		.amdhsa_system_sgpr_workgroup_id_z 0
		.amdhsa_system_sgpr_workgroup_info 0
		.amdhsa_system_vgpr_workitem_id 0
		.amdhsa_next_free_vgpr 20
		.amdhsa_next_free_sgpr 12
		.amdhsa_reserve_vcc 1
		.amdhsa_reserve_flat_scratch 0
		.amdhsa_float_round_mode_32 0
		.amdhsa_float_round_mode_16_64 0
		.amdhsa_float_denorm_mode_32 3
		.amdhsa_float_denorm_mode_16_64 3
		.amdhsa_dx10_clamp 1
		.amdhsa_ieee_mode 1
		.amdhsa_fp16_overflow 0
		.amdhsa_workgroup_processor_mode 1
		.amdhsa_memory_ordered 1
		.amdhsa_forward_progress 1
		.amdhsa_shared_vgpr_count 0
		.amdhsa_exception_fp_ieee_invalid_op 0
		.amdhsa_exception_fp_denorm_src 0
		.amdhsa_exception_fp_ieee_div_zero 0
		.amdhsa_exception_fp_ieee_overflow 0
		.amdhsa_exception_fp_ieee_underflow 0
		.amdhsa_exception_fp_ieee_inexact 0
		.amdhsa_exception_int_div_zero 0
	.end_amdhsa_kernel
	.section	.text._Z19sort_keys_segmentedILj256ELj4ELj4EhN10test_utils4lessEEvPKT2_PS2_PKjT3_,"axG",@progbits,_Z19sort_keys_segmentedILj256ELj4ELj4EhN10test_utils4lessEEvPKT2_PS2_PKjT3_,comdat
.Lfunc_end102:
	.size	_Z19sort_keys_segmentedILj256ELj4ELj4EhN10test_utils4lessEEvPKT2_PS2_PKjT3_, .Lfunc_end102-_Z19sort_keys_segmentedILj256ELj4ELj4EhN10test_utils4lessEEvPKT2_PS2_PKjT3_
                                        ; -- End function
	.set _Z19sort_keys_segmentedILj256ELj4ELj4EhN10test_utils4lessEEvPKT2_PS2_PKjT3_.num_vgpr, 20
	.set _Z19sort_keys_segmentedILj256ELj4ELj4EhN10test_utils4lessEEvPKT2_PS2_PKjT3_.num_agpr, 0
	.set _Z19sort_keys_segmentedILj256ELj4ELj4EhN10test_utils4lessEEvPKT2_PS2_PKjT3_.numbered_sgpr, 12
	.set _Z19sort_keys_segmentedILj256ELj4ELj4EhN10test_utils4lessEEvPKT2_PS2_PKjT3_.num_named_barrier, 0
	.set _Z19sort_keys_segmentedILj256ELj4ELj4EhN10test_utils4lessEEvPKT2_PS2_PKjT3_.private_seg_size, 0
	.set _Z19sort_keys_segmentedILj256ELj4ELj4EhN10test_utils4lessEEvPKT2_PS2_PKjT3_.uses_vcc, 1
	.set _Z19sort_keys_segmentedILj256ELj4ELj4EhN10test_utils4lessEEvPKT2_PS2_PKjT3_.uses_flat_scratch, 0
	.set _Z19sort_keys_segmentedILj256ELj4ELj4EhN10test_utils4lessEEvPKT2_PS2_PKjT3_.has_dyn_sized_stack, 0
	.set _Z19sort_keys_segmentedILj256ELj4ELj4EhN10test_utils4lessEEvPKT2_PS2_PKjT3_.has_recursion, 0
	.set _Z19sort_keys_segmentedILj256ELj4ELj4EhN10test_utils4lessEEvPKT2_PS2_PKjT3_.has_indirect_call, 0
	.section	.AMDGPU.csdata,"",@progbits
; Kernel info:
; codeLenInByte = 2364
; TotalNumSgprs: 14
; NumVgprs: 20
; ScratchSize: 0
; MemoryBound: 0
; FloatMode: 240
; IeeeMode: 1
; LDSByteSize: 1088 bytes/workgroup (compile time only)
; SGPRBlocks: 0
; VGPRBlocks: 2
; NumSGPRsForWavesPerEU: 14
; NumVGPRsForWavesPerEU: 20
; Occupancy: 16
; WaveLimiterHint : 0
; COMPUTE_PGM_RSRC2:SCRATCH_EN: 0
; COMPUTE_PGM_RSRC2:USER_SGPR: 6
; COMPUTE_PGM_RSRC2:TRAP_HANDLER: 0
; COMPUTE_PGM_RSRC2:TGID_X_EN: 1
; COMPUTE_PGM_RSRC2:TGID_Y_EN: 0
; COMPUTE_PGM_RSRC2:TGID_Z_EN: 0
; COMPUTE_PGM_RSRC2:TIDIG_COMP_CNT: 0
	.section	.text._Z20sort_pairs_segmentedILj256ELj4ELj4EhN10test_utils4lessEEvPKT2_PS2_PKjT3_,"axG",@progbits,_Z20sort_pairs_segmentedILj256ELj4ELj4EhN10test_utils4lessEEvPKT2_PS2_PKjT3_,comdat
	.protected	_Z20sort_pairs_segmentedILj256ELj4ELj4EhN10test_utils4lessEEvPKT2_PS2_PKjT3_ ; -- Begin function _Z20sort_pairs_segmentedILj256ELj4ELj4EhN10test_utils4lessEEvPKT2_PS2_PKjT3_
	.globl	_Z20sort_pairs_segmentedILj256ELj4ELj4EhN10test_utils4lessEEvPKT2_PS2_PKjT3_
	.p2align	8
	.type	_Z20sort_pairs_segmentedILj256ELj4ELj4EhN10test_utils4lessEEvPKT2_PS2_PKjT3_,@function
_Z20sort_pairs_segmentedILj256ELj4ELj4EhN10test_utils4lessEEvPKT2_PS2_PKjT3_: ; @_Z20sort_pairs_segmentedILj256ELj4ELj4EhN10test_utils4lessEEvPKT2_PS2_PKjT3_
; %bb.0:
	s_clause 0x1
	s_load_dwordx2 s[0:1], s[4:5], 0x10
	s_load_dwordx4 s[8:11], s[4:5], 0x0
	v_lshrrev_b32_e32 v6, 2, v0
	v_mov_b32_e32 v1, 0
	v_mov_b32_e32 v9, 0
	;; [unrolled: 1-line block ×3, first 2 shown]
	v_lshl_or_b32 v0, s6, 6, v6
	v_lshlrev_b64 v[2:3], 2, v[0:1]
	v_lshlrev_b32_e32 v4, 4, v0
	s_waitcnt lgkmcnt(0)
	v_add_co_u32 v2, vcc_lo, s0, v2
	v_add_co_ci_u32_e64 v3, null, s1, v3, vcc_lo
	global_load_dword v5, v[2:3], off
	v_mbcnt_lo_u32_b32 v2, -1, 0
	v_lshlrev_b32_e32 v7, 2, v2
	v_add_co_u32 v2, s0, s8, v4
	v_add_co_ci_u32_e64 v3, null, s9, 0, s0
	v_and_b32_e32 v0, 12, v7
	v_add_co_u32 v2, vcc_lo, v2, v0
	v_add_co_ci_u32_e64 v3, null, 0, v3, vcc_lo
	s_waitcnt vmcnt(0)
	v_cmp_lt_u32_e64 s0, v0, v5
	s_and_saveexec_b32 s1, s0
	s_cbranch_execz .LBB103_2
; %bb.1:
	global_load_ubyte v9, v[2:3], off
	v_mov_b32_e32 v8, 0
.LBB103_2:
	s_or_b32 exec_lo, exec_lo, s1
	v_or_b32_e32 v10, 1, v0
	v_mov_b32_e32 v12, v1
	v_cmp_lt_u32_e64 s1, v10, v5
	s_and_saveexec_b32 s2, s1
	s_cbranch_execz .LBB103_4
; %bb.3:
	global_load_ubyte v12, v[2:3], off offset:1
.LBB103_4:
	s_or_b32 exec_lo, exec_lo, s2
	v_or_b32_e32 v11, 2, v0
	v_cmp_lt_u32_e64 s2, v11, v5
	s_and_saveexec_b32 s3, s2
	s_cbranch_execz .LBB103_6
; %bb.5:
	global_load_ubyte v1, v[2:3], off offset:2
.LBB103_6:
	s_or_b32 exec_lo, exec_lo, s3
	v_or_b32_e32 v13, 3, v0
	v_cmp_lt_u32_e64 s3, v13, v5
	s_and_saveexec_b32 s4, s3
	s_cbranch_execz .LBB103_8
; %bb.7:
	global_load_ubyte v8, v[2:3], off offset:3
.LBB103_8:
	s_or_b32 exec_lo, exec_lo, s4
	s_waitcnt vmcnt(0)
	v_add_nc_u16 v2, v9, 1
	v_mov_b32_e32 v3, 0xffff
	v_add_nc_u16 v14, v1, 1
	v_perm_b32 v1, v1, v8, 0xc0c0004
	v_cmp_lt_i32_e32 vcc_lo, v10, v5
	v_lshlrev_b16 v8, 8, v8
	v_and_b32_sdwa v2, v3, v2 dst_sel:DWORD dst_unused:UNUSED_PAD src0_sel:DWORD src1_sel:BYTE_0
	v_lshlrev_b16 v3, 8, v12
	v_lshlrev_b32_e32 v1, 16, v1
	v_cmp_lt_i32_e64 s5, v13, v5
	s_mov_b32 s4, exec_lo
	v_cndmask_b32_e64 v2, 0, v2, s0
	v_or_b32_e32 v3, v3, v2
	v_add_nc_u16 v3, 0x100, v3
	v_and_b32_e32 v3, 0xffff, v3
	v_cndmask_b32_e64 v2, v2, v3, s1
	v_perm_b32 v3, v9, v12, 0xc0c0004
	v_or_b32_e32 v9, 0xffffff00, v9
	v_perm_b32 v12, v14, v2, 0xc0c0304
	v_or_b32_e32 v3, v3, v1
	v_or_b32_sdwa v1, v9, v1 dst_sel:DWORD dst_unused:UNUSED_PAD src0_sel:WORD_0 src1_sel:DWORD
	v_mov_b32_e32 v9, 0xff
	v_lshl_or_b32 v12, v12, 16, v2
	v_cndmask_b32_e32 v1, v1, v3, vcc_lo
	v_cmp_lt_i32_e32 vcc_lo, v11, v5
	v_cndmask_b32_e64 v2, v2, v12, s2
	v_and_b32_sdwa v10, v2, v9 dst_sel:DWORD dst_unused:UNUSED_PAD src0_sel:WORD_1 src1_sel:DWORD
	v_or_b32_sdwa v9, v1, v9 dst_sel:WORD_1 dst_unused:UNUSED_PAD src0_sel:WORD_1 src1_sel:DWORD
	v_or_b32_e32 v8, v8, v10
	v_and_or_b32 v1, 0xffff, v1, v9
	v_add_nc_u16 v8, 0x100, v8
	v_cndmask_b32_e32 v1, v1, v3, vcc_lo
	v_lshlrev_b32_e32 v8, 16, v8
	v_lshrrev_b32_e32 v11, 24, v1
	v_lshrrev_b32_e32 v9, 16, v1
	;; [unrolled: 1-line block ×3, first 2 shown]
	v_and_or_b32 v10, 0xffff, v2, v8
                                        ; implicit-def: $vgpr8
	v_cmpx_ge_i32_e64 v13, v5
; %bb.9:
	v_mov_b32_e32 v8, 0xffffff00
	v_cmp_lt_i32_e32 vcc_lo, v0, v5
	v_mov_b32_e32 v11, 0xff
	s_andn2_b32 s5, s5, exec_lo
	v_or_b32_sdwa v8, v9, v8 dst_sel:WORD_1 dst_unused:UNUSED_PAD src0_sel:DWORD src1_sel:DWORD
	s_and_b32 s6, vcc_lo, exec_lo
	s_or_b32 s5, s5, s6
	v_and_or_b32 v8, 0xffff, v1, v8
; %bb.10:
	s_or_b32 exec_lo, exec_lo, s4
	v_cndmask_b32_e64 v2, v2, v10, s3
	s_and_saveexec_b32 s4, s5
	s_cbranch_execz .LBB103_14
; %bb.11:
	v_perm_b32 v8, v9, v11, 0xc0c0004
	v_perm_b32 v9, v3, v1, 0xc0c0004
	;; [unrolled: 1-line block ×4, first 2 shown]
	v_cmp_lt_u16_sdwa vcc_lo, v3, v1 src0_sel:BYTE_0 src1_sel:BYTE_0
	v_lshlrev_b32_e32 v8, 16, v8
	v_cndmask_b32_e32 v1, v2, v11, vcc_lo
	v_or_b32_e32 v9, v9, v8
	v_or_b32_e32 v8, v10, v8
	v_mov_b32_e32 v11, 0xffffff00
	v_lshrrev_b32_e32 v3, 16, v1
	v_cndmask_b32_e32 v2, v8, v9, vcc_lo
	v_perm_b32 v3, 0, v3, 0xc0c0001
	v_lshrrev_b32_e32 v8, 16, v2
	v_lshrrev_b32_e32 v10, 24, v2
	v_lshlrev_b32_e32 v3, 16, v3
	v_perm_b32 v9, 0, v8, 0xc0c0001
	v_and_b32_e32 v8, 0xff, v8
	v_and_or_b32 v3, 0xffff, v1, v3
	v_lshlrev_b32_e32 v9, 16, v9
	v_cmp_lt_u16_e32 vcc_lo, v10, v8
	v_and_or_b32 v9, 0xffff, v2, v9
	v_cndmask_b32_e32 v1, v1, v3, vcc_lo
	v_min_u16 v3, v10, v8
	v_cndmask_b32_e32 v2, v2, v9, vcc_lo
	v_lshlrev_b16 v8, 8, v3
	v_and_b32_sdwa v9, v2, v11 dst_sel:DWORD dst_unused:UNUSED_PAD src0_sel:WORD_1 src1_sel:DWORD
	v_lshrrev_b32_e32 v10, 8, v2
	v_or_b32_sdwa v8, v2, v8 dst_sel:DWORD dst_unused:UNUSED_PAD src0_sel:BYTE_0 src1_sel:DWORD
	v_perm_b32 v11, v1, v1, 0x7050604
	v_or_b32_sdwa v9, v2, v9 dst_sel:WORD_1 dst_unused:UNUSED_PAD src0_sel:BYTE_1 src1_sel:DWORD
	v_and_b32_e32 v10, 0xff, v10
	v_or_b32_sdwa v8, v8, v9 dst_sel:DWORD dst_unused:UNUSED_PAD src0_sel:WORD_0 src1_sel:DWORD
	v_cmp_lt_u16_e32 vcc_lo, v3, v10
	v_min_u16 v3, v3, v10
	v_cndmask_b32_e32 v2, v2, v8, vcc_lo
	v_cndmask_b32_e32 v1, v1, v11, vcc_lo
	v_lshlrev_b16 v8, 8, v2
	v_perm_b32 v9, 0, v1, 0xc0c0001
	v_cmp_lt_u16_sdwa vcc_lo, v3, v2 src0_sel:DWORD src1_sel:BYTE_0
	v_or_b32_e32 v8, v3, v8
	v_and_or_b32 v9, 0xffff0000, v1, v9
	v_and_b32_e32 v8, 0xffff, v8
	v_cndmask_b32_e32 v1, v1, v9, vcc_lo
	v_and_or_b32 v8, 0xffff0000, v2, v8
	v_cndmask_b32_e32 v3, v2, v8, vcc_lo
	v_lshrrev_b32_e32 v2, 16, v1
	v_lshrrev_b32_e32 v8, 16, v3
	v_perm_b32 v2, 0, v2, 0xc0c0001
	v_lshrrev_b32_e32 v10, 24, v3
	v_perm_b32 v9, 0, v8, 0xc0c0001
	v_and_b32_e32 v11, 0xff, v8
	v_lshlrev_b32_e32 v2, 16, v2
	v_lshlrev_b32_e32 v9, 16, v9
	v_cmp_lt_u16_e32 vcc_lo, v10, v11
	v_and_or_b32 v2, 0xffff, v1, v2
	v_and_or_b32 v8, 0xffff, v3, v9
	v_cndmask_b32_e32 v2, v1, v2, vcc_lo
	v_min_u16 v1, v10, v11
	v_cndmask_b32_e32 v8, v3, v8, vcc_lo
	v_lshrrev_b32_e32 v3, 8, v8
	v_cmp_lt_u16_sdwa s6, v1, v3 src0_sel:DWORD src1_sel:BYTE_0
	s_and_saveexec_b32 s5, s6
; %bb.12:
	v_perm_b32 v8, v8, v1, 0x7050004
	v_perm_b32 v2, v2, v2, 0x7050604
; %bb.13:
	s_or_b32 exec_lo, exec_lo, s5
.LBB103_14:
	s_or_b32 exec_lo, exec_lo, s4
	v_and_b32_e32 v1, 8, v7
	v_and_b32_e32 v10, 4, v7
	v_mad_u32_u24 v13, v6, 17, v0
	s_mov_b32 s5, 0
	s_mov_b32 s4, exec_lo
	v_min_i32_e32 v9, v5, v1
	v_min_i32_e32 v10, v5, v10
	; wave barrier
	ds_write_b32 v13, v8
	v_add_nc_u32_e32 v1, 4, v9
	; wave barrier
	v_min_i32_e32 v3, v5, v1
	v_add_nc_u32_e32 v1, 4, v3
	v_sub_nc_u32_e32 v12, v3, v9
	v_min_i32_e32 v7, v5, v1
	v_min_i32_e32 v12, v10, v12
	v_sub_nc_u32_e32 v1, v7, v3
	v_sub_nc_u32_e32 v11, v10, v1
	v_cmp_ge_i32_e32 vcc_lo, v10, v1
	v_mul_u32_u24_e32 v1, 17, v6
	v_cndmask_b32_e32 v11, 0, v11, vcc_lo
	v_cmpx_lt_i32_e64 v11, v12
	s_cbranch_execz .LBB103_18
; %bb.15:
	v_add_nc_u32_e32 v6, v1, v9
	v_add3_u32 v8, v1, v3, v10
	.p2align	6
.LBB103_16:                             ; =>This Inner Loop Header: Depth=1
	v_sub_nc_u32_e32 v13, v12, v11
	v_lshrrev_b32_e32 v13, 1, v13
	v_add_nc_u32_e32 v13, v13, v11
	v_add_nc_u32_e32 v14, v6, v13
	v_xad_u32 v15, v13, -1, v8
	v_add_nc_u32_e32 v16, 1, v13
	ds_read_u8 v14, v14
	ds_read_u8 v15, v15
	s_waitcnt lgkmcnt(0)
	v_cmp_lt_u16_e32 vcc_lo, v15, v14
	v_cndmask_b32_e32 v12, v12, v13, vcc_lo
	v_cndmask_b32_e32 v11, v16, v11, vcc_lo
	v_cmp_ge_i32_e32 vcc_lo, v11, v12
	s_or_b32 s5, vcc_lo, s5
	s_andn2_b32 exec_lo, exec_lo, s5
	s_cbranch_execnz .LBB103_16
; %bb.17:
	s_or_b32 exec_lo, exec_lo, s5
.LBB103_18:
	s_or_b32 exec_lo, exec_lo, s4
	v_add_nc_u32_e32 v8, v3, v10
	v_add_nc_u32_e32 v6, v11, v9
                                        ; implicit-def: $vgpr12
	v_sub_nc_u32_e32 v8, v8, v11
	v_add_nc_u32_e32 v13, v1, v6
	v_cmp_le_i32_e32 vcc_lo, v3, v6
	v_add_nc_u32_e32 v9, v1, v8
	v_cmp_gt_i32_e64 s4, v7, v8
	ds_read_u8 v10, v13
	ds_read_u8 v11, v9
	s_waitcnt lgkmcnt(0)
	v_cmp_lt_u16_sdwa s5, v11, v10 src0_sel:BYTE_0 src1_sel:BYTE_0
	s_or_b32 s5, vcc_lo, s5
	s_and_b32 vcc_lo, s4, s5
	s_xor_b32 s4, vcc_lo, -1
	s_and_saveexec_b32 s5, s4
	s_xor_b32 s4, exec_lo, s5
; %bb.19:
	ds_read_u8 v12, v13 offset:1
                                        ; implicit-def: $vgpr9
; %bb.20:
	s_or_saveexec_b32 s4, s4
	v_mov_b32_e32 v13, v11
	s_xor_b32 exec_lo, exec_lo, s4
	s_cbranch_execz .LBB103_22
; %bb.21:
	ds_read_u8 v13, v9 offset:1
	s_waitcnt lgkmcnt(1)
	v_mov_b32_e32 v12, v10
.LBB103_22:
	s_or_b32 exec_lo, exec_lo, s4
	v_add_nc_u32_e32 v9, 1, v6
	v_add_nc_u32_e32 v14, 1, v8
	s_waitcnt lgkmcnt(0)
	v_cmp_lt_u16_sdwa s6, v13, v12 src0_sel:BYTE_0 src1_sel:BYTE_0
	v_cndmask_b32_e32 v9, v9, v6, vcc_lo
	v_cndmask_b32_e32 v16, v8, v14, vcc_lo
                                        ; implicit-def: $vgpr14
	v_cmp_ge_i32_e64 s4, v9, v3
	v_cmp_lt_i32_e64 s5, v16, v7
	s_or_b32 s4, s4, s6
	s_and_b32 s4, s5, s4
	s_xor_b32 s5, s4, -1
	s_and_saveexec_b32 s6, s5
	s_xor_b32 s5, exec_lo, s6
; %bb.23:
	v_add_nc_u32_e32 v14, v1, v9
	ds_read_u8 v14, v14 offset:1
; %bb.24:
	s_or_saveexec_b32 s5, s5
	v_mov_b32_e32 v15, v13
	s_xor_b32 exec_lo, exec_lo, s5
	s_cbranch_execz .LBB103_26
; %bb.25:
	s_waitcnt lgkmcnt(0)
	v_add_nc_u32_e32 v14, v1, v16
	ds_read_u8 v15, v14 offset:1
	v_mov_b32_e32 v14, v12
.LBB103_26:
	s_or_b32 exec_lo, exec_lo, s5
	v_add_nc_u32_e32 v17, 1, v9
	v_add_nc_u32_e32 v19, 1, v16
	s_waitcnt lgkmcnt(0)
	v_cmp_lt_u16_sdwa s7, v15, v14 src0_sel:BYTE_0 src1_sel:BYTE_0
	v_cndmask_b32_e64 v18, v17, v9, s4
	v_cndmask_b32_e64 v17, v16, v19, s4
                                        ; implicit-def: $vgpr19
	v_cmp_ge_i32_e64 s5, v18, v3
	v_cmp_lt_i32_e64 s6, v17, v7
	s_or_b32 s5, s5, s7
	s_and_b32 s5, s6, s5
	s_xor_b32 s6, s5, -1
	s_and_saveexec_b32 s7, s6
	s_xor_b32 s6, exec_lo, s7
; %bb.27:
	v_add_nc_u32_e32 v19, v1, v18
	ds_read_u8 v19, v19 offset:1
; %bb.28:
	s_or_saveexec_b32 s6, s6
	v_mov_b32_e32 v20, v15
	s_xor_b32 exec_lo, exec_lo, s6
	s_cbranch_execz .LBB103_30
; %bb.29:
	s_waitcnt lgkmcnt(0)
	v_add_nc_u32_e32 v19, v1, v17
	ds_read_u8 v20, v19 offset:1
	v_mov_b32_e32 v19, v14
.LBB103_30:
	s_or_b32 exec_lo, exec_lo, s6
	v_add_nc_u32_e32 v21, 1, v18
	v_add_nc_u32_e32 v22, 1, v17
	v_cndmask_b32_e64 v23, v18, v17, s5
	v_cndmask_b32_e64 v9, v9, v16, s4
	v_min_i32_e32 v16, 0, v5
	v_cndmask_b32_e64 v18, v21, v18, s5
	v_cndmask_b32_e64 v17, v17, v22, s5
	s_waitcnt lgkmcnt(0)
	v_cmp_lt_u16_sdwa s8, v20, v19 src0_sel:BYTE_0 src1_sel:BYTE_0
	v_cndmask_b32_e32 v8, v6, v8, vcc_lo
	v_add_nc_u32_e32 v6, 8, v16
	v_cmp_ge_i32_e64 s6, v18, v3
	v_cmp_lt_i32_e64 s7, v17, v7
	v_add_nc_u32_e32 v3, v1, v0
	v_add_nc_u32_e32 v8, v1, v8
	v_min_i32_e32 v6, v5, v6
	s_or_b32 s6, s6, s8
	v_add_nc_u32_e32 v9, v1, v9
	s_and_b32 s6, s7, s6
	v_cndmask_b32_e64 v7, v18, v17, s6
	v_add_nc_u32_e32 v17, 8, v6
	v_add_nc_u32_e32 v18, v1, v23
	; wave barrier
	ds_write_b32 v3, v2
	v_add_nc_u32_e32 v7, v1, v7
	; wave barrier
	v_min_i32_e32 v2, v5, v17
	v_min_i32_e32 v17, v5, v0
	ds_read_u8 v8, v8
	ds_read_u8 v9, v9
	;; [unrolled: 1-line block ×4, first 2 shown]
	v_cndmask_b32_e64 v19, v19, v20, s6
	v_cndmask_b32_e64 v14, v14, v15, s5
	v_sub_nc_u32_e32 v20, v2, v6
	v_cndmask_b32_e64 v12, v12, v13, s4
	v_sub_nc_u32_e32 v15, v6, v16
	v_cndmask_b32_e32 v18, v10, v11, vcc_lo
	s_mov_b32 s5, 0
	v_sub_nc_u32_e32 v13, v17, v20
	v_cmp_ge_i32_e32 vcc_lo, v17, v20
	v_min_i32_e32 v11, v17, v15
	s_mov_b32 s4, exec_lo
	; wave barrier
	v_cndmask_b32_e32 v10, 0, v13, vcc_lo
	ds_write_b8 v3, v18
	ds_write_b8 v3, v12 offset:1
	ds_write_b8 v3, v14 offset:2
	;; [unrolled: 1-line block ×3, first 2 shown]
	; wave barrier
	v_cmpx_lt_i32_e64 v10, v11
	s_cbranch_execz .LBB103_34
; %bb.31:
	v_add_nc_u32_e32 v12, v1, v16
	v_add3_u32 v13, v1, v6, v17
	.p2align	6
.LBB103_32:                             ; =>This Inner Loop Header: Depth=1
	v_sub_nc_u32_e32 v14, v11, v10
	v_lshrrev_b32_e32 v14, 1, v14
	v_add_nc_u32_e32 v14, v14, v10
	v_add_nc_u32_e32 v15, v12, v14
	v_xad_u32 v18, v14, -1, v13
	v_add_nc_u32_e32 v19, 1, v14
	ds_read_u8 v15, v15
	ds_read_u8 v18, v18
	s_waitcnt lgkmcnt(0)
	v_cmp_lt_u16_e32 vcc_lo, v18, v15
	v_cndmask_b32_e32 v11, v11, v14, vcc_lo
	v_cndmask_b32_e32 v10, v19, v10, vcc_lo
	v_cmp_ge_i32_e32 vcc_lo, v10, v11
	s_or_b32 s5, vcc_lo, s5
	s_andn2_b32 exec_lo, exec_lo, s5
	s_cbranch_execnz .LBB103_32
; %bb.33:
	s_or_b32 exec_lo, exec_lo, s5
.LBB103_34:
	s_or_b32 exec_lo, exec_lo, s4
	v_add_nc_u32_e32 v11, v6, v17
	v_add_nc_u32_e32 v14, v10, v16
                                        ; implicit-def: $vgpr12
	v_sub_nc_u32_e32 v15, v11, v10
	v_add_nc_u32_e32 v13, v1, v14
	v_cmp_le_i32_e32 vcc_lo, v6, v14
	v_add_nc_u32_e32 v16, v1, v15
	v_cmp_gt_i32_e64 s4, v2, v15
	ds_read_u8 v10, v13
	ds_read_u8 v11, v16
	s_waitcnt lgkmcnt(0)
	v_cmp_lt_u16_sdwa s5, v11, v10 src0_sel:BYTE_0 src1_sel:BYTE_0
	s_or_b32 s5, vcc_lo, s5
	s_and_b32 s4, s4, s5
	s_xor_b32 s5, s4, -1
	s_and_saveexec_b32 s6, s5
	s_xor_b32 s5, exec_lo, s6
; %bb.35:
	ds_read_u8 v12, v13 offset:1
                                        ; implicit-def: $vgpr16
; %bb.36:
	s_or_saveexec_b32 s5, s5
	v_mov_b32_e32 v13, v11
	s_xor_b32 exec_lo, exec_lo, s5
	s_cbranch_execz .LBB103_38
; %bb.37:
	ds_read_u8 v13, v16 offset:1
	s_waitcnt lgkmcnt(1)
	v_mov_b32_e32 v12, v10
.LBB103_38:
	s_or_b32 exec_lo, exec_lo, s5
	v_add_nc_u32_e32 v16, 1, v14
	v_add_nc_u32_e32 v17, 1, v15
	s_waitcnt lgkmcnt(0)
	v_cmp_lt_u16_sdwa s6, v13, v12 src0_sel:BYTE_0 src1_sel:BYTE_0
                                        ; implicit-def: $vgpr18
	v_cndmask_b32_e64 v16, v16, v14, s4
	v_cndmask_b32_e64 v17, v15, v17, s4
	v_cmp_ge_i32_e32 vcc_lo, v16, v6
	v_cmp_lt_i32_e64 s5, v17, v2
	s_or_b32 s6, vcc_lo, s6
	s_and_b32 vcc_lo, s5, s6
	s_xor_b32 s5, vcc_lo, -1
	s_and_saveexec_b32 s6, s5
	s_xor_b32 s5, exec_lo, s6
; %bb.39:
	v_add_nc_u32_e32 v18, v1, v16
	ds_read_u8 v18, v18 offset:1
; %bb.40:
	s_or_saveexec_b32 s5, s5
	v_mov_b32_e32 v19, v13
	s_xor_b32 exec_lo, exec_lo, s5
	s_cbranch_execz .LBB103_42
; %bb.41:
	s_waitcnt lgkmcnt(0)
	v_add_nc_u32_e32 v18, v1, v17
	ds_read_u8 v19, v18 offset:1
	v_mov_b32_e32 v18, v12
.LBB103_42:
	s_or_b32 exec_lo, exec_lo, s5
	v_add_nc_u32_e32 v20, 1, v16
	v_add_nc_u32_e32 v21, 1, v17
	s_waitcnt lgkmcnt(0)
	v_cmp_lt_u16_sdwa s7, v19, v18 src0_sel:BYTE_0 src1_sel:BYTE_0
                                        ; implicit-def: $vgpr22
	v_cndmask_b32_e32 v25, v20, v16, vcc_lo
	v_cndmask_b32_e32 v20, v17, v21, vcc_lo
                                        ; implicit-def: $vgpr21
	v_cmp_ge_i32_e64 s5, v25, v6
	v_cmp_lt_i32_e64 s6, v20, v2
	s_or_b32 s5, s5, s7
	s_and_b32 s5, s6, s5
	s_xor_b32 s6, s5, -1
	s_and_saveexec_b32 s7, s6
	s_xor_b32 s6, exec_lo, s7
; %bb.43:
	v_add_nc_u32_e32 v21, v1, v25
	ds_read_u8 v22, v21 offset:1
	v_add_nc_u32_e32 v21, 1, v25
; %bb.44:
	s_or_saveexec_b32 s6, s6
	v_mov_b32_e32 v23, v25
	v_mov_b32_e32 v24, v19
	s_xor_b32 exec_lo, exec_lo, s6
	s_cbranch_execz .LBB103_46
; %bb.45:
	v_add_nc_u32_e32 v21, v1, v20
	s_waitcnt lgkmcnt(0)
	v_add_nc_u32_e32 v22, 1, v20
	v_mov_b32_e32 v23, v20
	ds_read_u8 v24, v21 offset:1
	v_mov_b32_e32 v21, v25
	v_mov_b32_e32 v20, v22
	;; [unrolled: 1-line block ×3, first 2 shown]
.LBB103_46:
	s_or_b32 exec_lo, exec_lo, s6
	v_cndmask_b32_e64 v14, v14, v15, s4
	v_cmp_ge_i32_e64 s6, v21, v6
	; wave barrier
	ds_write_b8 v3, v8
	ds_write_b8 v3, v9 offset:1
	v_add_nc_u32_e32 v6, v1, v14
	ds_write_b8 v3, v5 offset:2
	ds_write_b8 v3, v7 offset:3
	; wave barrier
	s_waitcnt lgkmcnt(4)
	v_cmp_lt_u16_sdwa s8, v24, v22 src0_sel:BYTE_0 src1_sel:BYTE_0
	ds_read_u8 v3, v6
	v_cmp_lt_i32_e64 s7, v20, v2
	v_cndmask_b32_e32 v2, v16, v17, vcc_lo
	v_cndmask_b32_e64 v7, v10, v11, s4
	s_or_b32 s6, s6, s8
	v_cndmask_b32_e64 v8, v18, v19, s5
	s_and_b32 s6, s7, s6
	v_add_nc_u32_e32 v2, v1, v2
	v_cndmask_b32_e64 v5, v22, v24, s6
	v_cndmask_b32_e64 v6, v21, v20, s6
	v_add_nc_u32_e32 v9, v1, v23
	v_lshlrev_b16 v5, 8, v5
	v_add_nc_u32_e32 v1, v1, v6
	v_cndmask_b32_sdwa v6, v12, v13, vcc_lo dst_sel:BYTE_1 dst_unused:UNUSED_PAD src0_sel:DWORD src1_sel:DWORD
	ds_read_u8 v2, v2
	ds_read_u8 v9, v9
	ds_read_u8 v1, v1
	v_or_b32_sdwa v5, v8, v5 dst_sel:WORD_1 dst_unused:UNUSED_PAD src0_sel:BYTE_0 src1_sel:DWORD
	s_waitcnt lgkmcnt(3)
	v_add_nc_u16 v3, v3, v7
	v_or_b32_sdwa v7, v7, v6 dst_sel:DWORD dst_unused:UNUSED_PAD src0_sel:BYTE_0 src1_sel:DWORD
	v_or_b32_sdwa v3, v3, v6 dst_sel:DWORD dst_unused:UNUSED_PAD src0_sel:BYTE_0 src1_sel:DWORD
	v_or_b32_sdwa v6, v7, v5 dst_sel:DWORD dst_unused:UNUSED_PAD src0_sel:WORD_0 src1_sel:DWORD
	v_or_b32_sdwa v3, v3, v5 dst_sel:DWORD dst_unused:UNUSED_PAD src0_sel:WORD_0 src1_sel:DWORD
	v_cndmask_b32_e64 v3, v6, v3, s0
	v_lshrrev_b32_e32 v5, 8, v3
	s_waitcnt lgkmcnt(2)
	v_add_nc_u16 v2, v5, v2
	v_mov_b32_e32 v5, 0xff
	v_lshlrev_b16 v2, 8, v2
	v_or_b32_sdwa v2, v3, v2 dst_sel:DWORD dst_unused:UNUSED_PAD src0_sel:BYTE_0 src1_sel:DWORD
	v_and_b32_e32 v2, 0xffff, v2
	v_and_or_b32 v2, 0xffff0000, v3, v2
	v_cndmask_b32_e64 v2, v3, v2, s1
	v_lshrrev_b32_e32 v3, 16, v2
	s_waitcnt lgkmcnt(1)
	v_add_nc_u16 v3, v3, v9
	v_perm_b32 v3, v3, v2, 0xc0c0304
	v_lshlrev_b32_e32 v3, 16, v3
	v_and_or_b32 v3, 0xffff, v2, v3
	v_cndmask_b32_e64 v2, v2, v3, s2
	v_lshrrev_b32_e32 v3, 24, v2
	s_waitcnt lgkmcnt(0)
	v_add_nc_u16 v1, v3, v1
	v_and_b32_sdwa v3, v2, v5 dst_sel:DWORD dst_unused:UNUSED_PAD src0_sel:WORD_1 src1_sel:DWORD
	v_lshlrev_b16 v1, 8, v1
	v_or_b32_sdwa v1, v3, v1 dst_sel:WORD_1 dst_unused:UNUSED_PAD src0_sel:DWORD src1_sel:DWORD
	v_add_co_u32 v3, s4, s10, v4
	v_add_co_ci_u32_e64 v4, null, s11, 0, s4
	v_and_or_b32 v1, 0xffff, v2, v1
	v_add_co_u32 v0, vcc_lo, v3, v0
	v_cndmask_b32_e64 v2, v2, v1, s3
	v_add_co_ci_u32_e64 v1, null, 0, v4, vcc_lo
	s_and_saveexec_b32 s4, s0
	s_cbranch_execnz .LBB103_51
; %bb.47:
	s_or_b32 exec_lo, exec_lo, s4
	s_and_saveexec_b32 s0, s1
	s_cbranch_execnz .LBB103_52
.LBB103_48:
	s_or_b32 exec_lo, exec_lo, s0
	s_and_saveexec_b32 s0, s2
	s_cbranch_execnz .LBB103_53
.LBB103_49:
	s_or_b32 exec_lo, exec_lo, s0
	s_and_saveexec_b32 s0, s3
	s_cbranch_execnz .LBB103_54
.LBB103_50:
	s_endpgm
.LBB103_51:
	global_store_byte v[0:1], v2, off
	s_or_b32 exec_lo, exec_lo, s4
	s_and_saveexec_b32 s0, s1
	s_cbranch_execz .LBB103_48
.LBB103_52:
	v_lshrrev_b32_e32 v3, 8, v2
	global_store_byte v[0:1], v3, off offset:1
	s_or_b32 exec_lo, exec_lo, s0
	s_and_saveexec_b32 s0, s2
	s_cbranch_execz .LBB103_49
.LBB103_53:
	global_store_byte_d16_hi v[0:1], v2, off offset:2
	s_or_b32 exec_lo, exec_lo, s0
	s_and_saveexec_b32 s0, s3
	s_cbranch_execz .LBB103_50
.LBB103_54:
	v_lshrrev_b32_e32 v2, 24, v2
	global_store_byte v[0:1], v2, off offset:3
	s_endpgm
	.section	.rodata,"a",@progbits
	.p2align	6, 0x0
	.amdhsa_kernel _Z20sort_pairs_segmentedILj256ELj4ELj4EhN10test_utils4lessEEvPKT2_PS2_PKjT3_
		.amdhsa_group_segment_fixed_size 1088
		.amdhsa_private_segment_fixed_size 0
		.amdhsa_kernarg_size 28
		.amdhsa_user_sgpr_count 6
		.amdhsa_user_sgpr_private_segment_buffer 1
		.amdhsa_user_sgpr_dispatch_ptr 0
		.amdhsa_user_sgpr_queue_ptr 0
		.amdhsa_user_sgpr_kernarg_segment_ptr 1
		.amdhsa_user_sgpr_dispatch_id 0
		.amdhsa_user_sgpr_flat_scratch_init 0
		.amdhsa_user_sgpr_private_segment_size 0
		.amdhsa_wavefront_size32 1
		.amdhsa_uses_dynamic_stack 0
		.amdhsa_system_sgpr_private_segment_wavefront_offset 0
		.amdhsa_system_sgpr_workgroup_id_x 1
		.amdhsa_system_sgpr_workgroup_id_y 0
		.amdhsa_system_sgpr_workgroup_id_z 0
		.amdhsa_system_sgpr_workgroup_info 0
		.amdhsa_system_vgpr_workitem_id 0
		.amdhsa_next_free_vgpr 26
		.amdhsa_next_free_sgpr 12
		.amdhsa_reserve_vcc 1
		.amdhsa_reserve_flat_scratch 0
		.amdhsa_float_round_mode_32 0
		.amdhsa_float_round_mode_16_64 0
		.amdhsa_float_denorm_mode_32 3
		.amdhsa_float_denorm_mode_16_64 3
		.amdhsa_dx10_clamp 1
		.amdhsa_ieee_mode 1
		.amdhsa_fp16_overflow 0
		.amdhsa_workgroup_processor_mode 1
		.amdhsa_memory_ordered 1
		.amdhsa_forward_progress 1
		.amdhsa_shared_vgpr_count 0
		.amdhsa_exception_fp_ieee_invalid_op 0
		.amdhsa_exception_fp_denorm_src 0
		.amdhsa_exception_fp_ieee_div_zero 0
		.amdhsa_exception_fp_ieee_overflow 0
		.amdhsa_exception_fp_ieee_underflow 0
		.amdhsa_exception_fp_ieee_inexact 0
		.amdhsa_exception_int_div_zero 0
	.end_amdhsa_kernel
	.section	.text._Z20sort_pairs_segmentedILj256ELj4ELj4EhN10test_utils4lessEEvPKT2_PS2_PKjT3_,"axG",@progbits,_Z20sort_pairs_segmentedILj256ELj4ELj4EhN10test_utils4lessEEvPKT2_PS2_PKjT3_,comdat
.Lfunc_end103:
	.size	_Z20sort_pairs_segmentedILj256ELj4ELj4EhN10test_utils4lessEEvPKT2_PS2_PKjT3_, .Lfunc_end103-_Z20sort_pairs_segmentedILj256ELj4ELj4EhN10test_utils4lessEEvPKT2_PS2_PKjT3_
                                        ; -- End function
	.set _Z20sort_pairs_segmentedILj256ELj4ELj4EhN10test_utils4lessEEvPKT2_PS2_PKjT3_.num_vgpr, 26
	.set _Z20sort_pairs_segmentedILj256ELj4ELj4EhN10test_utils4lessEEvPKT2_PS2_PKjT3_.num_agpr, 0
	.set _Z20sort_pairs_segmentedILj256ELj4ELj4EhN10test_utils4lessEEvPKT2_PS2_PKjT3_.numbered_sgpr, 12
	.set _Z20sort_pairs_segmentedILj256ELj4ELj4EhN10test_utils4lessEEvPKT2_PS2_PKjT3_.num_named_barrier, 0
	.set _Z20sort_pairs_segmentedILj256ELj4ELj4EhN10test_utils4lessEEvPKT2_PS2_PKjT3_.private_seg_size, 0
	.set _Z20sort_pairs_segmentedILj256ELj4ELj4EhN10test_utils4lessEEvPKT2_PS2_PKjT3_.uses_vcc, 1
	.set _Z20sort_pairs_segmentedILj256ELj4ELj4EhN10test_utils4lessEEvPKT2_PS2_PKjT3_.uses_flat_scratch, 0
	.set _Z20sort_pairs_segmentedILj256ELj4ELj4EhN10test_utils4lessEEvPKT2_PS2_PKjT3_.has_dyn_sized_stack, 0
	.set _Z20sort_pairs_segmentedILj256ELj4ELj4EhN10test_utils4lessEEvPKT2_PS2_PKjT3_.has_recursion, 0
	.set _Z20sort_pairs_segmentedILj256ELj4ELj4EhN10test_utils4lessEEvPKT2_PS2_PKjT3_.has_indirect_call, 0
	.section	.AMDGPU.csdata,"",@progbits
; Kernel info:
; codeLenInByte = 3028
; TotalNumSgprs: 14
; NumVgprs: 26
; ScratchSize: 0
; MemoryBound: 0
; FloatMode: 240
; IeeeMode: 1
; LDSByteSize: 1088 bytes/workgroup (compile time only)
; SGPRBlocks: 0
; VGPRBlocks: 3
; NumSGPRsForWavesPerEU: 14
; NumVGPRsForWavesPerEU: 26
; Occupancy: 16
; WaveLimiterHint : 0
; COMPUTE_PGM_RSRC2:SCRATCH_EN: 0
; COMPUTE_PGM_RSRC2:USER_SGPR: 6
; COMPUTE_PGM_RSRC2:TRAP_HANDLER: 0
; COMPUTE_PGM_RSRC2:TGID_X_EN: 1
; COMPUTE_PGM_RSRC2:TGID_Y_EN: 0
; COMPUTE_PGM_RSRC2:TGID_Z_EN: 0
; COMPUTE_PGM_RSRC2:TIDIG_COMP_CNT: 0
	.section	.text._Z9sort_keysILj256ELj4ELj8EhN10test_utils4lessEEvPKT2_PS2_T3_,"axG",@progbits,_Z9sort_keysILj256ELj4ELj8EhN10test_utils4lessEEvPKT2_PS2_T3_,comdat
	.protected	_Z9sort_keysILj256ELj4ELj8EhN10test_utils4lessEEvPKT2_PS2_T3_ ; -- Begin function _Z9sort_keysILj256ELj4ELj8EhN10test_utils4lessEEvPKT2_PS2_T3_
	.globl	_Z9sort_keysILj256ELj4ELj8EhN10test_utils4lessEEvPKT2_PS2_T3_
	.p2align	8
	.type	_Z9sort_keysILj256ELj4ELj8EhN10test_utils4lessEEvPKT2_PS2_T3_,@function
_Z9sort_keysILj256ELj4ELj8EhN10test_utils4lessEEvPKT2_PS2_T3_: ; @_Z9sort_keysILj256ELj4ELj8EhN10test_utils4lessEEvPKT2_PS2_T3_
; %bb.0:
	s_load_dwordx4 s[8:11], s[4:5], 0x0
	s_lshl_b32 s7, s6, 11
	v_lshlrev_b32_e32 v1, 3, v0
	v_mov_b32_e32 v8, 0xffffff00
	v_lshrrev_b32_e32 v0, 2, v0
	s_waitcnt lgkmcnt(0)
	s_add_u32 s0, s8, s7
	s_addc_u32 s1, s9, 0
	global_load_dwordx2 v[2:3], v1, s[0:1]
	; wave barrier
	s_waitcnt vmcnt(0)
	v_lshrrev_b32_e32 v4, 8, v2
	v_perm_b32 v5, 0, v2, 0xc0c0001
	v_and_b32_e32 v6, 0xff, v2
	v_lshrrev_b32_e32 v9, 8, v3
	v_and_b32_e32 v11, 0xff, v3
	v_and_b32_e32 v4, 0xff, v4
	v_and_or_b32 v5, 0xffff0000, v2, v5
	v_perm_b32 v12, v3, v3, 0x7060405
	v_and_b32_e32 v9, 0xff, v9
	v_cmp_lt_u16_e32 vcc_lo, v4, v6
	v_cndmask_b32_e32 v2, v2, v5, vcc_lo
	v_lshrrev_b32_e32 v5, 16, v2
	v_lshrrev_b32_e32 v10, 24, v2
	v_perm_b32 v7, 0, v5, 0xc0c0001
	v_and_b32_e32 v5, 0xff, v5
	v_lshlrev_b32_e32 v7, 16, v7
	v_cmp_lt_u16_e32 vcc_lo, v10, v5
	v_min_u16 v13, v10, v5
	v_max_u16 v5, v10, v5
	v_and_or_b32 v7, 0xffff, v2, v7
	v_lshlrev_b16 v14, 8, v13
	v_cndmask_b32_e32 v2, v2, v7, vcc_lo
	v_cmp_lt_u16_e32 vcc_lo, v9, v11
	v_mov_b32_e32 v7, 0xff
	v_and_b32_sdwa v15, v2, v8 dst_sel:DWORD dst_unused:UNUSED_PAD src0_sel:WORD_1 src1_sel:DWORD
	v_cndmask_b32_e32 v3, v3, v12, vcc_lo
	v_max_u16 v12, v4, v6
	v_or_b32_sdwa v14, v2, v14 dst_sel:DWORD dst_unused:UNUSED_PAD src0_sel:BYTE_0 src1_sel:DWORD
	v_min_u16 v4, v4, v6
	v_lshrrev_b32_e32 v16, 24, v3
	v_and_b32_sdwa v17, v3, v7 dst_sel:DWORD dst_unused:UNUSED_PAD src0_sel:WORD_1 src1_sel:DWORD
	v_perm_b32 v18, v3, v3, 0x6070504
	v_or_b32_sdwa v15, v12, v15 dst_sel:WORD_1 dst_unused:UNUSED_PAD src0_sel:DWORD src1_sel:DWORD
	v_min_u16 v20, v13, v12
	v_cmp_lt_u16_e32 vcc_lo, v16, v17
	v_or_b32_sdwa v14, v14, v15 dst_sel:DWORD dst_unused:UNUSED_PAD src0_sel:WORD_0 src1_sel:DWORD
	v_min_u16 v15, v9, v11
	v_max_u16 v9, v9, v11
	v_cndmask_b32_e32 v3, v3, v18, vcc_lo
	v_cmp_lt_u16_e32 vcc_lo, v13, v12
	v_lshlrev_b16 v11, 8, v4
	v_lshlrev_b16 v6, 8, v15
	v_min_u16 v18, v16, v17
	v_and_b32_e32 v10, 0xffffff00, v3
	v_cndmask_b32_e32 v2, v2, v14, vcc_lo
	v_cmp_lt_u16_e32 vcc_lo, v15, v5
	v_or_b32_e32 v11, v20, v11
	v_max_u16 v12, v13, v12
	v_or_b32_e32 v10, v5, v10
	v_and_b32_sdwa v14, v2, v7 dst_sel:DWORD dst_unused:UNUSED_PAD src0_sel:WORD_1 src1_sel:DWORD
	v_max_u16 v21, v15, v5
	v_min_u16 v5, v15, v5
	v_max_u16 v19, v18, v9
	v_and_b32_e32 v10, 0xffff, v10
	v_or_b32_sdwa v6, v14, v6 dst_sel:WORD_1 dst_unused:UNUSED_PAD src0_sel:DWORD src1_sel:DWORD
	v_lshlrev_b16 v14, 8, v18
	v_lshlrev_b16 v22, 8, v21
	v_cmp_lt_u16_e64 s0, v18, v9
	v_and_or_b32 v10, 0xffff0000, v3, v10
	v_and_or_b32 v6, 0xffff, v2, v6
	v_cndmask_b32_e32 v3, v3, v10, vcc_lo
	v_cndmask_b32_e32 v2, v2, v6, vcc_lo
	v_and_b32_e32 v10, 0xffff, v11
	v_lshlrev_b16 v6, 8, v12
	v_min_u16 v11, v18, v9
	v_and_b32_sdwa v15, v3, v8 dst_sel:DWORD dst_unused:UNUSED_PAD src0_sel:WORD_1 src1_sel:DWORD
	v_or_b32_sdwa v14, v3, v14 dst_sel:DWORD dst_unused:UNUSED_PAD src0_sel:BYTE_0 src1_sel:DWORD
	v_and_or_b32 v10, 0xffff0000, v2, v10
	v_cmp_lt_u16_e32 vcc_lo, v13, v4
	v_or_b32_sdwa v6, v5, v6 dst_sel:WORD_1 dst_unused:UNUSED_PAD src0_sel:DWORD src1_sel:DWORD
	v_or_b32_sdwa v15, v9, v15 dst_sel:WORD_1 dst_unused:UNUSED_PAD src0_sel:DWORD src1_sel:DWORD
	v_or_b32_e32 v22, v11, v22
	v_cndmask_b32_e32 v2, v2, v10, vcc_lo
	v_max_u16 v10, v16, v17
	v_or_b32_sdwa v13, v14, v15 dst_sel:DWORD dst_unused:UNUSED_PAD src0_sel:WORD_0 src1_sel:DWORD
	v_lshlrev_b16 v14, 8, v19
	v_and_b32_e32 v15, 0xffff, v22
	v_and_or_b32 v6, 0xffff, v2, v6
	v_cndmask_b32_e32 v16, v20, v4, vcc_lo
	v_cndmask_b32_e64 v3, v3, v13, s0
	v_cmp_lt_u16_e64 s0, v5, v12
	v_min_u16 v13, v5, v12
	v_max_u16 v5, v5, v12
	v_cndmask_b32_e32 v4, v4, v20, vcc_lo
	v_cndmask_b32_e64 v2, v2, v6, s0
	v_or_b32_sdwa v6, v10, v14 dst_sel:WORD_1 dst_unused:UNUSED_PAD src0_sel:DWORD src1_sel:DWORD
	v_and_or_b32 v14, 0xffff0000, v3, v15
	v_cmp_lt_u16_e64 s0, v11, v21
	v_lshlrev_b16 v15, 8, v13
	v_and_b32_sdwa v17, v2, v8 dst_sel:DWORD dst_unused:UNUSED_PAD src0_sel:WORD_1 src1_sel:DWORD
	v_cmp_lt_u16_e64 s1, v13, v16
	v_min_u16 v18, v13, v16
	v_cndmask_b32_e64 v3, v3, v14, s0
	v_cmp_gt_u16_e64 s0, v9, v10
	v_or_b32_sdwa v14, v2, v15 dst_sel:DWORD dst_unused:UNUSED_PAD src0_sel:BYTE_0 src1_sel:DWORD
	v_or_b32_sdwa v15, v16, v17 dst_sel:WORD_1 dst_unused:UNUSED_PAD src0_sel:DWORD src1_sel:DWORD
	v_lshlrev_b16 v20, 8, v4
	v_and_or_b32 v6, 0xffff, v3, v6
	v_or_b32_sdwa v14, v14, v15 dst_sel:DWORD dst_unused:UNUSED_PAD src0_sel:WORD_0 src1_sel:DWORD
	v_cndmask_b32_e64 v3, v3, v6, s0
	v_min_u16 v6, v11, v21
	v_max_u16 v11, v11, v21
	v_cndmask_b32_e64 v2, v2, v14, s1
	s_mov_b32 s1, exec_lo
	v_and_b32_e32 v9, 0xffffff00, v3
	v_lshlrev_b16 v12, 8, v6
	v_max_u16 v15, v6, v5
	v_and_b32_sdwa v14, v2, v7 dst_sel:DWORD dst_unused:UNUSED_PAD src0_sel:WORD_1 src1_sel:DWORD
	v_min_u16 v17, v6, v5
	v_or_b32_e32 v9, v5, v9
	v_cmp_lt_u16_e32 vcc_lo, v6, v5
	v_max_u16 v6, v13, v16
	v_or_b32_sdwa v12, v14, v12 dst_sel:WORD_1 dst_unused:UNUSED_PAD src0_sel:DWORD src1_sel:DWORD
	v_cndmask_b32_e64 v13, v19, v10, s0
	v_and_b32_e32 v9, 0xffff, v9
	v_lshlrev_b16 v14, 8, v15
	v_and_or_b32 v12, 0xffff, v2, v12
	v_lshlrev_b16 v16, 8, v13
	v_and_or_b32 v5, 0xffff0000, v3, v9
	v_or_b32_e32 v9, v18, v20
	v_min_u16 v21, v13, v11
	v_cndmask_b32_e32 v2, v2, v12, vcc_lo
	v_min_u16 v12, v17, v6
	v_cndmask_b32_e32 v3, v3, v5, vcc_lo
	v_and_b32_e32 v9, 0xffff, v9
	v_lshlrev_b16 v5, 8, v6
	v_cmp_lt_u16_e32 vcc_lo, v18, v4
	v_or_b32_e32 v14, v21, v14
	v_and_b32_sdwa v20, v3, v8 dst_sel:DWORD dst_unused:UNUSED_PAD src0_sel:WORD_1 src1_sel:DWORD
	v_and_or_b32 v9, 0xffff0000, v2, v9
	v_or_b32_sdwa v16, v3, v16 dst_sel:DWORD dst_unused:UNUSED_PAD src0_sel:BYTE_0 src1_sel:DWORD
	v_or_b32_sdwa v5, v17, v5 dst_sel:WORD_1 dst_unused:UNUSED_PAD src0_sel:DWORD src1_sel:DWORD
	v_and_b32_e32 v14, 0xffff, v14
	v_or_b32_sdwa v20, v11, v20 dst_sel:WORD_1 dst_unused:UNUSED_PAD src0_sel:DWORD src1_sel:DWORD
	v_cndmask_b32_e32 v2, v2, v9, vcc_lo
	v_cndmask_b32_e64 v9, v10, v19, s0
	v_cmp_lt_u16_e32 vcc_lo, v13, v11
	v_or_b32_sdwa v10, v16, v20 dst_sel:DWORD dst_unused:UNUSED_PAD src0_sel:WORD_0 src1_sel:DWORD
	v_max_u16 v16, v13, v11
	v_and_or_b32 v5, 0xffff, v2, v5
	v_lshlrev_b16 v13, 8, v12
	v_cndmask_b32_e32 v3, v3, v10, vcc_lo
	v_cmp_lt_u16_e32 vcc_lo, v17, v6
	v_lshlrev_b16 v10, 8, v16
	v_max_u16 v6, v17, v6
	v_min_u16 v19, v9, v16
	v_and_or_b32 v11, 0xffff0000, v3, v14
	v_cndmask_b32_e32 v2, v2, v5, vcc_lo
	v_cmp_lt_u16_e32 vcc_lo, v21, v15
	v_or_b32_sdwa v10, v9, v10 dst_sel:WORD_1 dst_unused:UNUSED_PAD src0_sel:DWORD src1_sel:DWORD
	v_max_u16 v5, v18, v4
	v_min_u16 v4, v18, v4
	v_and_b32_sdwa v14, v2, v8 dst_sel:DWORD dst_unused:UNUSED_PAD src0_sel:WORD_1 src1_sel:DWORD
	v_cndmask_b32_e32 v3, v3, v11, vcc_lo
	v_cmp_lt_u16_e32 vcc_lo, v9, v16
	v_or_b32_sdwa v11, v2, v13 dst_sel:DWORD dst_unused:UNUSED_PAD src0_sel:BYTE_0 src1_sel:DWORD
	v_max_u16 v9, v9, v16
	v_or_b32_sdwa v13, v5, v14 dst_sel:WORD_1 dst_unused:UNUSED_PAD src0_sel:DWORD src1_sel:DWORD
	v_and_or_b32 v10, 0xffff, v3, v10
	v_lshlrev_b16 v14, 8, v4
	v_or_b32_sdwa v11, v11, v13 dst_sel:DWORD dst_unused:UNUSED_PAD src0_sel:WORD_0 src1_sel:DWORD
	v_cndmask_b32_e32 v3, v3, v10, vcc_lo
	v_cmp_lt_u16_e32 vcc_lo, v12, v5
	v_min_u16 v10, v21, v15
	v_max_u16 v15, v21, v15
	v_and_b32_e32 v13, 0xffffff00, v3
	v_cndmask_b32_e32 v2, v2, v11, vcc_lo
	v_lshlrev_b16 v17, 8, v10
	v_cmp_lt_u16_e32 vcc_lo, v10, v6
	v_min_u16 v11, v12, v5
	v_or_b32_e32 v13, v6, v13
	v_and_b32_sdwa v18, v2, v7 dst_sel:DWORD dst_unused:UNUSED_PAD src0_sel:WORD_1 src1_sel:DWORD
	v_max_u16 v20, v10, v6
	v_min_u16 v6, v10, v6
	v_or_b32_e32 v14, v11, v14
	v_and_b32_e32 v13, 0xffff, v13
	v_or_b32_sdwa v17, v18, v17 dst_sel:WORD_1 dst_unused:UNUSED_PAD src0_sel:DWORD src1_sel:DWORD
	v_lshlrev_b16 v10, 8, v19
	v_max_u16 v5, v12, v5
	v_and_b32_e32 v14, 0xffff, v14
	v_and_or_b32 v13, 0xffff0000, v3, v13
	v_and_or_b32 v17, 0xffff, v2, v17
	v_lshlrev_b16 v22, 8, v20
	v_lshlrev_b16 v18, 8, v5
	v_cmp_lt_u16_e64 s0, v19, v15
	v_cndmask_b32_e32 v3, v3, v13, vcc_lo
	v_cndmask_b32_e32 v2, v2, v17, vcc_lo
	v_min_u16 v17, v19, v15
	v_cmp_lt_u16_e32 vcc_lo, v12, v4
	v_max_u16 v13, v19, v15
	v_and_b32_sdwa v21, v3, v8 dst_sel:DWORD dst_unused:UNUSED_PAD src0_sel:WORD_1 src1_sel:DWORD
	v_or_b32_sdwa v10, v3, v10 dst_sel:DWORD dst_unused:UNUSED_PAD src0_sel:BYTE_0 src1_sel:DWORD
	v_and_or_b32 v14, 0xffff0000, v2, v14
	v_or_b32_e32 v22, v17, v22
	v_or_b32_sdwa v18, v6, v18 dst_sel:WORD_1 dst_unused:UNUSED_PAD src0_sel:DWORD src1_sel:DWORD
	v_or_b32_sdwa v21, v15, v21 dst_sel:WORD_1 dst_unused:UNUSED_PAD src0_sel:DWORD src1_sel:DWORD
	v_lshlrev_b16 v12, 8, v13
	v_cndmask_b32_e32 v2, v2, v14, vcc_lo
	v_and_b32_e32 v14, 0xffff, v22
	v_cndmask_b32_e32 v4, v11, v4, vcc_lo
	v_or_b32_sdwa v10, v10, v21 dst_sel:DWORD dst_unused:UNUSED_PAD src0_sel:WORD_0 src1_sel:DWORD
	v_cmp_lt_u16_e32 vcc_lo, v17, v20
	v_and_or_b32 v16, 0xffff, v2, v18
	v_or_b32_sdwa v12, v9, v12 dst_sel:WORD_1 dst_unused:UNUSED_PAD src0_sel:DWORD src1_sel:DWORD
	v_cndmask_b32_e64 v3, v3, v10, s0
	v_cmp_lt_u16_e64 s0, v6, v5
	v_min_u16 v10, v6, v5
	v_and_or_b32 v14, 0xffff0000, v3, v14
	v_cndmask_b32_e64 v2, v2, v16, s0
	v_lshlrev_b16 v16, 8, v10
	v_cmp_lt_u16_e64 s0, v10, v4
	v_cndmask_b32_e32 v3, v3, v14, vcc_lo
	v_and_b32_sdwa v11, v2, v8 dst_sel:DWORD dst_unused:UNUSED_PAD src0_sel:WORD_1 src1_sel:DWORD
	v_cmp_gt_u16_e32 vcc_lo, v15, v9
	v_or_b32_sdwa v14, v2, v16 dst_sel:DWORD dst_unused:UNUSED_PAD src0_sel:BYTE_0 src1_sel:DWORD
	v_and_or_b32 v12, 0xffff, v3, v12
	v_or_b32_sdwa v11, v4, v11 dst_sel:WORD_1 dst_unused:UNUSED_PAD src0_sel:DWORD src1_sel:DWORD
	v_max_u16 v4, v6, v5
	v_cndmask_b32_e32 v3, v3, v12, vcc_lo
	v_or_b32_sdwa v11, v14, v11 dst_sel:DWORD dst_unused:UNUSED_PAD src0_sel:WORD_0 src1_sel:DWORD
	v_min_u16 v12, v17, v20
	v_and_b32_e32 v5, 0xffffff00, v3
	v_cndmask_b32_e64 v2, v2, v11, s0
	v_lshlrev_b16 v6, 8, v12
	v_cmp_lt_u16_e64 s0, v12, v4
	v_cndmask_b32_e32 v11, v13, v9, vcc_lo
	v_or_b32_e32 v5, v4, v5
	v_and_b32_sdwa v7, v2, v7 dst_sel:DWORD dst_unused:UNUSED_PAD src0_sel:WORD_1 src1_sel:DWORD
	v_max_u16 v13, v17, v20
	v_mov_b32_e32 v9, 0
	v_and_b32_e32 v5, 0xffff, v5
	v_or_b32_sdwa v6, v7, v6 dst_sel:WORD_1 dst_unused:UNUSED_PAD src0_sel:DWORD src1_sel:DWORD
	v_mbcnt_lo_u32_b32 v7, -1, 0
	v_cmp_lt_u16_e32 vcc_lo, v11, v13
	v_and_or_b32 v4, 0xffff0000, v3, v5
	v_and_or_b32 v6, 0xffff, v2, v6
	v_lshlrev_b32_e32 v5, 3, v7
	v_cndmask_b32_e64 v12, v3, v4, s0
	v_cndmask_b32_e64 v10, v2, v6, s0
	v_and_b32_e32 v7, 16, v5
	v_lshlrev_b16 v2, 8, v11
	s_mov_b32 s0, 0
	v_and_b32_sdwa v3, v12, v8 dst_sel:DWORD dst_unused:UNUSED_PAD src0_sel:WORD_1 src1_sel:DWORD
	v_and_b32_e32 v8, 8, v5
	v_or_b32_e32 v4, 8, v7
	v_or_b32_sdwa v6, v12, v2 dst_sel:DWORD dst_unused:UNUSED_PAD src0_sel:BYTE_0 src1_sel:DWORD
	v_and_b32_e32 v2, 24, v5
	v_or_b32_sdwa v3, v13, v3 dst_sel:WORD_1 dst_unused:UNUSED_PAD src0_sel:DWORD src1_sel:DWORD
	v_mov_b32_e32 v5, 0
	v_sub_nc_u32_e32 v14, v4, v7
	v_or_b32_sdwa v15, v6, v3 dst_sel:DWORD dst_unused:UNUSED_PAD src0_sel:WORD_0 src1_sel:DWORD
	v_mad_u32_u24 v3, v0, 33, v2
	v_min_i32_e32 v6, v8, v14
	v_mul_u32_u24_e32 v0, 33, v0
	v_cndmask_b32_e32 v11, v12, v15, vcc_lo
	ds_write_b64 v3, v[10:11]
	; wave barrier
	v_cmpx_lt_i32_e32 0, v6
	s_cbranch_execz .LBB104_4
; %bb.1:
	v_add_nc_u32_e32 v9, v0, v7
	v_add_nc_u32_e32 v10, v9, v8
	.p2align	6
.LBB104_2:                              ; =>This Inner Loop Header: Depth=1
	v_sub_nc_u32_e32 v11, v6, v5
	v_lshrrev_b32_e32 v11, 1, v11
	v_add_nc_u32_e32 v11, v11, v5
	v_add_nc_u32_e32 v12, v9, v11
	v_xad_u32 v13, v11, -1, v10
	v_add_nc_u32_e32 v14, 1, v11
	ds_read_u8 v12, v12
	ds_read_u8 v13, v13 offset:8
	s_waitcnt lgkmcnt(0)
	v_cmp_lt_u16_e32 vcc_lo, v13, v12
	v_cndmask_b32_e32 v6, v6, v11, vcc_lo
	v_cndmask_b32_e32 v5, v14, v5, vcc_lo
	v_cmp_ge_i32_e32 vcc_lo, v5, v6
	s_or_b32 s0, vcc_lo, s0
	s_andn2_b32 exec_lo, exec_lo, s0
	s_cbranch_execnz .LBB104_2
; %bb.3:
	s_or_b32 exec_lo, exec_lo, s0
	v_mov_b32_e32 v9, v5
.LBB104_4:
	s_or_b32 exec_lo, exec_lo, s1
	v_add_nc_u32_e32 v5, v7, v8
	v_add_nc_u32_e32 v10, v9, v7
	;; [unrolled: 1-line block ×4, first 2 shown]
	v_cmp_lt_i32_e32 vcc_lo, 7, v9
	v_sub_nc_u32_e32 v5, v5, v9
	v_add_nc_u32_e32 v13, v0, v10
	v_sub_nc_u32_e32 v11, v8, v9
                                        ; implicit-def: $vgpr8
	v_add_nc_u32_e32 v12, v0, v5
	ds_read_u8 v5, v13
	ds_read_u8 v6, v12 offset:8
	v_cmp_gt_i32_e64 s0, v7, v11
	s_waitcnt lgkmcnt(0)
	v_cmp_lt_u16_sdwa s1, v6, v5 src0_sel:BYTE_0 src1_sel:BYTE_0
	s_or_b32 s1, vcc_lo, s1
	s_and_b32 s0, s0, s1
	s_xor_b32 s1, s0, -1
	s_and_saveexec_b32 s2, s1
	s_xor_b32 s1, exec_lo, s2
; %bb.5:
	ds_read_u8 v8, v13 offset:1
                                        ; implicit-def: $vgpr12
; %bb.6:
	s_or_saveexec_b32 s1, s1
	v_mov_b32_e32 v9, v6
	s_xor_b32 exec_lo, exec_lo, s1
	s_cbranch_execz .LBB104_8
; %bb.7:
	ds_read_u8 v9, v12 offset:9
	s_waitcnt lgkmcnt(1)
	v_mov_b32_e32 v8, v5
.LBB104_8:
	s_or_b32 exec_lo, exec_lo, s1
	v_add_nc_u32_e32 v12, 1, v10
	v_add_nc_u32_e32 v14, 1, v11
	s_waitcnt lgkmcnt(0)
	v_cmp_lt_u16_sdwa s2, v9, v8 src0_sel:BYTE_0 src1_sel:BYTE_0
	v_cndmask_b32_e64 v13, v12, v10, s0
	v_cndmask_b32_e64 v12, v11, v14, s0
                                        ; implicit-def: $vgpr10
	v_cmp_ge_i32_e32 vcc_lo, v13, v4
	v_cmp_lt_i32_e64 s1, v12, v7
	s_or_b32 s2, vcc_lo, s2
	s_and_b32 s1, s1, s2
	s_xor_b32 s2, s1, -1
	s_and_saveexec_b32 s3, s2
	s_xor_b32 s2, exec_lo, s3
; %bb.9:
	v_add_nc_u32_e32 v10, v0, v13
	ds_read_u8 v10, v10 offset:1
; %bb.10:
	s_or_saveexec_b32 s2, s2
	v_mov_b32_e32 v11, v9
	s_xor_b32 exec_lo, exec_lo, s2
	s_cbranch_execz .LBB104_12
; %bb.11:
	s_waitcnt lgkmcnt(0)
	v_add_nc_u32_e32 v10, v0, v12
	ds_read_u8 v11, v10 offset:1
	v_mov_b32_e32 v10, v8
.LBB104_12:
	s_or_b32 exec_lo, exec_lo, s2
	v_add_nc_u32_e32 v14, 1, v13
	v_add_nc_u32_e32 v16, 1, v12
	s_waitcnt lgkmcnt(0)
	v_cmp_lt_u16_sdwa s3, v11, v10 src0_sel:BYTE_0 src1_sel:BYTE_0
	v_cndmask_b32_e64 v15, v14, v13, s1
	v_cndmask_b32_e64 v14, v12, v16, s1
                                        ; implicit-def: $vgpr12
	v_cmp_ge_i32_e32 vcc_lo, v15, v4
	v_cmp_lt_i32_e64 s2, v14, v7
	s_or_b32 s3, vcc_lo, s3
	s_and_b32 s2, s2, s3
	s_xor_b32 s3, s2, -1
	s_and_saveexec_b32 s4, s3
	s_xor_b32 s3, exec_lo, s4
; %bb.13:
	v_add_nc_u32_e32 v12, v0, v15
	ds_read_u8 v12, v12 offset:1
; %bb.14:
	s_or_saveexec_b32 s3, s3
	v_mov_b32_e32 v13, v11
	s_xor_b32 exec_lo, exec_lo, s3
	s_cbranch_execz .LBB104_16
; %bb.15:
	s_waitcnt lgkmcnt(0)
	v_add_nc_u32_e32 v12, v0, v14
	ds_read_u8 v13, v12 offset:1
	v_mov_b32_e32 v12, v10
.LBB104_16:
	s_or_b32 exec_lo, exec_lo, s3
	v_add_nc_u32_e32 v16, 1, v15
	v_add_nc_u32_e32 v18, 1, v14
	s_waitcnt lgkmcnt(0)
	v_cmp_lt_u16_sdwa s4, v13, v12 src0_sel:BYTE_0 src1_sel:BYTE_0
	v_cndmask_b32_e64 v17, v16, v15, s2
	v_cndmask_b32_e64 v16, v14, v18, s2
                                        ; implicit-def: $vgpr14
	v_cmp_ge_i32_e32 vcc_lo, v17, v4
	v_cmp_lt_i32_e64 s3, v16, v7
	s_or_b32 s4, vcc_lo, s4
	s_and_b32 s3, s3, s4
	s_xor_b32 s4, s3, -1
	s_and_saveexec_b32 s5, s4
	s_xor_b32 s4, exec_lo, s5
; %bb.17:
	v_add_nc_u32_e32 v14, v0, v17
	ds_read_u8 v14, v14 offset:1
; %bb.18:
	s_or_saveexec_b32 s4, s4
	v_mov_b32_e32 v15, v13
	s_xor_b32 exec_lo, exec_lo, s4
	s_cbranch_execz .LBB104_20
; %bb.19:
	s_waitcnt lgkmcnt(0)
	v_add_nc_u32_e32 v14, v0, v16
	ds_read_u8 v15, v14 offset:1
	v_mov_b32_e32 v14, v12
.LBB104_20:
	s_or_b32 exec_lo, exec_lo, s4
	v_add_nc_u32_e32 v18, 1, v17
	v_add_nc_u32_e32 v20, 1, v16
	s_waitcnt lgkmcnt(0)
	v_cmp_lt_u16_sdwa s5, v15, v14 src0_sel:BYTE_0 src1_sel:BYTE_0
	v_cndmask_b32_e64 v19, v18, v17, s3
	v_cndmask_b32_e64 v18, v16, v20, s3
                                        ; implicit-def: $vgpr16
	v_cmp_ge_i32_e32 vcc_lo, v19, v4
	v_cmp_lt_i32_e64 s4, v18, v7
	s_or_b32 s5, vcc_lo, s5
	s_and_b32 s4, s4, s5
	s_xor_b32 s5, s4, -1
	s_and_saveexec_b32 s6, s5
	s_xor_b32 s5, exec_lo, s6
; %bb.21:
	v_add_nc_u32_e32 v16, v0, v19
	ds_read_u8 v16, v16 offset:1
; %bb.22:
	s_or_saveexec_b32 s5, s5
	v_mov_b32_e32 v17, v15
	s_xor_b32 exec_lo, exec_lo, s5
	s_cbranch_execz .LBB104_24
; %bb.23:
	s_waitcnt lgkmcnt(0)
	v_add_nc_u32_e32 v16, v0, v18
	ds_read_u8 v17, v16 offset:1
	v_mov_b32_e32 v16, v14
.LBB104_24:
	s_or_b32 exec_lo, exec_lo, s5
	v_add_nc_u32_e32 v20, 1, v19
	v_add_nc_u32_e32 v22, 1, v18
	s_waitcnt lgkmcnt(0)
	v_cmp_lt_u16_sdwa s6, v17, v16 src0_sel:BYTE_0 src1_sel:BYTE_0
	v_cndmask_b32_e64 v21, v20, v19, s4
	v_cndmask_b32_e64 v20, v18, v22, s4
                                        ; implicit-def: $vgpr18
	v_cmp_ge_i32_e32 vcc_lo, v21, v4
	v_cmp_lt_i32_e64 s5, v20, v7
	s_or_b32 s6, vcc_lo, s6
	s_and_b32 vcc_lo, s5, s6
	s_xor_b32 s5, vcc_lo, -1
	s_and_saveexec_b32 s6, s5
	s_xor_b32 s5, exec_lo, s6
; %bb.25:
	v_add_nc_u32_e32 v18, v0, v21
	ds_read_u8 v18, v18 offset:1
; %bb.26:
	s_or_saveexec_b32 s5, s5
	v_mov_b32_e32 v19, v17
	s_xor_b32 exec_lo, exec_lo, s5
	s_cbranch_execz .LBB104_28
; %bb.27:
	s_waitcnt lgkmcnt(0)
	v_add_nc_u32_e32 v18, v0, v20
	ds_read_u8 v19, v18 offset:1
	v_mov_b32_e32 v18, v16
.LBB104_28:
	s_or_b32 exec_lo, exec_lo, s5
	v_add_nc_u32_e32 v22, 1, v21
	v_add_nc_u32_e32 v23, 1, v20
	s_waitcnt lgkmcnt(0)
	v_cmp_lt_u16_sdwa s8, v19, v18 src0_sel:BYTE_0 src1_sel:BYTE_0
	v_cndmask_b32_e32 v22, v22, v21, vcc_lo
	v_cndmask_b32_e32 v21, v20, v23, vcc_lo
                                        ; implicit-def: $vgpr20
	v_cmp_ge_i32_e64 s5, v22, v4
	v_cmp_lt_i32_e64 s6, v21, v7
	s_or_b32 s5, s5, s8
	s_and_b32 s5, s6, s5
	s_xor_b32 s6, s5, -1
	s_and_saveexec_b32 s8, s6
	s_xor_b32 s6, exec_lo, s8
; %bb.29:
	v_add_nc_u32_e32 v20, v0, v22
	ds_read_u8 v20, v20 offset:1
; %bb.30:
	s_or_saveexec_b32 s6, s6
	v_mov_b32_e32 v23, v19
	s_xor_b32 exec_lo, exec_lo, s6
	s_cbranch_execz .LBB104_32
; %bb.31:
	s_waitcnt lgkmcnt(0)
	v_add_nc_u32_e32 v20, v0, v21
	ds_read_u8 v23, v20 offset:1
	v_mov_b32_e32 v20, v18
.LBB104_32:
	s_or_b32 exec_lo, exec_lo, s6
	v_add_nc_u32_e32 v24, 1, v22
	v_add_nc_u32_e32 v25, 1, v21
	v_cndmask_b32_e64 v18, v18, v19, s5
	v_cndmask_b32_e64 v14, v14, v15, s4
	;; [unrolled: 1-line block ×5, first 2 shown]
	s_waitcnt lgkmcnt(0)
	v_cmp_lt_u16_sdwa s5, v23, v20 src0_sel:BYTE_0 src1_sel:BYTE_0
	v_cndmask_b32_sdwa v6, v16, v17, vcc_lo dst_sel:BYTE_1 dst_unused:UNUSED_PAD src0_sel:DWORD src1_sel:DWORD
	v_cmp_ge_i32_e64 s4, v22, v4
	v_cndmask_b32_e64 v4, v10, v11, s2
	v_cmp_lt_i32_e64 s2, v19, v7
	v_cndmask_b32_e64 v7, v8, v9, s1
	v_or_b32_sdwa v10, v14, v6 dst_sel:DWORD dst_unused:UNUSED_PAD src0_sel:BYTE_0 src1_sel:DWORD
	s_or_b32 s0, s4, s5
	v_sub_nc_u32_e64 v6, v2, 16 clamp
	s_and_b32 vcc_lo, s2, s0
	v_lshlrev_b16 v7, 8, v7
	v_cndmask_b32_e32 v8, v20, v23, vcc_lo
	s_mov_b32 vcc_lo, s3
	s_mov_b32 s0, exec_lo
	v_cndmask_b32_sdwa v9, v12, v13, vcc_lo dst_sel:BYTE_1 dst_unused:UNUSED_PAD src0_sel:DWORD src1_sel:DWORD
	v_or_b32_sdwa v5, v5, v7 dst_sel:DWORD dst_unused:UNUSED_PAD src0_sel:BYTE_0 src1_sel:DWORD
	v_lshlrev_b16 v8, 8, v8
	; wave barrier
	v_or_b32_sdwa v9, v4, v9 dst_sel:WORD_1 dst_unused:UNUSED_PAD src0_sel:BYTE_0 src1_sel:DWORD
	v_min_u32_e32 v4, 16, v2
	v_or_b32_sdwa v8, v18, v8 dst_sel:WORD_1 dst_unused:UNUSED_PAD src0_sel:BYTE_0 src1_sel:DWORD
	v_or_b32_sdwa v7, v5, v9 dst_sel:DWORD dst_unused:UNUSED_PAD src0_sel:WORD_0 src1_sel:DWORD
	v_or_b32_sdwa v8, v10, v8 dst_sel:DWORD dst_unused:UNUSED_PAD src0_sel:WORD_0 src1_sel:DWORD
	ds_write_b64 v3, v[7:8]
	; wave barrier
	v_cmpx_lt_u32_e64 v6, v4
	s_cbranch_execz .LBB104_36
; %bb.33:
	s_mov_b32 s1, 0
	.p2align	6
.LBB104_34:                             ; =>This Inner Loop Header: Depth=1
	v_sub_nc_u32_e32 v5, v4, v6
	v_lshrrev_b32_e32 v5, 1, v5
	v_add_nc_u32_e32 v5, v5, v6
	v_add_nc_u32_e32 v7, v0, v5
	v_xad_u32 v8, v5, -1, v3
	v_add_nc_u32_e32 v9, 1, v5
	ds_read_u8 v7, v7
	ds_read_u8 v8, v8 offset:16
	s_waitcnt lgkmcnt(0)
	v_cmp_lt_u16_e32 vcc_lo, v8, v7
	v_cndmask_b32_e32 v4, v4, v5, vcc_lo
	v_cndmask_b32_e32 v6, v9, v6, vcc_lo
	v_cmp_ge_i32_e32 vcc_lo, v6, v4
	s_or_b32 s1, vcc_lo, s1
	s_andn2_b32 exec_lo, exec_lo, s1
	s_cbranch_execnz .LBB104_34
; %bb.35:
	s_or_b32 exec_lo, exec_lo, s1
.LBB104_36:
	s_or_b32 exec_lo, exec_lo, s0
	v_sub_nc_u32_e32 v4, v2, v6
	v_add_nc_u32_e32 v5, v0, v6
	v_cmp_lt_i32_e32 vcc_lo, 15, v6
	v_add_nc_u32_e32 v8, v0, v4
	v_add_nc_u32_e32 v7, 16, v4
                                        ; implicit-def: $vgpr4
	ds_read_u8 v2, v5
	ds_read_u8 v3, v8 offset:16
	v_cmp_gt_i32_e64 s0, 32, v7
	s_waitcnt lgkmcnt(0)
	v_cmp_lt_u16_sdwa s1, v3, v2 src0_sel:BYTE_0 src1_sel:BYTE_0
	s_or_b32 s1, vcc_lo, s1
	s_and_b32 s0, s0, s1
	s_xor_b32 s1, s0, -1
	s_and_saveexec_b32 s2, s1
	s_xor_b32 s1, exec_lo, s2
; %bb.37:
	ds_read_u8 v4, v5 offset:1
                                        ; implicit-def: $vgpr8
; %bb.38:
	s_or_saveexec_b32 s1, s1
	v_mov_b32_e32 v5, v3
	s_xor_b32 exec_lo, exec_lo, s1
	s_cbranch_execz .LBB104_40
; %bb.39:
	ds_read_u8 v5, v8 offset:17
	s_waitcnt lgkmcnt(1)
	v_mov_b32_e32 v4, v2
.LBB104_40:
	s_or_b32 exec_lo, exec_lo, s1
	v_add_nc_u32_e32 v8, 1, v6
	v_add_nc_u32_e32 v10, 1, v7
	s_waitcnt lgkmcnt(0)
	v_cmp_lt_u16_sdwa s2, v5, v4 src0_sel:BYTE_0 src1_sel:BYTE_0
	v_cndmask_b32_e64 v9, v8, v6, s0
	v_cndmask_b32_e64 v8, v7, v10, s0
                                        ; implicit-def: $vgpr6
	v_cmp_lt_i32_e32 vcc_lo, 15, v9
	v_cmp_gt_i32_e64 s1, 32, v8
	s_or_b32 s2, vcc_lo, s2
	s_and_b32 s1, s1, s2
	s_xor_b32 s2, s1, -1
	s_and_saveexec_b32 s3, s2
	s_xor_b32 s2, exec_lo, s3
; %bb.41:
	v_add_nc_u32_e32 v6, v0, v9
	ds_read_u8 v6, v6 offset:1
; %bb.42:
	s_or_saveexec_b32 s2, s2
	v_mov_b32_e32 v7, v5
	s_xor_b32 exec_lo, exec_lo, s2
	s_cbranch_execz .LBB104_44
; %bb.43:
	s_waitcnt lgkmcnt(0)
	v_add_nc_u32_e32 v6, v0, v8
	ds_read_u8 v7, v6 offset:1
	v_mov_b32_e32 v6, v4
.LBB104_44:
	s_or_b32 exec_lo, exec_lo, s2
	v_add_nc_u32_e32 v10, 1, v9
	v_add_nc_u32_e32 v12, 1, v8
	s_waitcnt lgkmcnt(0)
	v_cmp_lt_u16_sdwa s3, v7, v6 src0_sel:BYTE_0 src1_sel:BYTE_0
	v_cndmask_b32_e64 v11, v10, v9, s1
	v_cndmask_b32_e64 v10, v8, v12, s1
                                        ; implicit-def: $vgpr8
	v_cmp_lt_i32_e32 vcc_lo, 15, v11
	v_cmp_gt_i32_e64 s2, 32, v10
	s_or_b32 s3, vcc_lo, s3
	s_and_b32 s2, s2, s3
	s_xor_b32 s3, s2, -1
	s_and_saveexec_b32 s4, s3
	s_xor_b32 s3, exec_lo, s4
; %bb.45:
	v_add_nc_u32_e32 v8, v0, v11
	ds_read_u8 v8, v8 offset:1
; %bb.46:
	s_or_saveexec_b32 s3, s3
	v_mov_b32_e32 v9, v7
	s_xor_b32 exec_lo, exec_lo, s3
	s_cbranch_execz .LBB104_48
; %bb.47:
	s_waitcnt lgkmcnt(0)
	v_add_nc_u32_e32 v8, v0, v10
	ds_read_u8 v9, v8 offset:1
	v_mov_b32_e32 v8, v6
.LBB104_48:
	s_or_b32 exec_lo, exec_lo, s3
	v_add_nc_u32_e32 v12, 1, v11
	v_add_nc_u32_e32 v14, 1, v10
	s_waitcnt lgkmcnt(0)
	v_cmp_lt_u16_sdwa s4, v9, v8 src0_sel:BYTE_0 src1_sel:BYTE_0
	v_cndmask_b32_e64 v13, v12, v11, s2
	v_cndmask_b32_e64 v12, v10, v14, s2
                                        ; implicit-def: $vgpr10
	v_cmp_lt_i32_e32 vcc_lo, 15, v13
	v_cmp_gt_i32_e64 s3, 32, v12
	s_or_b32 s4, vcc_lo, s4
	s_and_b32 s3, s3, s4
	s_xor_b32 s4, s3, -1
	s_and_saveexec_b32 s5, s4
	s_xor_b32 s4, exec_lo, s5
; %bb.49:
	v_add_nc_u32_e32 v10, v0, v13
	ds_read_u8 v10, v10 offset:1
; %bb.50:
	s_or_saveexec_b32 s4, s4
	v_mov_b32_e32 v11, v9
	s_xor_b32 exec_lo, exec_lo, s4
	s_cbranch_execz .LBB104_52
; %bb.51:
	s_waitcnt lgkmcnt(0)
	v_add_nc_u32_e32 v10, v0, v12
	ds_read_u8 v11, v10 offset:1
	v_mov_b32_e32 v10, v8
.LBB104_52:
	s_or_b32 exec_lo, exec_lo, s4
	v_add_nc_u32_e32 v14, 1, v13
	v_add_nc_u32_e32 v16, 1, v12
	s_waitcnt lgkmcnt(0)
	v_cmp_lt_u16_sdwa s5, v11, v10 src0_sel:BYTE_0 src1_sel:BYTE_0
	v_cndmask_b32_e64 v15, v14, v13, s3
	v_cndmask_b32_e64 v14, v12, v16, s3
                                        ; implicit-def: $vgpr12
	v_cmp_lt_i32_e32 vcc_lo, 15, v15
	v_cmp_gt_i32_e64 s4, 32, v14
	s_or_b32 s5, vcc_lo, s5
	s_and_b32 s4, s4, s5
	s_xor_b32 s5, s4, -1
	s_and_saveexec_b32 s6, s5
	s_xor_b32 s5, exec_lo, s6
; %bb.53:
	v_add_nc_u32_e32 v12, v0, v15
	ds_read_u8 v12, v12 offset:1
; %bb.54:
	s_or_saveexec_b32 s5, s5
	v_mov_b32_e32 v13, v11
	s_xor_b32 exec_lo, exec_lo, s5
	s_cbranch_execz .LBB104_56
; %bb.55:
	s_waitcnt lgkmcnt(0)
	v_add_nc_u32_e32 v12, v0, v14
	ds_read_u8 v13, v12 offset:1
	v_mov_b32_e32 v12, v10
.LBB104_56:
	s_or_b32 exec_lo, exec_lo, s5
	v_add_nc_u32_e32 v16, 1, v15
	v_add_nc_u32_e32 v18, 1, v14
	s_waitcnt lgkmcnt(0)
	v_cmp_lt_u16_sdwa s6, v13, v12 src0_sel:BYTE_0 src1_sel:BYTE_0
	v_cndmask_b32_e64 v17, v16, v15, s4
	v_cndmask_b32_e64 v16, v14, v18, s4
                                        ; implicit-def: $vgpr15
	v_cmp_lt_i32_e32 vcc_lo, 15, v17
	v_cmp_gt_i32_e64 s5, 32, v16
	s_or_b32 s6, vcc_lo, s6
	s_and_b32 vcc_lo, s5, s6
	s_xor_b32 s5, vcc_lo, -1
	s_and_saveexec_b32 s6, s5
	s_xor_b32 s5, exec_lo, s6
; %bb.57:
	v_add_nc_u32_e32 v14, v0, v17
	ds_read_u8 v15, v14 offset:1
; %bb.58:
	s_or_saveexec_b32 s5, s5
	v_mov_b32_e32 v14, v13
	s_xor_b32 exec_lo, exec_lo, s5
	s_cbranch_execz .LBB104_60
; %bb.59:
	v_add_nc_u32_e32 v14, v0, v16
	s_waitcnt lgkmcnt(0)
	v_mov_b32_e32 v15, v12
	ds_read_u8 v14, v14 offset:1
.LBB104_60:
	s_or_b32 exec_lo, exec_lo, s5
	v_add_nc_u32_e32 v18, 1, v17
	v_add_nc_u32_e32 v19, 1, v16
	s_waitcnt lgkmcnt(0)
	v_cmp_ge_u16_sdwa s8, v14, v15 src0_sel:BYTE_0 src1_sel:BYTE_0
	v_cndmask_b32_e32 v20, v18, v17, vcc_lo
	v_cndmask_b32_e32 v16, v16, v19, vcc_lo
                                        ; implicit-def: $vgpr18
                                        ; implicit-def: $vgpr19
	v_cmp_gt_i32_e64 s5, 16, v20
	v_cmp_lt_i32_e64 s6, 31, v16
	s_and_b32 s5, s5, s8
	s_or_b32 s5, s6, s5
	s_and_saveexec_b32 s6, s5
	s_xor_b32 s5, exec_lo, s6
; %bb.61:
	v_add_nc_u32_e32 v0, v0, v20
	v_add_nc_u32_e32 v19, 1, v20
                                        ; implicit-def: $vgpr20
	ds_read_u8 v18, v0 offset:1
                                        ; implicit-def: $vgpr0
; %bb.62:
	s_or_saveexec_b32 s5, s5
	v_mov_b32_e32 v17, v15
	s_xor_b32 exec_lo, exec_lo, s5
	s_cbranch_execz .LBB104_64
; %bb.63:
	v_add_nc_u32_e32 v0, v0, v16
	v_add_nc_u32_e32 v16, 1, v16
	v_mov_b32_e32 v17, v14
	v_mov_b32_e32 v19, v20
	s_waitcnt lgkmcnt(0)
	v_mov_b32_e32 v18, v15
	ds_read_u8 v0, v0 offset:1
	s_waitcnt lgkmcnt(0)
	v_mov_b32_e32 v14, v0
.LBB104_64:
	s_or_b32 exec_lo, exec_lo, s5
	v_cmp_lt_i32_e64 s5, 15, v19
	s_waitcnt lgkmcnt(0)
	v_cmp_lt_u16_sdwa s6, v14, v18 src0_sel:BYTE_0 src1_sel:BYTE_0
	v_cndmask_b32_e64 v10, v10, v11, s4
	v_cmp_gt_i32_e64 s4, 32, v16
	v_cndmask_b32_sdwa v0, v12, v13, vcc_lo dst_sel:BYTE_1 dst_unused:UNUSED_PAD src0_sel:DWORD src1_sel:DWORD
	s_mov_b32 vcc_lo, s3
	s_or_b32 s5, s5, s6
	v_cndmask_b32_sdwa v8, v8, v9, vcc_lo dst_sel:BYTE_1 dst_unused:UNUSED_PAD src0_sel:DWORD src1_sel:DWORD
	s_and_b32 vcc_lo, s4, s5
	v_cndmask_b32_e64 v2, v2, v3, s0
	v_cndmask_b32_e32 v9, v18, v14, vcc_lo
	s_mov_b32 vcc_lo, s1
	v_cndmask_b32_e64 v3, v6, v7, s2
	v_cndmask_b32_sdwa v4, v4, v5, vcc_lo dst_sel:BYTE_1 dst_unused:UNUSED_PAD src0_sel:DWORD src1_sel:DWORD
	s_add_u32 s0, s10, s7
	v_lshlrev_b16 v5, 8, v9
	s_addc_u32 s1, s11, 0
	v_or_b32_sdwa v3, v3, v8 dst_sel:WORD_1 dst_unused:UNUSED_PAD src0_sel:BYTE_0 src1_sel:DWORD
	v_or_b32_sdwa v2, v2, v4 dst_sel:DWORD dst_unused:UNUSED_PAD src0_sel:BYTE_0 src1_sel:DWORD
	v_or_b32_sdwa v4, v10, v0 dst_sel:DWORD dst_unused:UNUSED_PAD src0_sel:BYTE_0 src1_sel:DWORD
	v_or_b32_sdwa v5, v17, v5 dst_sel:WORD_1 dst_unused:UNUSED_PAD src0_sel:BYTE_0 src1_sel:DWORD
	v_add_co_u32 v0, s0, s0, v1
	v_add_co_ci_u32_e64 v1, null, s1, 0, s0
	v_or_b32_sdwa v2, v2, v3 dst_sel:DWORD dst_unused:UNUSED_PAD src0_sel:WORD_0 src1_sel:DWORD
	v_or_b32_sdwa v3, v4, v5 dst_sel:DWORD dst_unused:UNUSED_PAD src0_sel:WORD_0 src1_sel:DWORD
	global_store_dwordx2 v[0:1], v[2:3], off
	s_endpgm
	.section	.rodata,"a",@progbits
	.p2align	6, 0x0
	.amdhsa_kernel _Z9sort_keysILj256ELj4ELj8EhN10test_utils4lessEEvPKT2_PS2_T3_
		.amdhsa_group_segment_fixed_size 2112
		.amdhsa_private_segment_fixed_size 0
		.amdhsa_kernarg_size 20
		.amdhsa_user_sgpr_count 6
		.amdhsa_user_sgpr_private_segment_buffer 1
		.amdhsa_user_sgpr_dispatch_ptr 0
		.amdhsa_user_sgpr_queue_ptr 0
		.amdhsa_user_sgpr_kernarg_segment_ptr 1
		.amdhsa_user_sgpr_dispatch_id 0
		.amdhsa_user_sgpr_flat_scratch_init 0
		.amdhsa_user_sgpr_private_segment_size 0
		.amdhsa_wavefront_size32 1
		.amdhsa_uses_dynamic_stack 0
		.amdhsa_system_sgpr_private_segment_wavefront_offset 0
		.amdhsa_system_sgpr_workgroup_id_x 1
		.amdhsa_system_sgpr_workgroup_id_y 0
		.amdhsa_system_sgpr_workgroup_id_z 0
		.amdhsa_system_sgpr_workgroup_info 0
		.amdhsa_system_vgpr_workitem_id 0
		.amdhsa_next_free_vgpr 26
		.amdhsa_next_free_sgpr 12
		.amdhsa_reserve_vcc 1
		.amdhsa_reserve_flat_scratch 0
		.amdhsa_float_round_mode_32 0
		.amdhsa_float_round_mode_16_64 0
		.amdhsa_float_denorm_mode_32 3
		.amdhsa_float_denorm_mode_16_64 3
		.amdhsa_dx10_clamp 1
		.amdhsa_ieee_mode 1
		.amdhsa_fp16_overflow 0
		.amdhsa_workgroup_processor_mode 1
		.amdhsa_memory_ordered 1
		.amdhsa_forward_progress 1
		.amdhsa_shared_vgpr_count 0
		.amdhsa_exception_fp_ieee_invalid_op 0
		.amdhsa_exception_fp_denorm_src 0
		.amdhsa_exception_fp_ieee_div_zero 0
		.amdhsa_exception_fp_ieee_overflow 0
		.amdhsa_exception_fp_ieee_underflow 0
		.amdhsa_exception_fp_ieee_inexact 0
		.amdhsa_exception_int_div_zero 0
	.end_amdhsa_kernel
	.section	.text._Z9sort_keysILj256ELj4ELj8EhN10test_utils4lessEEvPKT2_PS2_T3_,"axG",@progbits,_Z9sort_keysILj256ELj4ELj8EhN10test_utils4lessEEvPKT2_PS2_T3_,comdat
.Lfunc_end104:
	.size	_Z9sort_keysILj256ELj4ELj8EhN10test_utils4lessEEvPKT2_PS2_T3_, .Lfunc_end104-_Z9sort_keysILj256ELj4ELj8EhN10test_utils4lessEEvPKT2_PS2_T3_
                                        ; -- End function
	.set _Z9sort_keysILj256ELj4ELj8EhN10test_utils4lessEEvPKT2_PS2_T3_.num_vgpr, 26
	.set _Z9sort_keysILj256ELj4ELj8EhN10test_utils4lessEEvPKT2_PS2_T3_.num_agpr, 0
	.set _Z9sort_keysILj256ELj4ELj8EhN10test_utils4lessEEvPKT2_PS2_T3_.numbered_sgpr, 12
	.set _Z9sort_keysILj256ELj4ELj8EhN10test_utils4lessEEvPKT2_PS2_T3_.num_named_barrier, 0
	.set _Z9sort_keysILj256ELj4ELj8EhN10test_utils4lessEEvPKT2_PS2_T3_.private_seg_size, 0
	.set _Z9sort_keysILj256ELj4ELj8EhN10test_utils4lessEEvPKT2_PS2_T3_.uses_vcc, 1
	.set _Z9sort_keysILj256ELj4ELj8EhN10test_utils4lessEEvPKT2_PS2_T3_.uses_flat_scratch, 0
	.set _Z9sort_keysILj256ELj4ELj8EhN10test_utils4lessEEvPKT2_PS2_T3_.has_dyn_sized_stack, 0
	.set _Z9sort_keysILj256ELj4ELj8EhN10test_utils4lessEEvPKT2_PS2_T3_.has_recursion, 0
	.set _Z9sort_keysILj256ELj4ELj8EhN10test_utils4lessEEvPKT2_PS2_T3_.has_indirect_call, 0
	.section	.AMDGPU.csdata,"",@progbits
; Kernel info:
; codeLenInByte = 4328
; TotalNumSgprs: 14
; NumVgprs: 26
; ScratchSize: 0
; MemoryBound: 0
; FloatMode: 240
; IeeeMode: 1
; LDSByteSize: 2112 bytes/workgroup (compile time only)
; SGPRBlocks: 0
; VGPRBlocks: 3
; NumSGPRsForWavesPerEU: 14
; NumVGPRsForWavesPerEU: 26
; Occupancy: 16
; WaveLimiterHint : 0
; COMPUTE_PGM_RSRC2:SCRATCH_EN: 0
; COMPUTE_PGM_RSRC2:USER_SGPR: 6
; COMPUTE_PGM_RSRC2:TRAP_HANDLER: 0
; COMPUTE_PGM_RSRC2:TGID_X_EN: 1
; COMPUTE_PGM_RSRC2:TGID_Y_EN: 0
; COMPUTE_PGM_RSRC2:TGID_Z_EN: 0
; COMPUTE_PGM_RSRC2:TIDIG_COMP_CNT: 0
	.section	.text._Z10sort_pairsILj256ELj4ELj8EhN10test_utils4lessEEvPKT2_PS2_T3_,"axG",@progbits,_Z10sort_pairsILj256ELj4ELj8EhN10test_utils4lessEEvPKT2_PS2_T3_,comdat
	.protected	_Z10sort_pairsILj256ELj4ELj8EhN10test_utils4lessEEvPKT2_PS2_T3_ ; -- Begin function _Z10sort_pairsILj256ELj4ELj8EhN10test_utils4lessEEvPKT2_PS2_T3_
	.globl	_Z10sort_pairsILj256ELj4ELj8EhN10test_utils4lessEEvPKT2_PS2_T3_
	.p2align	8
	.type	_Z10sort_pairsILj256ELj4ELj8EhN10test_utils4lessEEvPKT2_PS2_T3_,@function
_Z10sort_pairsILj256ELj4ELj8EhN10test_utils4lessEEvPKT2_PS2_T3_: ; @_Z10sort_pairsILj256ELj4ELj8EhN10test_utils4lessEEvPKT2_PS2_T3_
; %bb.0:
	s_load_dwordx4 s[36:39], s[4:5], 0x0
	s_lshl_b32 s40, s6, 11
	v_lshlrev_b32_e32 v3, 3, v0
	v_mov_b32_e32 v13, 0xff
	v_lshrrev_b32_e32 v0, 2, v0
	s_mov_b32 s28, 0
	s_mov_b32 s29, exec_lo
	s_waitcnt lgkmcnt(0)
	s_add_u32 s0, s36, s40
	s_addc_u32 s1, s37, 0
	global_load_dwordx2 v[1:2], v3, s[0:1]
	; wave barrier
	s_waitcnt vmcnt(0)
	v_lshrrev_b32_e32 v4, 8, v1
	v_lshrrev_b32_e32 v9, 16, v1
	;; [unrolled: 1-line block ×3, first 2 shown]
	v_perm_b32 v12, v2, v2, 0x7060405
	v_lshlrev_b16 v5, 8, v4
	v_and_b32_e32 v7, 0xff, v4
	v_perm_b32 v4, 0, v1, 0xc0c0001
	v_perm_b32 v6, 0, v9, 0xc0c0001
	v_or_b32_sdwa v8, v1, v5 dst_sel:DWORD dst_unused:UNUSED_PAD src0_sel:BYTE_0 src1_sel:DWORD
	v_lshlrev_b16 v5, 8, v10
	v_lshlrev_b32_e32 v11, 16, v6
	v_lshrrev_b32_e32 v6, 8, v2
	v_cmp_lt_u16_sdwa s0, v7, v8 src0_sel:DWORD src1_sel:BYTE_0
	v_or_b32_sdwa v9, v9, v5 dst_sel:DWORD dst_unused:UNUSED_PAD src0_sel:BYTE_0 src1_sel:DWORD
	v_cmp_lt_u16_sdwa s1, v6, v2 src0_sel:BYTE_0 src1_sel:BYTE_0
	v_cndmask_b32_e64 v4, v1, v4, s0
	v_cmp_lt_u16_sdwa s3, v10, v9 src0_sel:DWORD src1_sel:BYTE_0
	v_bfi_b32 v1, 0xffff, v4, v1
	v_and_or_b32 v4, 0xffff, v4, v11
	v_cndmask_b32_e64 v11, v2, v12, s1
	v_cndmask_b32_e64 v1, v1, v4, s3
	v_and_b32_sdwa v4, v11, v13 dst_sel:DWORD dst_unused:UNUSED_PAD src0_sel:WORD_1 src1_sel:DWORD
	v_perm_b32 v10, v11, v11, 0x6070504
	v_and_b32_sdwa v12, v1, v13 dst_sel:DWORD dst_unused:UNUSED_PAD src0_sel:WORD_1 src1_sel:DWORD
	v_lshrrev_b32_e32 v14, 8, v1
	v_perm_b32 v15, v1, v1, 0x7050604
	v_cmp_lt_u16_sdwa s4, v11, v4 src0_sel:BYTE_3 src1_sel:DWORD
	v_cmp_lt_u16_sdwa s5, v12, v14 src0_sel:DWORD src1_sel:BYTE_0
	v_cndmask_b32_e64 v4, v11, v10, s4
	v_cndmask_b32_e64 v1, v1, v15, s5
	v_lshlrev_b16 v10, 8, v4
	v_and_b32_sdwa v11, v1, v13 dst_sel:DWORD dst_unused:UNUSED_PAD src0_sel:WORD_1 src1_sel:DWORD
	v_cmp_lt_u16_sdwa s2, v4, v1 src0_sel:BYTE_0 src1_sel:BYTE_3
	v_or_b32_sdwa v10, v11, v10 dst_sel:WORD_1 dst_unused:UNUSED_PAD src0_sel:DWORD src1_sel:DWORD
	v_and_or_b32 v10, 0xffff, v1, v10
	v_cndmask_b32_e64 v10, v1, v10, s2
	v_perm_b32 v1, v1, v4, 0x3020107
	v_perm_b32 v11, 0, v10, 0xc0c0001
	v_lshrrev_b32_e32 v12, 8, v10
	v_cndmask_b32_e64 v1, v4, v1, s2
	v_and_or_b32 v11, 0xffff0000, v10, v11
	v_cmp_lt_u16_sdwa s6, v12, v10 src0_sel:BYTE_0 src1_sel:BYTE_0
	v_lshrrev_b32_e32 v12, 8, v1
	v_perm_b32 v14, v1, v1, 0x7050604
	v_cndmask_b32_e64 v4, v10, v11, s6
	v_and_b32_sdwa v10, v1, v13 dst_sel:DWORD dst_unused:UNUSED_PAD src0_sel:WORD_1 src1_sel:DWORD
	v_lshrrev_b32_e32 v11, 16, v4
	v_cmp_lt_u16_sdwa s7, v10, v12 src0_sel:DWORD src1_sel:BYTE_0
	v_perm_b32 v15, 0, v11, 0xc0c0001
	v_cndmask_b32_e64 v1, v1, v14, s7
	v_cmp_lt_u16_sdwa s9, v4, v11 src0_sel:BYTE_3 src1_sel:BYTE_0
	v_lshlrev_b32_e32 v10, 16, v15
	v_lshrrev_b32_e32 v12, 8, v1
	v_perm_b32 v14, v1, v1, 0x7060405
	v_and_or_b32 v10, 0xffff, v4, v10
	v_cmp_lt_u16_sdwa s8, v12, v1 src0_sel:BYTE_0 src1_sel:BYTE_0
	v_cndmask_b32_e64 v4, v4, v10, s9
	v_cndmask_b32_e64 v1, v1, v14, s8
	v_and_b32_sdwa v12, v4, v13 dst_sel:DWORD dst_unused:UNUSED_PAD src0_sel:WORD_1 src1_sel:DWORD
	v_and_b32_sdwa v10, v1, v13 dst_sel:DWORD dst_unused:UNUSED_PAD src0_sel:WORD_1 src1_sel:DWORD
	v_lshrrev_b32_e32 v14, 8, v4
	v_perm_b32 v11, v1, v1, 0x6070504
	v_perm_b32 v15, v4, v4, 0x7050604
	v_cmp_lt_u16_sdwa s11, v1, v10 src0_sel:BYTE_3 src1_sel:DWORD
	v_cmp_lt_u16_sdwa s12, v12, v14 src0_sel:DWORD src1_sel:BYTE_0
	v_cndmask_b32_e64 v1, v1, v11, s11
	v_cndmask_b32_e64 v4, v4, v15, s12
	v_lshlrev_b16 v10, 8, v1
	v_and_b32_sdwa v11, v4, v13 dst_sel:DWORD dst_unused:UNUSED_PAD src0_sel:WORD_1 src1_sel:DWORD
	v_cmp_lt_u16_sdwa s10, v1, v4 src0_sel:BYTE_0 src1_sel:BYTE_3
	v_or_b32_sdwa v10, v11, v10 dst_sel:WORD_1 dst_unused:UNUSED_PAD src0_sel:DWORD src1_sel:DWORD
	v_and_or_b32 v10, 0xffff, v4, v10
	v_cndmask_b32_e64 v10, v4, v10, s10
	v_perm_b32 v4, v4, v1, 0x3020107
	v_perm_b32 v11, 0, v10, 0xc0c0001
	v_lshrrev_b32_e32 v12, 8, v10
	v_cndmask_b32_e64 v1, v1, v4, s10
	v_and_or_b32 v11, 0xffff0000, v10, v11
	v_cmp_lt_u16_sdwa s15, v12, v10 src0_sel:BYTE_0 src1_sel:BYTE_0
	v_lshrrev_b32_e32 v12, 8, v1
	v_perm_b32 v14, v1, v1, 0x7050604
	v_cndmask_b32_e64 v4, v10, v11, s15
	v_and_b32_sdwa v10, v1, v13 dst_sel:DWORD dst_unused:UNUSED_PAD src0_sel:WORD_1 src1_sel:DWORD
	v_lshrrev_b32_e32 v11, 16, v4
	v_cmp_lt_u16_sdwa s17, v10, v12 src0_sel:DWORD src1_sel:BYTE_0
	v_perm_b32 v15, 0, v11, 0xc0c0001
	v_cndmask_b32_e64 v1, v1, v14, s17
	v_cmp_lt_u16_sdwa s20, v4, v11 src0_sel:BYTE_3 src1_sel:BYTE_0
	v_lshlrev_b32_e32 v10, 16, v15
	v_lshrrev_b32_e32 v12, 8, v1
	v_perm_b32 v14, v1, v1, 0x7060405
	v_and_or_b32 v10, 0xffff, v4, v10
	v_cmp_lt_u16_sdwa s18, v12, v1 src0_sel:BYTE_0 src1_sel:BYTE_0
	v_cndmask_b32_e64 v4, v4, v10, s20
	v_cndmask_b32_e64 v1, v1, v14, s18
	v_and_b32_sdwa v12, v4, v13 dst_sel:DWORD dst_unused:UNUSED_PAD src0_sel:WORD_1 src1_sel:DWORD
	v_and_b32_sdwa v10, v1, v13 dst_sel:DWORD dst_unused:UNUSED_PAD src0_sel:WORD_1 src1_sel:DWORD
	v_lshrrev_b32_e32 v14, 8, v4
	v_perm_b32 v11, v1, v1, 0x6070504
	;; [unrolled: 37-line block ×3, first 2 shown]
	v_perm_b32 v15, v4, v4, 0x7050604
	v_cmp_lt_u16_sdwa s13, v1, v10 src0_sel:BYTE_3 src1_sel:DWORD
	v_cmp_lt_u16_sdwa s14, v12, v14 src0_sel:DWORD src1_sel:BYTE_0
	v_mbcnt_lo_u32_b32 v10, -1, 0
	v_cndmask_b32_e64 v1, v1, v11, s13
	v_cndmask_b32_e64 v4, v4, v15, s14
	v_lshlrev_b32_e32 v14, 3, v10
	v_lshlrev_b16 v11, 8, v1
	v_and_b32_sdwa v12, v4, v13 dst_sel:DWORD dst_unused:UNUSED_PAD src0_sel:WORD_1 src1_sel:DWORD
	v_perm_b32 v15, v4, v1, 0x3020107
	v_cmp_lt_u16_sdwa s16, v1, v4 src0_sel:BYTE_0 src1_sel:BYTE_3
	v_or_b32_sdwa v10, v12, v11 dst_sel:WORD_1 dst_unused:UNUSED_PAD src0_sel:DWORD src1_sel:DWORD
	v_and_b32_e32 v11, 16, v14
	v_cndmask_b32_e64 v18, v1, v15, s16
	v_and_b32_e32 v15, 8, v14
	v_mov_b32_e32 v12, 0
	v_and_or_b32 v16, 0xffff, v4, v10
	v_or_b32_e32 v10, 8, v11
	v_and_b32_sdwa v19, v18, v13 dst_sel:DWORD dst_unused:UNUSED_PAD src0_sel:WORD_1 src1_sel:DWORD
	v_lshrrev_b32_e32 v20, 8, v18
	v_perm_b32 v21, v18, v18, 0x7050604
	v_cndmask_b32_e64 v17, v4, v16, s16
	v_and_b32_e32 v4, 24, v14
	v_sub_nc_u32_e32 v14, v10, v11
	v_cmp_lt_u16_sdwa s26, v19, v20 src0_sel:DWORD src1_sel:BYTE_0
	v_mov_b32_e32 v16, 0
	v_mad_u32_u24 v1, v0, 33, v4
	v_min_i32_e32 v13, v15, v14
	v_cndmask_b32_e64 v18, v18, v21, s26
	v_mul_u32_u24_e32 v0, 33, v0
	ds_write_b64 v1, v[17:18]
	; wave barrier
	v_cmpx_lt_i32_e32 0, v13
	s_cbranch_execz .LBB105_4
; %bb.1:
	v_add_nc_u32_e32 v14, v0, v11
	v_add_nc_u32_e32 v16, v14, v15
	.p2align	6
.LBB105_2:                              ; =>This Inner Loop Header: Depth=1
	v_sub_nc_u32_e32 v17, v13, v12
	v_lshrrev_b32_e32 v17, 1, v17
	v_add_nc_u32_e32 v17, v17, v12
	v_add_nc_u32_e32 v18, v14, v17
	v_xad_u32 v19, v17, -1, v16
	v_add_nc_u32_e32 v20, 1, v17
	ds_read_u8 v18, v18
	ds_read_u8 v19, v19 offset:8
	s_waitcnt lgkmcnt(0)
	v_cmp_lt_u16_e32 vcc_lo, v19, v18
	v_cndmask_b32_e32 v13, v13, v17, vcc_lo
	v_cndmask_b32_e32 v12, v20, v12, vcc_lo
	v_cmp_ge_i32_e32 vcc_lo, v12, v13
	s_or_b32 s28, vcc_lo, s28
	s_andn2_b32 exec_lo, exec_lo, s28
	s_cbranch_execnz .LBB105_2
; %bb.3:
	s_or_b32 exec_lo, exec_lo, s28
	v_mov_b32_e32 v16, v12
.LBB105_4:
	s_or_b32 exec_lo, exec_lo, s29
	v_mov_b32_e32 v12, 24
	v_add_nc_u32_e32 v13, v11, v15
	v_add_nc_u32_e32 v15, v10, v15
	v_cmp_lt_i32_e32 vcc_lo, 7, v16
	v_lshrrev_b32_e32 v28, 16, v2
	v_lshrrev_b32_sdwa v26, v12, v2 dst_sel:BYTE_1 dst_unused:UNUSED_PAD src0_sel:DWORD src1_sel:DWORD
	v_add_nc_u32_e32 v12, v16, v11
	v_sub_nc_u32_e32 v13, v13, v16
	v_add_nc_u32_e32 v11, 16, v11
	v_sub_nc_u32_e32 v15, v15, v16
                                        ; implicit-def: $vgpr16
	v_add_nc_u32_e32 v17, v0, v12
	v_add_nc_u32_e32 v18, v0, v13
	ds_read_u8 v13, v17
	ds_read_u8 v14, v18 offset:8
	v_cmp_gt_i32_e64 s28, v11, v15
	s_waitcnt lgkmcnt(0)
	v_cmp_lt_u16_sdwa s29, v14, v13 src0_sel:BYTE_0 src1_sel:BYTE_0
	s_or_b32 s29, vcc_lo, s29
	s_and_b32 s28, s28, s29
	s_xor_b32 s29, s28, -1
	s_and_saveexec_b32 s30, s29
	s_xor_b32 s29, exec_lo, s30
; %bb.5:
	ds_read_u8 v16, v17 offset:1
                                        ; implicit-def: $vgpr18
; %bb.6:
	s_or_saveexec_b32 s29, s29
	v_mov_b32_e32 v17, v14
	s_xor_b32 exec_lo, exec_lo, s29
	s_cbranch_execz .LBB105_8
; %bb.7:
	ds_read_u8 v17, v18 offset:9
	s_waitcnt lgkmcnt(1)
	v_mov_b32_e32 v16, v13
.LBB105_8:
	s_or_b32 exec_lo, exec_lo, s29
	v_add_nc_u32_e32 v18, 1, v12
	v_add_nc_u32_e32 v19, 1, v15
	s_waitcnt lgkmcnt(0)
	v_cmp_lt_u16_sdwa s30, v17, v16 src0_sel:BYTE_0 src1_sel:BYTE_0
                                        ; implicit-def: $vgpr22
	v_cndmask_b32_e64 v18, v18, v12, s28
	v_cndmask_b32_e64 v19, v15, v19, s28
	v_cmp_ge_i32_e32 vcc_lo, v18, v10
	v_cmp_lt_i32_e64 s29, v19, v11
	s_or_b32 s30, vcc_lo, s30
	s_and_b32 s29, s29, s30
	s_xor_b32 s30, s29, -1
	s_and_saveexec_b32 s31, s30
	s_xor_b32 s30, exec_lo, s31
; %bb.9:
	v_add_nc_u32_e32 v20, v0, v18
	ds_read_u8 v22, v20 offset:1
; %bb.10:
	s_or_saveexec_b32 s30, s30
	v_mov_b32_e32 v23, v17
	s_xor_b32 exec_lo, exec_lo, s30
	s_cbranch_execz .LBB105_12
; %bb.11:
	v_add_nc_u32_e32 v20, v0, v19
	s_waitcnt lgkmcnt(0)
	v_mov_b32_e32 v22, v16
	ds_read_u8 v23, v20 offset:1
.LBB105_12:
	s_or_b32 exec_lo, exec_lo, s30
	v_add_nc_u32_e32 v20, 1, v18
	v_add_nc_u32_e32 v21, 1, v19
	s_waitcnt lgkmcnt(0)
	v_cmp_lt_u16_sdwa s31, v23, v22 src0_sel:BYTE_0 src1_sel:BYTE_0
                                        ; implicit-def: $vgpr27
	v_cndmask_b32_e64 v24, v20, v18, s29
	v_cndmask_b32_e64 v25, v19, v21, s29
	v_cmp_ge_i32_e32 vcc_lo, v24, v10
	v_cmp_lt_i32_e64 s30, v25, v11
	s_or_b32 s31, vcc_lo, s31
	s_and_b32 s31, s30, s31
	s_xor_b32 s30, s31, -1
	s_and_saveexec_b32 s33, s30
	s_xor_b32 s30, exec_lo, s33
; %bb.13:
	v_add_nc_u32_e32 v20, v0, v24
	ds_read_u8 v27, v20 offset:1
; %bb.14:
	s_or_saveexec_b32 s30, s30
	v_mov_b32_e32 v29, v23
	s_xor_b32 exec_lo, exec_lo, s30
	s_cbranch_execz .LBB105_16
; %bb.15:
	v_add_nc_u32_e32 v20, v0, v25
	s_waitcnt lgkmcnt(0)
	v_mov_b32_e32 v27, v22
	ds_read_u8 v29, v20 offset:1
.LBB105_16:
	s_or_b32 exec_lo, exec_lo, s30
	v_add_nc_u32_e32 v20, 1, v24
	v_add_nc_u32_e32 v21, 1, v25
	s_waitcnt lgkmcnt(0)
	v_cmp_lt_u16_sdwa s33, v29, v27 src0_sel:BYTE_0 src1_sel:BYTE_0
	v_cndmask_b32_e64 v30, v20, v24, s31
	v_cndmask_b32_e64 v31, v25, v21, s31
                                        ; implicit-def: $vgpr20
	v_cmp_ge_i32_e32 vcc_lo, v30, v10
	v_cmp_lt_i32_e64 s30, v31, v11
	s_or_b32 s33, vcc_lo, s33
	s_and_b32 s33, s30, s33
	s_xor_b32 s30, s33, -1
	s_and_saveexec_b32 s34, s30
	s_xor_b32 s30, exec_lo, s34
; %bb.17:
	v_add_nc_u32_e32 v20, v0, v30
	ds_read_u8 v20, v20 offset:1
; %bb.18:
	s_or_saveexec_b32 s30, s30
	v_mov_b32_e32 v21, v29
	s_xor_b32 exec_lo, exec_lo, s30
	s_cbranch_execz .LBB105_20
; %bb.19:
	s_waitcnt lgkmcnt(0)
	v_add_nc_u32_e32 v20, v0, v31
	ds_read_u8 v21, v20 offset:1
	v_mov_b32_e32 v20, v27
.LBB105_20:
	s_or_b32 exec_lo, exec_lo, s30
	v_add_nc_u32_e32 v32, 1, v30
	v_add_nc_u32_e32 v33, 1, v31
	s_waitcnt lgkmcnt(0)
	v_cmp_lt_u16_sdwa s34, v21, v20 src0_sel:BYTE_0 src1_sel:BYTE_0
	v_cndmask_b32_e64 v34, v32, v30, s33
	v_cndmask_b32_e64 v35, v31, v33, s33
                                        ; implicit-def: $vgpr32
	v_cmp_ge_i32_e32 vcc_lo, v34, v10
	v_cmp_lt_i32_e64 s30, v35, v11
	s_or_b32 s34, vcc_lo, s34
	s_and_b32 s30, s30, s34
	s_xor_b32 s34, s30, -1
	s_and_saveexec_b32 s35, s34
	s_xor_b32 s34, exec_lo, s35
; %bb.21:
	v_add_nc_u32_e32 v32, v0, v34
	ds_read_u8 v32, v32 offset:1
; %bb.22:
	s_or_saveexec_b32 s34, s34
	v_mov_b32_e32 v33, v21
	s_xor_b32 exec_lo, exec_lo, s34
	s_cbranch_execz .LBB105_24
; %bb.23:
	s_waitcnt lgkmcnt(0)
	v_add_nc_u32_e32 v32, v0, v35
	ds_read_u8 v33, v32 offset:1
	v_mov_b32_e32 v32, v20
.LBB105_24:
	s_or_b32 exec_lo, exec_lo, s34
	v_add_nc_u32_e32 v36, 1, v34
	v_add_nc_u32_e32 v37, 1, v35
	s_waitcnt lgkmcnt(0)
	v_cmp_lt_u16_sdwa s35, v33, v32 src0_sel:BYTE_0 src1_sel:BYTE_0
                                        ; implicit-def: $vgpr42
	v_cndmask_b32_e64 v40, v36, v34, s30
	v_cndmask_b32_e64 v41, v35, v37, s30
	v_cmp_ge_i32_e32 vcc_lo, v40, v10
	v_cmp_lt_i32_e64 s34, v41, v11
	s_or_b32 s35, vcc_lo, s35
	s_and_b32 vcc_lo, s34, s35
	s_xor_b32 s34, vcc_lo, -1
	s_and_saveexec_b32 s35, s34
	s_xor_b32 s34, exec_lo, s35
; %bb.25:
	v_add_nc_u32_e32 v36, v0, v40
	ds_read_u8 v42, v36 offset:1
; %bb.26:
	s_or_saveexec_b32 s34, s34
	v_mov_b32_e32 v43, v33
	s_xor_b32 exec_lo, exec_lo, s34
	s_cbranch_execz .LBB105_28
; %bb.27:
	v_add_nc_u32_e32 v36, v0, v41
	s_waitcnt lgkmcnt(0)
	v_mov_b32_e32 v42, v32
	ds_read_u8 v43, v36 offset:1
.LBB105_28:
	s_or_b32 exec_lo, exec_lo, s34
	v_add_nc_u32_e32 v36, 1, v40
	v_add_nc_u32_e32 v38, 1, v41
	s_waitcnt lgkmcnt(0)
	v_cmp_lt_u16_sdwa s36, v43, v42 src0_sel:BYTE_0 src1_sel:BYTE_0
	v_cndmask_b32_e32 v37, v36, v40, vcc_lo
	v_cndmask_b32_e32 v39, v41, v38, vcc_lo
                                        ; implicit-def: $vgpr36
	v_cmp_ge_i32_e64 s34, v37, v10
	v_cmp_lt_i32_e64 s35, v39, v11
	s_or_b32 s34, s34, s36
	s_and_b32 s34, s35, s34
	s_xor_b32 s35, s34, -1
	s_and_saveexec_b32 s36, s35
	s_xor_b32 s35, exec_lo, s36
; %bb.29:
	v_add_nc_u32_e32 v36, v0, v37
	ds_read_u8 v36, v36 offset:1
; %bb.30:
	s_or_saveexec_b32 s35, s35
	v_mov_b32_e32 v38, v43
	s_xor_b32 exec_lo, exec_lo, s35
	s_cbranch_execz .LBB105_32
; %bb.31:
	s_waitcnt lgkmcnt(0)
	v_add_nc_u32_e32 v36, v0, v39
	ds_read_u8 v38, v36 offset:1
	v_mov_b32_e32 v36, v42
.LBB105_32:
	s_or_b32 exec_lo, exec_lo, s35
	v_add_nc_u16 v9, v9, 1
	v_add_nc_u16 v7, v7, 1
	v_add_nc_u16 v8, v8, 1
	v_add_nc_u16 v28, v28, 1
	v_add_nc_u16 v2, v2, 1
	v_or_b32_sdwa v5, v5, v9 dst_sel:DWORD dst_unused:UNUSED_PAD src0_sel:DWORD src1_sel:BYTE_0
	v_lshlrev_b16 v9, 8, v7
	v_lshlrev_b16 v44, 8, v8
	v_lshlrev_b16 v6, 8, v6
	v_or_b32_sdwa v26, v26, v28 dst_sel:DWORD dst_unused:UNUSED_PAD src0_sel:DWORD src1_sel:BYTE_0
	v_add_nc_u16 v5, 0x100, v5
	v_or_b32_sdwa v8, v8, v9 dst_sel:DWORD dst_unused:UNUSED_PAD src0_sel:BYTE_0 src1_sel:DWORD
	v_or_b32_sdwa v7, v7, v44 dst_sel:DWORD dst_unused:UNUSED_PAD src0_sel:BYTE_0 src1_sel:DWORD
	v_or_b32_sdwa v2, v6, v2 dst_sel:DWORD dst_unused:UNUSED_PAD src0_sel:DWORD src1_sel:BYTE_0
	v_add_nc_u16 v6, 0x100, v26
	v_lshlrev_b32_e32 v9, 16, v5
	v_and_b32_e32 v8, 0xffff, v8
	v_and_b32_e32 v7, 0xffff, v7
	v_add_nc_u16 v2, 0x100, v2
	v_lshlrev_b32_e32 v6, 16, v6
	v_perm_b32 v5, 0, v5, 0xc0c0001
	v_cndmask_b32_e32 v40, v40, v41, vcc_lo
	v_cndmask_b32_e64 v7, v8, v7, s0
	v_mov_b32_e32 v8, 0xff
	v_or_b32_sdwa v2, v2, v6 dst_sel:DWORD dst_unused:UNUSED_PAD src0_sel:WORD_0 src1_sel:DWORD
	v_lshlrev_b32_e32 v5, 16, v5
	v_cndmask_b32_e64 v16, v16, v17, s29
	v_or_b32_e32 v6, v7, v9
	v_cndmask_b32_e64 v13, v13, v14, s28
	v_perm_b32 v7, v2, v2, 0x7060405
	v_add_nc_u32_e32 v9, 1, v37
	v_cndmask_b32_e64 v18, v18, v19, s29
	v_and_or_b32 v5, 0xffff, v6, v5
	v_cndmask_b32_e64 v12, v12, v15, s28
	v_cndmask_b32_e64 v2, v2, v7, s1
	s_waitcnt lgkmcnt(0)
	v_cmp_lt_u16_sdwa s1, v38, v36 src0_sel:BYTE_0 src1_sel:BYTE_0
	v_cndmask_b32_sdwa v15, v32, v33, vcc_lo dst_sel:BYTE_1 dst_unused:UNUSED_PAD src0_sel:DWORD src1_sel:DWORD
	v_cndmask_b32_e64 v5, v6, v5, s3
	v_cndmask_b32_e64 v22, v22, v23, s31
	v_perm_b32 v6, v2, v2, 0x6070504
	v_cndmask_b32_e64 v23, v24, v25, s31
	v_cndmask_b32_e64 v27, v27, v29, s33
	v_perm_b32 v7, v5, v5, 0x7050604
	v_cndmask_b32_e64 v29, v30, v31, s33
	v_cndmask_b32_e64 v2, v2, v6, s4
	;; [unrolled: 1-line block ×5, first 2 shown]
	v_add_nc_u32_e32 v19, v0, v23
	v_lshlrev_b16 v6, 8, v2
	v_add_nc_u32_e32 v23, v0, v29
	v_and_b32_sdwa v7, v5, v8 dst_sel:DWORD dst_unused:UNUSED_PAD src0_sel:WORD_1 src1_sel:DWORD
	; wave barrier
	v_cndmask_b32_e64 v26, v42, v43, s34
	v_lshlrev_b16 v16, 8, v16
	v_or_b32_sdwa v6, v7, v6 dst_sel:WORD_1 dst_unused:UNUSED_PAD src0_sel:DWORD src1_sel:DWORD
	v_or_b32_sdwa v16, v13, v16 dst_sel:DWORD dst_unused:UNUSED_PAD src0_sel:BYTE_0 src1_sel:DWORD
	v_min_u32_e32 v13, 16, v4
	v_and_or_b32 v6, 0xffff, v5, v6
	v_cndmask_b32_e64 v6, v5, v6, s2
	v_perm_b32 v5, v5, v2, 0x3020107
	v_perm_b32 v7, 0, v6, 0xc0c0001
	v_cndmask_b32_e64 v2, v2, v5, s2
	v_and_or_b32 v7, 0xffff0000, v6, v7
	v_cndmask_b32_e64 v6, v6, v7, s6
	v_perm_b32 v7, v2, v2, 0x7050604
	v_lshrrev_b32_e32 v5, 16, v6
	v_cndmask_b32_e64 v2, v2, v7, s7
	v_perm_b32 v5, 0, v5, 0xc0c0001
	v_perm_b32 v7, v2, v2, 0x7060405
	v_lshlrev_b32_e32 v5, 16, v5
	v_cndmask_b32_e64 v2, v2, v7, s8
	v_and_or_b32 v5, 0xffff, v6, v5
	v_cndmask_b32_e64 v5, v6, v5, s9
	v_perm_b32 v6, v2, v2, 0x6070504
	v_perm_b32 v7, v5, v5, 0x7050604
	v_cndmask_b32_e64 v2, v2, v6, s11
	v_cndmask_b32_e64 v5, v5, v7, s12
	v_lshlrev_b16 v6, 8, v2
	v_and_b32_sdwa v7, v5, v8 dst_sel:DWORD dst_unused:UNUSED_PAD src0_sel:WORD_1 src1_sel:DWORD
	v_or_b32_sdwa v6, v7, v6 dst_sel:WORD_1 dst_unused:UNUSED_PAD src0_sel:DWORD src1_sel:DWORD
	v_and_or_b32 v6, 0xffff, v5, v6
	v_cndmask_b32_e64 v6, v5, v6, s10
	v_perm_b32 v5, v5, v2, 0x3020107
	v_perm_b32 v7, 0, v6, 0xc0c0001
	v_cndmask_b32_e64 v2, v2, v5, s10
	v_and_or_b32 v7, 0xffff0000, v6, v7
	v_cndmask_b32_e64 v6, v6, v7, s15
	v_perm_b32 v7, v2, v2, 0x7050604
	v_lshrrev_b32_e32 v5, 16, v6
	v_cndmask_b32_e64 v2, v2, v7, s17
	v_perm_b32 v5, 0, v5, 0xc0c0001
	v_perm_b32 v7, v2, v2, 0x7060405
	v_lshlrev_b32_e32 v5, 16, v5
	v_cndmask_b32_e64 v2, v2, v7, s18
	v_and_or_b32 v5, 0xffff, v6, v5
	v_cndmask_b32_e64 v5, v6, v5, s20
	v_perm_b32 v6, v2, v2, 0x6070504
	v_perm_b32 v7, v5, v5, 0x7050604
	v_cndmask_b32_e64 v2, v2, v6, s21
	v_cndmask_b32_e64 v5, v5, v7, s22
	v_lshlrev_b16 v6, 8, v2
	v_and_b32_sdwa v7, v5, v8 dst_sel:DWORD dst_unused:UNUSED_PAD src0_sel:WORD_1 src1_sel:DWORD
	v_or_b32_sdwa v6, v7, v6 dst_sel:WORD_1 dst_unused:UNUSED_PAD src0_sel:DWORD src1_sel:DWORD
	v_and_or_b32 v6, 0xffff, v5, v6
	v_cndmask_b32_e64 v6, v5, v6, s19
	v_perm_b32 v5, v5, v2, 0x3020107
	v_perm_b32 v7, 0, v6, 0xc0c0001
	v_cndmask_b32_e64 v2, v2, v5, s19
	v_and_or_b32 v7, 0xffff0000, v6, v7
	v_perm_b32 v41, v2, v2, 0x7050604
	v_cndmask_b32_e64 v6, v6, v7, s27
	v_cndmask_b32_e64 v2, v2, v41, s25
	v_add_nc_u32_e32 v7, 1, v39
	v_lshrrev_b32_e32 v5, 16, v6
	v_perm_b32 v17, v2, v2, 0x7060405
	v_cndmask_b32_e64 v7, v39, v7, s34
	v_perm_b32 v5, 0, v5, 0xc0c0001
	v_cndmask_b32_e64 v2, v2, v17, s23
	v_cmp_lt_i32_e64 s0, v7, v11
	v_add_nc_u32_e32 v17, v0, v4
	v_lshlrev_b32_e32 v5, 16, v5
	v_and_or_b32 v5, 0xffff, v6, v5
	v_cndmask_b32_e64 v5, v6, v5, s24
	v_perm_b32 v6, v2, v2, 0x6070504
	v_perm_b32 v14, v5, v5, 0x7050604
	v_cndmask_b32_e64 v2, v2, v6, s13
	v_cndmask_b32_e64 v6, v9, v37, s34
	v_add_nc_u32_e32 v9, v0, v12
	v_add_nc_u32_e32 v12, v0, v18
	v_cndmask_b32_e64 v5, v5, v14, s14
	v_lshlrev_b16 v14, 8, v2
	v_cmp_ge_i32_e32 vcc_lo, v6, v10
	v_add_nc_u32_e32 v10, v0, v34
	v_and_b32_sdwa v8, v5, v8 dst_sel:DWORD dst_unused:UNUSED_PAD src0_sel:WORD_1 src1_sel:DWORD
	v_perm_b32 v18, v5, v2, 0x3020107
	s_or_b32 s1, vcc_lo, s1
	s_and_b32 vcc_lo, s0, s1
	v_or_b32_sdwa v8, v8, v14 dst_sel:WORD_1 dst_unused:UNUSED_PAD src0_sel:DWORD src1_sel:DWORD
	v_cndmask_b32_e64 v2, v2, v18, s16
	v_cndmask_b32_e32 v7, v6, v7, vcc_lo
	v_add_nc_u32_e32 v18, v0, v28
	v_cndmask_b32_e32 v14, v36, v38, vcc_lo
	v_and_or_b32 v8, 0xffff, v5, v8
	v_perm_b32 v11, v2, v2, 0x7050604
	v_add_nc_u32_e32 v24, v0, v7
	s_mov_b32 s0, exec_lo
	v_lshlrev_b16 v14, 8, v14
	v_cndmask_b32_e64 v5, v5, v8, s16
	v_cndmask_b32_e64 v6, v2, v11, s26
	v_add_nc_u32_e32 v11, v0, v40
	ds_write_b64 v17, v[5:6]
	; wave barrier
	ds_read_u8 v2, v9
	ds_read_u8 v5, v12
	;; [unrolled: 1-line block ×8, first 2 shown]
	v_lshlrev_b16 v12, 8, v27
	v_cndmask_b32_e64 v18, v20, v21, s30
	; wave barrier
	v_or_b32_sdwa v19, v22, v12 dst_sel:WORD_1 dst_unused:UNUSED_PAD src0_sel:BYTE_0 src1_sel:DWORD
	v_or_b32_sdwa v15, v18, v15 dst_sel:DWORD dst_unused:UNUSED_PAD src0_sel:BYTE_0 src1_sel:DWORD
	v_or_b32_sdwa v18, v26, v14 dst_sel:WORD_1 dst_unused:UNUSED_PAD src0_sel:BYTE_0 src1_sel:DWORD
	v_sub_nc_u32_e64 v12, v4, 16 clamp
	v_or_b32_sdwa v14, v16, v19 dst_sel:DWORD dst_unused:UNUSED_PAD src0_sel:WORD_0 src1_sel:DWORD
	v_or_b32_sdwa v15, v15, v18 dst_sel:DWORD dst_unused:UNUSED_PAD src0_sel:WORD_0 src1_sel:DWORD
	ds_write_b64 v17, v[14:15]
	; wave barrier
	v_cmpx_lt_u32_e64 v12, v13
	s_cbranch_execz .LBB105_36
; %bb.33:
	s_mov_b32 s1, 0
	.p2align	6
.LBB105_34:                             ; =>This Inner Loop Header: Depth=1
	v_sub_nc_u32_e32 v14, v13, v12
	v_lshrrev_b32_e32 v14, 1, v14
	v_add_nc_u32_e32 v14, v14, v12
	v_add_nc_u32_e32 v15, v0, v14
	v_xad_u32 v16, v14, -1, v1
	v_add_nc_u32_e32 v17, 1, v14
	ds_read_u8 v15, v15
	ds_read_u8 v16, v16 offset:16
	s_waitcnt lgkmcnt(0)
	v_cmp_lt_u16_e32 vcc_lo, v16, v15
	v_cndmask_b32_e32 v13, v13, v14, vcc_lo
	v_cndmask_b32_e32 v12, v17, v12, vcc_lo
	v_cmp_ge_i32_e32 vcc_lo, v12, v13
	s_or_b32 s1, vcc_lo, s1
	s_andn2_b32 exec_lo, exec_lo, s1
	s_cbranch_execnz .LBB105_34
; %bb.35:
	s_or_b32 exec_lo, exec_lo, s1
.LBB105_36:
	s_or_b32 exec_lo, exec_lo, s0
	v_sub_nc_u32_e32 v14, v4, v12
	v_add_nc_u32_e32 v15, v0, v12
	v_cmp_lt_i32_e32 vcc_lo, 15, v12
	v_add_nc_u32_e32 v17, v0, v14
	v_add_nc_u32_e32 v16, 16, v14
                                        ; implicit-def: $vgpr14
	ds_read_u8 v4, v15
	ds_read_u8 v13, v17 offset:16
	v_cmp_gt_i32_e64 s0, 32, v16
	s_waitcnt lgkmcnt(0)
	v_cmp_lt_u16_sdwa s1, v13, v4 src0_sel:BYTE_0 src1_sel:BYTE_0
	s_or_b32 s1, vcc_lo, s1
	s_and_b32 vcc_lo, s0, s1
	s_xor_b32 s0, vcc_lo, -1
	s_and_saveexec_b32 s1, s0
	s_xor_b32 s0, exec_lo, s1
; %bb.37:
	ds_read_u8 v14, v15 offset:1
                                        ; implicit-def: $vgpr17
; %bb.38:
	s_or_saveexec_b32 s0, s0
	v_mov_b32_e32 v15, v13
	s_xor_b32 exec_lo, exec_lo, s0
	s_cbranch_execz .LBB105_40
; %bb.39:
	ds_read_u8 v15, v17 offset:17
	s_waitcnt lgkmcnt(1)
	v_mov_b32_e32 v14, v4
.LBB105_40:
	s_or_b32 exec_lo, exec_lo, s0
	v_add_nc_u32_e32 v17, 1, v12
	v_add_nc_u32_e32 v18, 1, v16
	s_waitcnt lgkmcnt(0)
	v_cmp_lt_u16_sdwa s2, v15, v14 src0_sel:BYTE_0 src1_sel:BYTE_0
	v_cndmask_b32_e32 v20, v17, v12, vcc_lo
	v_cndmask_b32_e32 v21, v16, v18, vcc_lo
                                        ; implicit-def: $vgpr17
	v_cmp_lt_i32_e64 s0, 15, v20
	v_cmp_gt_i32_e64 s1, 32, v21
	s_or_b32 s0, s0, s2
	s_and_b32 s0, s1, s0
	s_xor_b32 s1, s0, -1
	s_and_saveexec_b32 s2, s1
	s_xor_b32 s1, exec_lo, s2
; %bb.41:
	v_add_nc_u32_e32 v17, v0, v20
	ds_read_u8 v17, v17 offset:1
; %bb.42:
	s_or_saveexec_b32 s1, s1
	v_mov_b32_e32 v18, v15
	s_xor_b32 exec_lo, exec_lo, s1
	s_cbranch_execz .LBB105_44
; %bb.43:
	s_waitcnt lgkmcnt(0)
	v_add_nc_u32_e32 v17, v0, v21
	ds_read_u8 v18, v17 offset:1
	v_mov_b32_e32 v17, v14
.LBB105_44:
	s_or_b32 exec_lo, exec_lo, s1
	v_add_nc_u32_e32 v19, 1, v20
	v_add_nc_u32_e32 v22, 1, v21
	s_waitcnt lgkmcnt(0)
	v_cmp_lt_u16_sdwa s3, v18, v17 src0_sel:BYTE_0 src1_sel:BYTE_0
	v_cndmask_b32_e64 v24, v19, v20, s0
	v_cndmask_b32_e64 v25, v21, v22, s0
                                        ; implicit-def: $vgpr19
	v_cmp_lt_i32_e64 s1, 15, v24
	v_cmp_gt_i32_e64 s2, 32, v25
	s_or_b32 s1, s1, s3
	s_and_b32 s1, s2, s1
	s_xor_b32 s2, s1, -1
	s_and_saveexec_b32 s3, s2
	s_xor_b32 s2, exec_lo, s3
; %bb.45:
	v_add_nc_u32_e32 v19, v0, v24
	ds_read_u8 v19, v19 offset:1
; %bb.46:
	s_or_saveexec_b32 s2, s2
	v_mov_b32_e32 v22, v18
	s_xor_b32 exec_lo, exec_lo, s2
	s_cbranch_execz .LBB105_48
; %bb.47:
	s_waitcnt lgkmcnt(0)
	v_add_nc_u32_e32 v19, v0, v25
	ds_read_u8 v22, v19 offset:1
	v_mov_b32_e32 v19, v17
.LBB105_48:
	s_or_b32 exec_lo, exec_lo, s2
	v_add_nc_u32_e32 v23, 1, v24
	v_add_nc_u32_e32 v26, 1, v25
	s_waitcnt lgkmcnt(0)
	v_cmp_lt_u16_sdwa s4, v22, v19 src0_sel:BYTE_0 src1_sel:BYTE_0
	v_cndmask_b32_e64 v28, v23, v24, s1
	v_cndmask_b32_e64 v29, v25, v26, s1
                                        ; implicit-def: $vgpr23
	v_cmp_lt_i32_e64 s2, 15, v28
	v_cmp_gt_i32_e64 s3, 32, v29
	s_or_b32 s2, s2, s4
	s_and_b32 s2, s3, s2
	s_xor_b32 s3, s2, -1
	s_and_saveexec_b32 s4, s3
	s_xor_b32 s3, exec_lo, s4
; %bb.49:
	v_add_nc_u32_e32 v23, v0, v28
	ds_read_u8 v23, v23 offset:1
; %bb.50:
	s_or_saveexec_b32 s3, s3
	v_mov_b32_e32 v26, v22
	s_xor_b32 exec_lo, exec_lo, s3
	s_cbranch_execz .LBB105_52
; %bb.51:
	s_waitcnt lgkmcnt(0)
	v_add_nc_u32_e32 v23, v0, v29
	ds_read_u8 v26, v23 offset:1
	v_mov_b32_e32 v23, v19
.LBB105_52:
	s_or_b32 exec_lo, exec_lo, s3
	v_add_nc_u32_e32 v27, 1, v28
	v_add_nc_u32_e32 v30, 1, v29
	s_waitcnt lgkmcnt(0)
	v_cmp_lt_u16_sdwa s5, v26, v23 src0_sel:BYTE_0 src1_sel:BYTE_0
	v_cndmask_b32_e64 v31, v27, v28, s2
	v_cndmask_b32_e64 v32, v29, v30, s2
                                        ; implicit-def: $vgpr27
	v_cmp_lt_i32_e64 s3, 15, v31
	v_cmp_gt_i32_e64 s4, 32, v32
	s_or_b32 s3, s3, s5
	s_and_b32 s3, s4, s3
	s_xor_b32 s4, s3, -1
	s_and_saveexec_b32 s5, s4
	s_xor_b32 s4, exec_lo, s5
; %bb.53:
	v_add_nc_u32_e32 v27, v0, v31
	ds_read_u8 v27, v27 offset:1
; %bb.54:
	s_or_saveexec_b32 s4, s4
	v_mov_b32_e32 v30, v26
	s_xor_b32 exec_lo, exec_lo, s4
	s_cbranch_execz .LBB105_56
; %bb.55:
	s_waitcnt lgkmcnt(0)
	v_add_nc_u32_e32 v27, v0, v32
	ds_read_u8 v30, v27 offset:1
	v_mov_b32_e32 v27, v23
.LBB105_56:
	s_or_b32 exec_lo, exec_lo, s4
	v_add_nc_u32_e32 v33, 1, v31
	v_add_nc_u32_e32 v34, 1, v32
	s_waitcnt lgkmcnt(0)
	v_cmp_lt_u16_sdwa s6, v30, v27 src0_sel:BYTE_0 src1_sel:BYTE_0
                                        ; implicit-def: $vgpr39
	v_cndmask_b32_e64 v33, v33, v31, s3
	v_cndmask_b32_e64 v34, v32, v34, s3
	v_cmp_lt_i32_e64 s4, 15, v33
	v_cmp_gt_i32_e64 s5, 32, v34
	s_or_b32 s4, s4, s6
	s_and_b32 s4, s5, s4
	s_xor_b32 s5, s4, -1
	s_and_saveexec_b32 s6, s5
	s_xor_b32 s5, exec_lo, s6
; %bb.57:
	v_add_nc_u32_e32 v35, v0, v33
	ds_read_u8 v39, v35 offset:1
; %bb.58:
	s_or_saveexec_b32 s5, s5
	v_mov_b32_e32 v36, v30
	s_xor_b32 exec_lo, exec_lo, s5
	s_cbranch_execz .LBB105_60
; %bb.59:
	v_add_nc_u32_e32 v35, v0, v34
	s_waitcnt lgkmcnt(0)
	v_mov_b32_e32 v39, v27
	ds_read_u8 v36, v35 offset:1
.LBB105_60:
	s_or_b32 exec_lo, exec_lo, s5
	v_add_nc_u32_e32 v35, 1, v33
	v_add_nc_u32_e32 v37, 1, v34
	s_waitcnt lgkmcnt(0)
	v_cmp_ge_u16_sdwa s7, v36, v39 src0_sel:BYTE_0 src1_sel:BYTE_0
                                        ; implicit-def: $vgpr41
                                        ; implicit-def: $vgpr40
	v_cndmask_b32_e64 v42, v35, v33, s4
	v_cndmask_b32_e64 v37, v34, v37, s4
	v_cmp_gt_i32_e64 s5, 16, v42
	v_cmp_lt_i32_e64 s6, 31, v37
	s_and_b32 s5, s5, s7
	s_or_b32 s5, s6, s5
	s_and_saveexec_b32 s6, s5
	s_xor_b32 s5, exec_lo, s6
; %bb.61:
	v_add_nc_u32_e32 v35, v0, v42
	v_add_nc_u32_e32 v40, 1, v42
	ds_read_u8 v41, v35 offset:1
; %bb.62:
	s_or_saveexec_b32 s5, s5
	v_mov_b32_e32 v35, v39
	v_mov_b32_e32 v38, v42
	s_xor_b32 exec_lo, exec_lo, s5
	s_cbranch_execz .LBB105_64
; %bb.63:
	v_add_nc_u32_e32 v35, v0, v37
	s_waitcnt lgkmcnt(0)
	v_add_nc_u32_e32 v41, 1, v37
	v_mov_b32_e32 v38, v37
	v_mov_b32_e32 v40, v42
	ds_read_u8 v43, v35 offset:1
	v_mov_b32_e32 v35, v36
	v_mov_b32_e32 v37, v41
	;; [unrolled: 1-line block ×3, first 2 shown]
	s_waitcnt lgkmcnt(0)
	v_mov_b32_e32 v36, v43
.LBB105_64:
	s_or_b32 exec_lo, exec_lo, s5
	v_cmp_lt_i32_e64 s5, 15, v40
	s_waitcnt lgkmcnt(0)
	v_cmp_lt_u16_sdwa s7, v36, v41 src0_sel:BYTE_0 src1_sel:BYTE_0
	v_perm_b32 v8, v8, v9, 0xc0c0004
	v_perm_b32 v9, v10, v11, 0xc0c0004
	v_perm_b32 v2, v2, v5, 0xc0c0004
	v_perm_b32 v5, v6, v7, 0xc0c0004
	v_cmp_gt_i32_e64 s6, 32, v37
	v_cndmask_b32_e32 v7, v12, v16, vcc_lo
	s_or_b32 s5, s5, s7
	v_lshl_or_b32 v6, v9, 16, v8
	v_lshl_or_b32 v5, v5, 16, v2
	v_cndmask_b32_e64 v20, v20, v21, s0
	v_cndmask_b32_e64 v24, v24, v25, s1
	s_and_b32 s5, s6, s5
	v_cndmask_b32_e64 v28, v28, v29, s2
	v_cndmask_b32_e64 v33, v33, v34, s4
	;; [unrolled: 1-line block ×4, first 2 shown]
	; wave barrier
	ds_write_b64 v1, v[5:6]
	v_add_nc_u32_e32 v1, v0, v7
	v_add_nc_u32_e32 v5, v0, v20
	;; [unrolled: 1-line block ×8, first 2 shown]
	; wave barrier
	ds_read_u8 v1, v1
	ds_read_u8 v5, v5
	ds_read_u8 v6, v6
	ds_read_u8 v7, v7
	ds_read_u8 v8, v9
	ds_read_u8 v9, v10
	ds_read_u8 v10, v11
	ds_read_u8 v0, v0
	v_cndmask_b32_e64 v2, v41, v36, s5
	v_cndmask_b32_e64 v11, v27, v30, s4
	v_cndmask_b32_e32 v4, v4, v13, vcc_lo
	v_cndmask_b32_e64 v12, v14, v15, s0
	v_cndmask_b32_e64 v13, v17, v18, s1
	;; [unrolled: 1-line block ×4, first 2 shown]
	s_add_u32 s0, s38, s40
	s_addc_u32 s1, s39, 0
	s_waitcnt lgkmcnt(7)
	v_add_nc_u16 v1, v1, v4
	s_waitcnt lgkmcnt(6)
	v_add_nc_u16 v4, v5, v12
	;; [unrolled: 2-line block ×8, first 2 shown]
	v_lshlrev_b16 v2, 8, v4
	v_lshlrev_b16 v4, 8, v6
	;; [unrolled: 1-line block ×4, first 2 shown]
	v_or_b32_sdwa v2, v1, v2 dst_sel:DWORD dst_unused:UNUSED_PAD src0_sel:BYTE_0 src1_sel:DWORD
	v_or_b32_sdwa v4, v5, v4 dst_sel:WORD_1 dst_unused:UNUSED_PAD src0_sel:BYTE_0 src1_sel:DWORD
	v_or_b32_sdwa v5, v7, v6 dst_sel:DWORD dst_unused:UNUSED_PAD src0_sel:BYTE_0 src1_sel:DWORD
	v_or_b32_sdwa v6, v9, v0 dst_sel:WORD_1 dst_unused:UNUSED_PAD src0_sel:BYTE_0 src1_sel:DWORD
	v_add_co_u32 v0, s0, s0, v3
	v_add_co_ci_u32_e64 v1, null, s1, 0, s0
	v_or_b32_sdwa v2, v2, v4 dst_sel:DWORD dst_unused:UNUSED_PAD src0_sel:WORD_0 src1_sel:DWORD
	v_or_b32_sdwa v3, v5, v6 dst_sel:DWORD dst_unused:UNUSED_PAD src0_sel:WORD_0 src1_sel:DWORD
	global_store_dwordx2 v[0:1], v[2:3], off
	s_endpgm
	.section	.rodata,"a",@progbits
	.p2align	6, 0x0
	.amdhsa_kernel _Z10sort_pairsILj256ELj4ELj8EhN10test_utils4lessEEvPKT2_PS2_T3_
		.amdhsa_group_segment_fixed_size 2112
		.amdhsa_private_segment_fixed_size 0
		.amdhsa_kernarg_size 20
		.amdhsa_user_sgpr_count 6
		.amdhsa_user_sgpr_private_segment_buffer 1
		.amdhsa_user_sgpr_dispatch_ptr 0
		.amdhsa_user_sgpr_queue_ptr 0
		.amdhsa_user_sgpr_kernarg_segment_ptr 1
		.amdhsa_user_sgpr_dispatch_id 0
		.amdhsa_user_sgpr_flat_scratch_init 0
		.amdhsa_user_sgpr_private_segment_size 0
		.amdhsa_wavefront_size32 1
		.amdhsa_uses_dynamic_stack 0
		.amdhsa_system_sgpr_private_segment_wavefront_offset 0
		.amdhsa_system_sgpr_workgroup_id_x 1
		.amdhsa_system_sgpr_workgroup_id_y 0
		.amdhsa_system_sgpr_workgroup_id_z 0
		.amdhsa_system_sgpr_workgroup_info 0
		.amdhsa_system_vgpr_workitem_id 0
		.amdhsa_next_free_vgpr 45
		.amdhsa_next_free_sgpr 41
		.amdhsa_reserve_vcc 1
		.amdhsa_reserve_flat_scratch 0
		.amdhsa_float_round_mode_32 0
		.amdhsa_float_round_mode_16_64 0
		.amdhsa_float_denorm_mode_32 3
		.amdhsa_float_denorm_mode_16_64 3
		.amdhsa_dx10_clamp 1
		.amdhsa_ieee_mode 1
		.amdhsa_fp16_overflow 0
		.amdhsa_workgroup_processor_mode 1
		.amdhsa_memory_ordered 1
		.amdhsa_forward_progress 1
		.amdhsa_shared_vgpr_count 0
		.amdhsa_exception_fp_ieee_invalid_op 0
		.amdhsa_exception_fp_denorm_src 0
		.amdhsa_exception_fp_ieee_div_zero 0
		.amdhsa_exception_fp_ieee_overflow 0
		.amdhsa_exception_fp_ieee_underflow 0
		.amdhsa_exception_fp_ieee_inexact 0
		.amdhsa_exception_int_div_zero 0
	.end_amdhsa_kernel
	.section	.text._Z10sort_pairsILj256ELj4ELj8EhN10test_utils4lessEEvPKT2_PS2_T3_,"axG",@progbits,_Z10sort_pairsILj256ELj4ELj8EhN10test_utils4lessEEvPKT2_PS2_T3_,comdat
.Lfunc_end105:
	.size	_Z10sort_pairsILj256ELj4ELj8EhN10test_utils4lessEEvPKT2_PS2_T3_, .Lfunc_end105-_Z10sort_pairsILj256ELj4ELj8EhN10test_utils4lessEEvPKT2_PS2_T3_
                                        ; -- End function
	.set _Z10sort_pairsILj256ELj4ELj8EhN10test_utils4lessEEvPKT2_PS2_T3_.num_vgpr, 45
	.set _Z10sort_pairsILj256ELj4ELj8EhN10test_utils4lessEEvPKT2_PS2_T3_.num_agpr, 0
	.set _Z10sort_pairsILj256ELj4ELj8EhN10test_utils4lessEEvPKT2_PS2_T3_.numbered_sgpr, 41
	.set _Z10sort_pairsILj256ELj4ELj8EhN10test_utils4lessEEvPKT2_PS2_T3_.num_named_barrier, 0
	.set _Z10sort_pairsILj256ELj4ELj8EhN10test_utils4lessEEvPKT2_PS2_T3_.private_seg_size, 0
	.set _Z10sort_pairsILj256ELj4ELj8EhN10test_utils4lessEEvPKT2_PS2_T3_.uses_vcc, 1
	.set _Z10sort_pairsILj256ELj4ELj8EhN10test_utils4lessEEvPKT2_PS2_T3_.uses_flat_scratch, 0
	.set _Z10sort_pairsILj256ELj4ELj8EhN10test_utils4lessEEvPKT2_PS2_T3_.has_dyn_sized_stack, 0
	.set _Z10sort_pairsILj256ELj4ELj8EhN10test_utils4lessEEvPKT2_PS2_T3_.has_recursion, 0
	.set _Z10sort_pairsILj256ELj4ELj8EhN10test_utils4lessEEvPKT2_PS2_T3_.has_indirect_call, 0
	.section	.AMDGPU.csdata,"",@progbits
; Kernel info:
; codeLenInByte = 5332
; TotalNumSgprs: 43
; NumVgprs: 45
; ScratchSize: 0
; MemoryBound: 0
; FloatMode: 240
; IeeeMode: 1
; LDSByteSize: 2112 bytes/workgroup (compile time only)
; SGPRBlocks: 0
; VGPRBlocks: 5
; NumSGPRsForWavesPerEU: 43
; NumVGPRsForWavesPerEU: 45
; Occupancy: 16
; WaveLimiterHint : 0
; COMPUTE_PGM_RSRC2:SCRATCH_EN: 0
; COMPUTE_PGM_RSRC2:USER_SGPR: 6
; COMPUTE_PGM_RSRC2:TRAP_HANDLER: 0
; COMPUTE_PGM_RSRC2:TGID_X_EN: 1
; COMPUTE_PGM_RSRC2:TGID_Y_EN: 0
; COMPUTE_PGM_RSRC2:TGID_Z_EN: 0
; COMPUTE_PGM_RSRC2:TIDIG_COMP_CNT: 0
	.section	.text._Z19sort_keys_segmentedILj256ELj4ELj8EhN10test_utils4lessEEvPKT2_PS2_PKjT3_,"axG",@progbits,_Z19sort_keys_segmentedILj256ELj4ELj8EhN10test_utils4lessEEvPKT2_PS2_PKjT3_,comdat
	.protected	_Z19sort_keys_segmentedILj256ELj4ELj8EhN10test_utils4lessEEvPKT2_PS2_PKjT3_ ; -- Begin function _Z19sort_keys_segmentedILj256ELj4ELj8EhN10test_utils4lessEEvPKT2_PS2_PKjT3_
	.globl	_Z19sort_keys_segmentedILj256ELj4ELj8EhN10test_utils4lessEEvPKT2_PS2_PKjT3_
	.p2align	8
	.type	_Z19sort_keys_segmentedILj256ELj4ELj8EhN10test_utils4lessEEvPKT2_PS2_PKjT3_,@function
_Z19sort_keys_segmentedILj256ELj4ELj8EhN10test_utils4lessEEvPKT2_PS2_PKjT3_: ; @_Z19sort_keys_segmentedILj256ELj4ELj8EhN10test_utils4lessEEvPKT2_PS2_PKjT3_
; %bb.0:
	s_clause 0x1
	s_load_dwordx2 s[0:1], s[4:5], 0x10
	s_load_dwordx4 s[16:19], s[4:5], 0x0
	v_lshrrev_b32_e32 v7, 2, v0
	v_mov_b32_e32 v1, 0
	v_mov_b32_e32 v9, 0
	;; [unrolled: 1-line block ×4, first 2 shown]
	v_lshl_or_b32 v0, s6, 6, v7
	v_mov_b32_e32 v11, 0
	v_mov_b32_e32 v13, 0
	v_lshlrev_b64 v[2:3], 2, v[0:1]
	v_lshlrev_b32_e32 v4, 5, v0
	v_mov_b32_e32 v0, 0
	s_waitcnt lgkmcnt(0)
	v_add_co_u32 v2, vcc_lo, s0, v2
	v_add_co_ci_u32_e64 v3, null, s1, v3, vcc_lo
	global_load_dword v6, v[2:3], off
	v_mbcnt_lo_u32_b32 v2, -1, 0
	v_lshlrev_b32_e32 v8, 3, v2
	v_add_co_u32 v2, s0, s16, v4
	v_add_co_ci_u32_e64 v3, null, s17, 0, s0
	v_and_b32_e32 v5, 24, v8
	v_add_co_u32 v2, vcc_lo, v2, v5
	v_add_co_ci_u32_e64 v3, null, 0, v3, vcc_lo
	s_waitcnt vmcnt(0)
	v_cmp_lt_u32_e64 s0, v5, v6
	s_and_saveexec_b32 s1, s0
	s_cbranch_execz .LBB106_2
; %bb.1:
	global_load_ubyte v9, v[2:3], off
	v_mov_b32_e32 v12, 0
	v_mov_b32_e32 v0, 0
	;; [unrolled: 1-line block ×5, first 2 shown]
.LBB106_2:
	s_or_b32 exec_lo, exec_lo, s1
	v_or_b32_e32 v14, 1, v5
	v_mov_b32_e32 v15, v1
	v_cmp_lt_u32_e64 s1, v14, v6
	s_and_saveexec_b32 s2, s1
	s_cbranch_execz .LBB106_4
; %bb.3:
	global_load_ubyte v15, v[2:3], off offset:1
.LBB106_4:
	s_or_b32 exec_lo, exec_lo, s2
	v_or_b32_e32 v16, 2, v5
	v_cmp_lt_u32_e64 s2, v16, v6
	s_and_saveexec_b32 s3, s2
	s_cbranch_execz .LBB106_6
; %bb.5:
	global_load_ubyte v1, v[2:3], off offset:2
.LBB106_6:
	s_or_b32 exec_lo, exec_lo, s3
	v_or_b32_e32 v17, 3, v5
	;; [unrolled: 8-line block ×6, first 2 shown]
	v_cmp_lt_u32_e64 s7, v21, v6
	s_and_saveexec_b32 s8, s7
	s_cbranch_execz .LBB106_16
; %bb.15:
	global_load_ubyte v13, v[2:3], off offset:7
.LBB106_16:
	s_or_b32 exec_lo, exec_lo, s8
	s_waitcnt vmcnt(0)
	v_perm_b32 v1, v1, v12, 0xc0c0004
	v_perm_b32 v2, v9, v15, 0xc0c0004
	v_or_b32_e32 v3, 0xffffff00, v9
	v_cmp_lt_i32_e32 vcc_lo, v14, v6
	v_perm_b32 v0, v0, v10, 0xc0c0004
	v_lshlrev_b32_e32 v1, 16, v1
	v_cmp_lt_i32_e64 s8, v17, v6
	s_mov_b32 s9, exec_lo
	v_or_b32_e32 v10, 0xff, v0
	v_or_b32_e32 v9, v2, v1
	v_or_b32_sdwa v1, v3, v1 dst_sel:DWORD dst_unused:UNUSED_PAD src0_sel:WORD_0 src1_sel:DWORD
	v_mov_b32_e32 v3, 0xff
	v_perm_b32 v2, v11, v13, 0xc0c0004
	v_and_b32_e32 v10, 0xffff, v10
	v_cndmask_b32_e32 v1, v1, v9, vcc_lo
	v_cmp_lt_i32_e32 vcc_lo, v16, v6
	v_lshl_or_b32 v0, v2, 16, v0
	v_mov_b32_e32 v2, 0xffffff00
	v_or_b32_sdwa v11, v1, v3 dst_sel:WORD_1 dst_unused:UNUSED_PAD src0_sel:WORD_1 src1_sel:DWORD
	v_and_or_b32 v10, 0xffff0000, v0, v10
	v_and_or_b32 v1, 0xffff, v1, v11
	v_cndmask_b32_e32 v1, v1, v9, vcc_lo
	v_cmp_lt_i32_e32 vcc_lo, v18, v6
	v_or_b32_sdwa v11, v1, v2 dst_sel:WORD_1 dst_unused:UNUSED_PAD src0_sel:WORD_1 src1_sel:DWORD
	v_cndmask_b32_e32 v10, v10, v0, vcc_lo
	v_and_or_b32 v1, 0xffff, v1, v11
	v_or_b32_e32 v12, 0xffffff00, v10
	v_cndmask_b32_e64 v1, v1, v9, s8
	v_and_b32_e32 v11, 0xffff, v12
	v_cmp_lt_i32_e64 s8, v21, v6
	v_cndmask_b32_e32 v1, v1, v9, vcc_lo
	v_and_or_b32 v10, 0xffff0000, v10, v11
	v_cmp_lt_i32_e32 vcc_lo, v19, v6
	v_cndmask_b32_e32 v11, v1, v9, vcc_lo
	v_cndmask_b32_e32 v1, v10, v0, vcc_lo
	v_cmp_lt_i32_e32 vcc_lo, v20, v6
	v_or_b32_sdwa v3, v1, v3 dst_sel:WORD_1 dst_unused:UNUSED_PAD src0_sel:WORD_1 src1_sel:DWORD
	v_and_or_b32 v1, 0xffff, v1, v3
	v_cndmask_b32_e32 v1, v1, v0, vcc_lo
	v_cndmask_b32_e32 v0, v11, v9, vcc_lo
	v_cmpx_ge_i32_e64 v21, v6
; %bb.17:
	v_or_b32_sdwa v2, v1, v2 dst_sel:WORD_1 dst_unused:UNUSED_PAD src0_sel:WORD_1 src1_sel:DWORD
	v_cmp_lt_i32_e32 vcc_lo, v5, v6
	s_andn2_b32 s8, s8, exec_lo
	v_and_or_b32 v1, 0xffff, v1, v2
	s_and_b32 s10, vcc_lo, exec_lo
	s_or_b32 s8, s8, s10
; %bb.18:
	s_or_b32 exec_lo, exec_lo, s9
	s_and_saveexec_b32 s10, s8
	s_cbranch_execz .LBB106_22
; %bb.19:
	v_lshrrev_b32_e32 v2, 8, v0
	v_perm_b32 v3, 0, v0, 0xc0c0001
	v_and_b32_e32 v9, 0xff, v0
	v_lshrrev_b32_e32 v12, 8, v1
	v_and_b32_e32 v15, 0xff, v1
	v_and_b32_e32 v10, 0xff, v2
	v_and_or_b32 v2, 0xffff0000, v0, v3
	v_perm_b32 v11, v1, v1, 0x7060405
	v_and_b32_e32 v12, 0xff, v12
	v_cmp_lt_u16_e32 vcc_lo, v10, v9
	v_cndmask_b32_e32 v0, v0, v2, vcc_lo
	v_lshrrev_b32_e32 v2, 16, v0
	v_lshrrev_b32_e32 v13, 24, v0
	v_perm_b32 v3, 0, v2, 0xc0c0001
	v_and_b32_e32 v14, 0xff, v2
	v_mov_b32_e32 v2, 0xffffff00
	v_lshlrev_b32_e32 v3, 16, v3
	v_cmp_lt_u16_e32 vcc_lo, v13, v14
	v_min_u16 v16, v13, v14
	v_max_u16 v13, v13, v14
	v_and_or_b32 v3, 0xffff, v0, v3
	v_lshlrev_b16 v17, 8, v16
	v_cndmask_b32_e32 v0, v0, v3, vcc_lo
	v_cmp_lt_u16_e32 vcc_lo, v12, v15
	v_mov_b32_e32 v3, 0xff
	v_and_b32_sdwa v18, v0, v2 dst_sel:DWORD dst_unused:UNUSED_PAD src0_sel:WORD_1 src1_sel:DWORD
	v_cndmask_b32_e32 v1, v1, v11, vcc_lo
	v_max_u16 v11, v10, v9
	v_or_b32_sdwa v17, v0, v17 dst_sel:DWORD dst_unused:UNUSED_PAD src0_sel:BYTE_0 src1_sel:DWORD
	v_min_u16 v9, v10, v9
	v_lshrrev_b32_e32 v19, 24, v1
	v_and_b32_sdwa v20, v1, v3 dst_sel:DWORD dst_unused:UNUSED_PAD src0_sel:WORD_1 src1_sel:DWORD
	v_perm_b32 v21, v1, v1, 0x6070504
	v_or_b32_sdwa v18, v11, v18 dst_sel:WORD_1 dst_unused:UNUSED_PAD src0_sel:DWORD src1_sel:DWORD
	v_min_u16 v23, v16, v11
	v_cmp_lt_u16_e32 vcc_lo, v19, v20
	v_or_b32_sdwa v17, v17, v18 dst_sel:DWORD dst_unused:UNUSED_PAD src0_sel:WORD_0 src1_sel:DWORD
	v_min_u16 v18, v12, v15
	v_max_u16 v12, v12, v15
	v_cndmask_b32_e32 v1, v1, v21, vcc_lo
	v_cmp_lt_u16_e32 vcc_lo, v16, v11
	v_lshlrev_b16 v15, 8, v9
	v_lshlrev_b16 v10, 8, v18
	v_min_u16 v21, v19, v20
	v_and_b32_e32 v14, 0xffffff00, v1
	v_cndmask_b32_e32 v0, v0, v17, vcc_lo
	v_cmp_lt_u16_e32 vcc_lo, v18, v13
	v_or_b32_e32 v15, v23, v15
	v_max_u16 v11, v16, v11
	v_or_b32_e32 v14, v13, v14
	v_and_b32_sdwa v17, v0, v3 dst_sel:DWORD dst_unused:UNUSED_PAD src0_sel:WORD_1 src1_sel:DWORD
	v_max_u16 v24, v18, v13
	v_max_u16 v22, v21, v12
	v_cmp_lt_u16_e64 s8, v21, v12
	v_and_b32_e32 v14, 0xffff, v14
	v_or_b32_sdwa v10, v17, v10 dst_sel:WORD_1 dst_unused:UNUSED_PAD src0_sel:DWORD src1_sel:DWORD
	v_lshlrev_b16 v17, 8, v21
	v_lshlrev_b16 v25, 8, v24
	v_and_or_b32 v14, 0xffff0000, v1, v14
	v_and_or_b32 v10, 0xffff, v0, v10
	v_cndmask_b32_e32 v1, v1, v14, vcc_lo
	v_cndmask_b32_e32 v0, v0, v10, vcc_lo
	v_min_u16 v10, v18, v13
	v_and_b32_e32 v14, 0xffff, v15
	v_lshlrev_b16 v13, 8, v11
	v_and_b32_sdwa v18, v1, v2 dst_sel:DWORD dst_unused:UNUSED_PAD src0_sel:WORD_1 src1_sel:DWORD
	v_min_u16 v15, v21, v12
	v_or_b32_sdwa v17, v1, v17 dst_sel:DWORD dst_unused:UNUSED_PAD src0_sel:BYTE_0 src1_sel:DWORD
	v_and_or_b32 v14, 0xffff0000, v0, v14
	v_cmp_lt_u16_e32 vcc_lo, v16, v9
	v_or_b32_sdwa v18, v12, v18 dst_sel:WORD_1 dst_unused:UNUSED_PAD src0_sel:DWORD src1_sel:DWORD
	v_or_b32_sdwa v13, v10, v13 dst_sel:WORD_1 dst_unused:UNUSED_PAD src0_sel:DWORD src1_sel:DWORD
	v_or_b32_e32 v25, v15, v25
	v_cndmask_b32_e32 v0, v0, v14, vcc_lo
	v_or_b32_sdwa v16, v17, v18 dst_sel:DWORD dst_unused:UNUSED_PAD src0_sel:WORD_0 src1_sel:DWORD
	v_max_u16 v14, v19, v20
	v_lshlrev_b16 v17, 8, v22
	v_and_b32_e32 v18, 0xffff, v25
	v_and_or_b32 v13, 0xffff, v0, v13
	v_cndmask_b32_e64 v1, v1, v16, s8
	v_cmp_lt_u16_e64 s8, v10, v11
	v_min_u16 v16, v10, v11
	v_cndmask_b32_e32 v19, v23, v9, vcc_lo
	v_max_u16 v10, v10, v11
	v_cndmask_b32_e32 v9, v9, v23, vcc_lo
	v_cndmask_b32_e64 v0, v0, v13, s8
	v_or_b32_sdwa v13, v14, v17 dst_sel:WORD_1 dst_unused:UNUSED_PAD src0_sel:DWORD src1_sel:DWORD
	v_and_or_b32 v17, 0xffff0000, v1, v18
	v_cmp_lt_u16_e64 s8, v15, v24
	v_lshlrev_b16 v18, 8, v16
	v_and_b32_sdwa v20, v0, v2 dst_sel:DWORD dst_unused:UNUSED_PAD src0_sel:WORD_1 src1_sel:DWORD
	v_cmp_lt_u16_e64 s9, v16, v19
	v_min_u16 v21, v16, v19
	v_cndmask_b32_e64 v1, v1, v17, s8
	v_cmp_gt_u16_e64 s8, v12, v14
	v_or_b32_sdwa v17, v0, v18 dst_sel:DWORD dst_unused:UNUSED_PAD src0_sel:BYTE_0 src1_sel:DWORD
	v_or_b32_sdwa v18, v19, v20 dst_sel:WORD_1 dst_unused:UNUSED_PAD src0_sel:DWORD src1_sel:DWORD
	v_min_u16 v12, v15, v24
	v_and_or_b32 v13, 0xffff, v1, v13
	v_lshlrev_b16 v23, 8, v9
	v_or_b32_sdwa v17, v17, v18 dst_sel:DWORD dst_unused:UNUSED_PAD src0_sel:WORD_0 src1_sel:DWORD
	v_max_u16 v18, v12, v10
	v_cndmask_b32_e64 v1, v1, v13, s8
	v_max_u16 v13, v15, v24
	v_lshlrev_b16 v15, 8, v12
	v_cndmask_b32_e64 v0, v0, v17, s9
	v_min_u16 v20, v12, v10
	v_and_b32_e32 v11, 0xffffff00, v1
	v_cmp_lt_u16_e32 vcc_lo, v12, v10
	v_or_b32_e32 v12, v21, v23
	v_and_b32_sdwa v17, v0, v3 dst_sel:DWORD dst_unused:UNUSED_PAD src0_sel:WORD_1 src1_sel:DWORD
	v_or_b32_e32 v11, v10, v11
	v_and_b32_e32 v12, 0xffff, v12
	v_or_b32_sdwa v15, v17, v15 dst_sel:WORD_1 dst_unused:UNUSED_PAD src0_sel:DWORD src1_sel:DWORD
	v_lshlrev_b16 v17, 8, v18
	v_and_b32_e32 v11, 0xffff, v11
	v_and_or_b32 v15, 0xffff, v0, v15
	v_and_or_b32 v10, 0xffff0000, v1, v11
	v_max_u16 v11, v16, v19
	v_cndmask_b32_e64 v16, v22, v14, s8
	v_cndmask_b32_e32 v0, v0, v15, vcc_lo
	v_cndmask_b32_e32 v1, v1, v10, vcc_lo
	v_lshlrev_b16 v10, 8, v11
	v_lshlrev_b16 v19, 8, v16
	v_min_u16 v24, v16, v13
	v_and_or_b32 v12, 0xffff0000, v0, v12
	v_and_b32_sdwa v23, v1, v2 dst_sel:DWORD dst_unused:UNUSED_PAD src0_sel:WORD_1 src1_sel:DWORD
	v_cmp_lt_u16_e32 vcc_lo, v21, v9
	v_or_b32_sdwa v19, v1, v19 dst_sel:DWORD dst_unused:UNUSED_PAD src0_sel:BYTE_0 src1_sel:DWORD
	v_or_b32_sdwa v10, v20, v10 dst_sel:WORD_1 dst_unused:UNUSED_PAD src0_sel:DWORD src1_sel:DWORD
	v_or_b32_e32 v17, v24, v17
	v_or_b32_sdwa v23, v13, v23 dst_sel:WORD_1 dst_unused:UNUSED_PAD src0_sel:DWORD src1_sel:DWORD
	v_cndmask_b32_e32 v0, v0, v12, vcc_lo
	v_cndmask_b32_e64 v12, v14, v22, s8
	v_cmp_lt_u16_e32 vcc_lo, v16, v13
	v_and_b32_e32 v17, 0xffff, v17
	v_or_b32_sdwa v14, v19, v23 dst_sel:DWORD dst_unused:UNUSED_PAD src0_sel:WORD_0 src1_sel:DWORD
	v_max_u16 v19, v16, v13
	v_and_or_b32 v10, 0xffff, v0, v10
	v_min_u16 v15, v20, v11
	v_cndmask_b32_e32 v1, v1, v14, vcc_lo
	v_cmp_lt_u16_e32 vcc_lo, v20, v11
	v_lshlrev_b16 v13, 8, v19
	v_lshlrev_b16 v16, 8, v15
	v_max_u16 v11, v20, v11
	v_and_or_b32 v14, 0xffff0000, v1, v17
	v_cndmask_b32_e32 v0, v0, v10, vcc_lo
	v_cmp_lt_u16_e32 vcc_lo, v24, v18
	v_or_b32_sdwa v13, v12, v13 dst_sel:WORD_1 dst_unused:UNUSED_PAD src0_sel:DWORD src1_sel:DWORD
	v_max_u16 v10, v21, v9
	v_min_u16 v9, v21, v9
	v_and_b32_sdwa v17, v0, v2 dst_sel:DWORD dst_unused:UNUSED_PAD src0_sel:WORD_1 src1_sel:DWORD
	v_cndmask_b32_e32 v1, v1, v14, vcc_lo
	v_cmp_lt_u16_e32 vcc_lo, v12, v19
	v_or_b32_sdwa v14, v0, v16 dst_sel:DWORD dst_unused:UNUSED_PAD src0_sel:BYTE_0 src1_sel:DWORD
	v_min_u16 v22, v12, v19
	v_or_b32_sdwa v16, v10, v17 dst_sel:WORD_1 dst_unused:UNUSED_PAD src0_sel:DWORD src1_sel:DWORD
	v_and_or_b32 v13, 0xffff, v1, v13
	v_lshlrev_b16 v17, 8, v9
	v_max_u16 v12, v12, v19
	v_or_b32_sdwa v14, v14, v16 dst_sel:DWORD dst_unused:UNUSED_PAD src0_sel:WORD_0 src1_sel:DWORD
	v_cndmask_b32_e32 v1, v1, v13, vcc_lo
	v_cmp_lt_u16_e32 vcc_lo, v15, v10
	v_min_u16 v13, v24, v18
	v_max_u16 v18, v24, v18
	v_and_b32_e32 v16, 0xffffff00, v1
	v_cndmask_b32_e32 v0, v0, v14, vcc_lo
	v_lshlrev_b16 v20, 8, v13
	v_min_u16 v14, v15, v10
	v_cmp_lt_u16_e32 vcc_lo, v13, v11
	v_or_b32_e32 v16, v11, v16
	v_and_b32_sdwa v21, v0, v3 dst_sel:DWORD dst_unused:UNUSED_PAD src0_sel:WORD_1 src1_sel:DWORD
	v_max_u16 v10, v15, v10
	v_or_b32_e32 v17, v14, v17
	v_max_u16 v23, v13, v11
	v_and_b32_e32 v16, 0xffff, v16
	v_or_b32_sdwa v20, v21, v20 dst_sel:WORD_1 dst_unused:UNUSED_PAD src0_sel:DWORD src1_sel:DWORD
	v_min_u16 v11, v13, v11
	v_and_b32_e32 v17, 0xffff, v17
	v_lshlrev_b16 v13, 8, v22
	v_and_or_b32 v16, 0xffff0000, v1, v16
	v_and_or_b32 v20, 0xffff, v0, v20
	v_lshlrev_b16 v21, 8, v10
	v_lshlrev_b16 v25, 8, v23
	v_cmp_lt_u16_e64 s8, v22, v18
	v_cndmask_b32_e32 v1, v1, v16, vcc_lo
	v_cndmask_b32_e32 v0, v0, v20, vcc_lo
	v_min_u16 v20, v22, v18
	v_cmp_lt_u16_e32 vcc_lo, v15, v9
	v_or_b32_sdwa v21, v11, v21 dst_sel:WORD_1 dst_unused:UNUSED_PAD src0_sel:DWORD src1_sel:DWORD
	v_and_b32_sdwa v24, v1, v2 dst_sel:DWORD dst_unused:UNUSED_PAD src0_sel:WORD_1 src1_sel:DWORD
	v_and_or_b32 v17, 0xffff0000, v0, v17
	v_or_b32_sdwa v13, v1, v13 dst_sel:DWORD dst_unused:UNUSED_PAD src0_sel:BYTE_0 src1_sel:DWORD
	v_or_b32_e32 v25, v20, v25
	v_max_u16 v16, v22, v18
	v_or_b32_sdwa v24, v18, v24 dst_sel:WORD_1 dst_unused:UNUSED_PAD src0_sel:DWORD src1_sel:DWORD
	v_cndmask_b32_e32 v0, v0, v17, vcc_lo
	v_cndmask_b32_e32 v9, v14, v9, vcc_lo
	v_and_b32_e32 v17, 0xffff, v25
	v_lshlrev_b16 v15, 8, v16
	v_or_b32_sdwa v13, v13, v24 dst_sel:DWORD dst_unused:UNUSED_PAD src0_sel:WORD_0 src1_sel:DWORD
	v_and_or_b32 v19, 0xffff, v0, v21
	v_cmp_lt_u16_e32 vcc_lo, v20, v23
	v_or_b32_sdwa v15, v12, v15 dst_sel:WORD_1 dst_unused:UNUSED_PAD src0_sel:DWORD src1_sel:DWORD
	v_cndmask_b32_e64 v1, v1, v13, s8
	v_cmp_lt_u16_e64 s8, v11, v10
	v_min_u16 v13, v11, v10
	v_and_or_b32 v17, 0xffff0000, v1, v17
	v_cndmask_b32_e64 v0, v0, v19, s8
	v_lshlrev_b16 v19, 8, v13
	v_cmp_lt_u16_e64 s8, v13, v9
	v_cndmask_b32_e32 v1, v1, v17, vcc_lo
	v_and_b32_sdwa v14, v0, v2 dst_sel:DWORD dst_unused:UNUSED_PAD src0_sel:WORD_1 src1_sel:DWORD
	v_or_b32_sdwa v17, v0, v19 dst_sel:DWORD dst_unused:UNUSED_PAD src0_sel:BYTE_0 src1_sel:DWORD
	v_cmp_gt_u16_e32 vcc_lo, v18, v12
	v_and_or_b32 v15, 0xffff, v1, v15
	v_or_b32_sdwa v14, v9, v14 dst_sel:WORD_1 dst_unused:UNUSED_PAD src0_sel:DWORD src1_sel:DWORD
	v_max_u16 v9, v11, v10
	v_cndmask_b32_e32 v1, v1, v15, vcc_lo
	v_or_b32_sdwa v14, v17, v14 dst_sel:DWORD dst_unused:UNUSED_PAD src0_sel:WORD_0 src1_sel:DWORD
	v_min_u16 v15, v20, v23
	v_and_b32_e32 v10, 0xffffff00, v1
	v_cndmask_b32_e64 v0, v0, v14, s8
	v_lshlrev_b16 v11, 8, v15
	v_cmp_lt_u16_e64 s8, v15, v9
	v_or_b32_e32 v10, v9, v10
	v_and_b32_sdwa v3, v0, v3 dst_sel:DWORD dst_unused:UNUSED_PAD src0_sel:WORD_1 src1_sel:DWORD
	v_cndmask_b32_e32 v9, v16, v12, vcc_lo
	v_and_b32_e32 v10, 0xffff, v10
	v_or_b32_sdwa v11, v3, v11 dst_sel:WORD_1 dst_unused:UNUSED_PAD src0_sel:DWORD src1_sel:DWORD
	v_max_u16 v3, v20, v23
	v_and_or_b32 v10, 0xffff0000, v1, v10
	v_and_or_b32 v11, 0xffff, v0, v11
	v_cndmask_b32_e64 v1, v1, v10, s8
	v_cndmask_b32_e64 v0, v0, v11, s8
	s_mov_b32 s8, exec_lo
	v_cmpx_lt_u16_e64 v9, v3
; %bb.20:
	v_and_b32_sdwa v2, v1, v2 dst_sel:DWORD dst_unused:UNUSED_PAD src0_sel:WORD_1 src1_sel:DWORD
	v_lshlrev_b16 v9, 8, v9
	v_or_b32_sdwa v2, v3, v2 dst_sel:WORD_1 dst_unused:UNUSED_PAD src0_sel:BYTE_0 src1_sel:DWORD
	v_or_b32_sdwa v1, v1, v9 dst_sel:DWORD dst_unused:UNUSED_PAD src0_sel:BYTE_0 src1_sel:DWORD
	v_or_b32_sdwa v1, v1, v2 dst_sel:DWORD dst_unused:UNUSED_PAD src0_sel:WORD_0 src1_sel:DWORD
; %bb.21:
	s_or_b32 exec_lo, exec_lo, s8
.LBB106_22:
	s_or_b32 exec_lo, exec_lo, s10
	v_and_b32_e32 v2, 16, v8
	v_and_b32_e32 v10, 8, v8
	v_mad_u32_u24 v13, v7, 33, v5
	s_mov_b32 s9, 0
	s_mov_b32 s8, exec_lo
	v_min_i32_e32 v3, v6, v2
	v_min_i32_e32 v10, v6, v10
	; wave barrier
	ds_write_b64 v13, v[0:1]
	v_add_nc_u32_e32 v2, 8, v3
	; wave barrier
	v_min_i32_e32 v9, v6, v2
	v_add_nc_u32_e32 v2, 8, v9
	v_sub_nc_u32_e32 v12, v9, v3
	v_min_i32_e32 v8, v6, v2
	v_min_i32_e32 v12, v10, v12
	v_sub_nc_u32_e32 v2, v8, v9
	v_sub_nc_u32_e32 v11, v10, v2
	v_cmp_ge_i32_e32 vcc_lo, v10, v2
	v_mul_u32_u24_e32 v2, 33, v7
	v_cndmask_b32_e32 v11, 0, v11, vcc_lo
	v_cmpx_lt_i32_e64 v11, v12
	s_cbranch_execz .LBB106_26
; %bb.23:
	v_add_nc_u32_e32 v0, v2, v3
	v_add3_u32 v1, v2, v9, v10
	.p2align	6
.LBB106_24:                             ; =>This Inner Loop Header: Depth=1
	v_sub_nc_u32_e32 v7, v12, v11
	v_lshrrev_b32_e32 v7, 1, v7
	v_add_nc_u32_e32 v7, v7, v11
	v_add_nc_u32_e32 v13, v0, v7
	v_xad_u32 v14, v7, -1, v1
	v_add_nc_u32_e32 v15, 1, v7
	ds_read_u8 v13, v13
	ds_read_u8 v14, v14
	s_waitcnt lgkmcnt(0)
	v_cmp_lt_u16_e32 vcc_lo, v14, v13
	v_cndmask_b32_e32 v12, v12, v7, vcc_lo
	v_cndmask_b32_e32 v11, v15, v11, vcc_lo
	v_cmp_ge_i32_e32 vcc_lo, v11, v12
	s_or_b32 s9, vcc_lo, s9
	s_andn2_b32 exec_lo, exec_lo, s9
	s_cbranch_execnz .LBB106_24
; %bb.25:
	s_or_b32 exec_lo, exec_lo, s9
.LBB106_26:
	s_or_b32 exec_lo, exec_lo, s8
	v_add_nc_u32_e32 v0, v9, v10
	v_add_nc_u32_e32 v3, v11, v3
                                        ; implicit-def: $vgpr7
	v_sub_nc_u32_e32 v11, v0, v11
	v_add_nc_u32_e32 v10, v2, v3
	v_cmp_le_i32_e32 vcc_lo, v9, v3
	v_add_nc_u32_e32 v12, v2, v11
	v_cmp_gt_i32_e64 s8, v8, v11
	ds_read_u8 v0, v10
	ds_read_u8 v1, v12
	s_waitcnt lgkmcnt(0)
	v_cmp_lt_u16_sdwa s9, v1, v0 src0_sel:BYTE_0 src1_sel:BYTE_0
	s_or_b32 s9, vcc_lo, s9
	s_and_b32 s8, s8, s9
	s_xor_b32 s9, s8, -1
	s_and_saveexec_b32 s10, s9
	s_xor_b32 s9, exec_lo, s10
; %bb.27:
	ds_read_u8 v7, v10 offset:1
                                        ; implicit-def: $vgpr12
; %bb.28:
	s_or_saveexec_b32 s9, s9
	v_mov_b32_e32 v10, v1
	s_xor_b32 exec_lo, exec_lo, s9
	s_cbranch_execz .LBB106_30
; %bb.29:
	ds_read_u8 v10, v12 offset:1
	s_waitcnt lgkmcnt(1)
	v_mov_b32_e32 v7, v0
.LBB106_30:
	s_or_b32 exec_lo, exec_lo, s9
	v_add_nc_u32_e32 v12, 1, v3
	v_add_nc_u32_e32 v14, 1, v11
	s_waitcnt lgkmcnt(0)
	v_cmp_lt_u16_sdwa s10, v10, v7 src0_sel:BYTE_0 src1_sel:BYTE_0
	v_cndmask_b32_e64 v13, v12, v3, s8
	v_cndmask_b32_e64 v3, v11, v14, s8
                                        ; implicit-def: $vgpr11
	v_cmp_ge_i32_e32 vcc_lo, v13, v9
	v_cmp_lt_i32_e64 s9, v3, v8
	s_or_b32 s10, vcc_lo, s10
	s_and_b32 s9, s9, s10
	s_xor_b32 s10, s9, -1
	s_and_saveexec_b32 s11, s10
	s_xor_b32 s10, exec_lo, s11
; %bb.31:
	v_add_nc_u32_e32 v11, v2, v13
	ds_read_u8 v11, v11 offset:1
; %bb.32:
	s_or_saveexec_b32 s10, s10
	v_mov_b32_e32 v12, v10
	s_xor_b32 exec_lo, exec_lo, s10
	s_cbranch_execz .LBB106_34
; %bb.33:
	s_waitcnt lgkmcnt(0)
	v_add_nc_u32_e32 v11, v2, v3
	ds_read_u8 v12, v11 offset:1
	v_mov_b32_e32 v11, v7
.LBB106_34:
	s_or_b32 exec_lo, exec_lo, s10
	v_add_nc_u32_e32 v14, 1, v13
	v_add_nc_u32_e32 v16, 1, v3
	s_waitcnt lgkmcnt(0)
	v_cmp_lt_u16_sdwa s11, v12, v11 src0_sel:BYTE_0 src1_sel:BYTE_0
	v_cndmask_b32_e64 v15, v14, v13, s9
	v_cndmask_b32_e64 v14, v3, v16, s9
                                        ; implicit-def: $vgpr3
	v_cmp_ge_i32_e32 vcc_lo, v15, v9
	v_cmp_lt_i32_e64 s10, v14, v8
	s_or_b32 s11, vcc_lo, s11
	s_and_b32 s10, s10, s11
	s_xor_b32 s11, s10, -1
	s_and_saveexec_b32 s12, s11
	s_xor_b32 s11, exec_lo, s12
; %bb.35:
	v_add_nc_u32_e32 v3, v2, v15
	ds_read_u8 v3, v3 offset:1
; %bb.36:
	s_or_saveexec_b32 s11, s11
	v_mov_b32_e32 v13, v12
	s_xor_b32 exec_lo, exec_lo, s11
	s_cbranch_execz .LBB106_38
; %bb.37:
	s_waitcnt lgkmcnt(0)
	v_add_nc_u32_e32 v3, v2, v14
	ds_read_u8 v13, v3 offset:1
	v_mov_b32_e32 v3, v11
.LBB106_38:
	s_or_b32 exec_lo, exec_lo, s11
	v_add_nc_u32_e32 v16, 1, v15
	v_add_nc_u32_e32 v18, 1, v14
	s_waitcnt lgkmcnt(0)
	v_cmp_lt_u16_sdwa s12, v13, v3 src0_sel:BYTE_0 src1_sel:BYTE_0
	v_cndmask_b32_e64 v17, v16, v15, s10
	v_cndmask_b32_e64 v16, v14, v18, s10
                                        ; implicit-def: $vgpr14
	v_cmp_ge_i32_e32 vcc_lo, v17, v9
	v_cmp_lt_i32_e64 s11, v16, v8
	s_or_b32 s12, vcc_lo, s12
	s_and_b32 s11, s11, s12
	s_xor_b32 s12, s11, -1
	s_and_saveexec_b32 s13, s12
	s_xor_b32 s12, exec_lo, s13
; %bb.39:
	v_add_nc_u32_e32 v14, v2, v17
	ds_read_u8 v14, v14 offset:1
; %bb.40:
	s_or_saveexec_b32 s12, s12
	v_mov_b32_e32 v15, v13
	s_xor_b32 exec_lo, exec_lo, s12
	s_cbranch_execz .LBB106_42
; %bb.41:
	s_waitcnt lgkmcnt(0)
	v_add_nc_u32_e32 v14, v2, v16
	ds_read_u8 v15, v14 offset:1
	v_mov_b32_e32 v14, v3
.LBB106_42:
	s_or_b32 exec_lo, exec_lo, s12
	v_add_nc_u32_e32 v18, 1, v17
	v_add_nc_u32_e32 v20, 1, v16
	s_waitcnt lgkmcnt(0)
	v_cmp_lt_u16_sdwa s13, v15, v14 src0_sel:BYTE_0 src1_sel:BYTE_0
	v_cndmask_b32_e64 v19, v18, v17, s11
	v_cndmask_b32_e64 v18, v16, v20, s11
                                        ; implicit-def: $vgpr16
	v_cmp_ge_i32_e32 vcc_lo, v19, v9
	v_cmp_lt_i32_e64 s12, v18, v8
	s_or_b32 s13, vcc_lo, s13
	s_and_b32 s12, s12, s13
	s_xor_b32 s13, s12, -1
	s_and_saveexec_b32 s14, s13
	s_xor_b32 s13, exec_lo, s14
; %bb.43:
	v_add_nc_u32_e32 v16, v2, v19
	ds_read_u8 v16, v16 offset:1
; %bb.44:
	s_or_saveexec_b32 s13, s13
	v_mov_b32_e32 v17, v15
	s_xor_b32 exec_lo, exec_lo, s13
	s_cbranch_execz .LBB106_46
; %bb.45:
	s_waitcnt lgkmcnt(0)
	v_add_nc_u32_e32 v16, v2, v18
	ds_read_u8 v17, v16 offset:1
	v_mov_b32_e32 v16, v14
.LBB106_46:
	s_or_b32 exec_lo, exec_lo, s13
	v_add_nc_u32_e32 v20, 1, v19
	v_add_nc_u32_e32 v22, 1, v18
	s_waitcnt lgkmcnt(0)
	v_cmp_lt_u16_sdwa s14, v17, v16 src0_sel:BYTE_0 src1_sel:BYTE_0
	v_cndmask_b32_e64 v21, v20, v19, s12
	v_cndmask_b32_e64 v19, v18, v22, s12
                                        ; implicit-def: $vgpr18
	v_cmp_ge_i32_e32 vcc_lo, v21, v9
	v_cmp_lt_i32_e64 s13, v19, v8
	s_or_b32 s14, vcc_lo, s14
	s_and_b32 vcc_lo, s13, s14
	s_xor_b32 s13, vcc_lo, -1
	s_and_saveexec_b32 s14, s13
	s_xor_b32 s13, exec_lo, s14
; %bb.47:
	v_add_nc_u32_e32 v18, v2, v21
	ds_read_u8 v18, v18 offset:1
; %bb.48:
	s_or_saveexec_b32 s13, s13
	v_mov_b32_e32 v20, v17
	s_xor_b32 exec_lo, exec_lo, s13
	s_cbranch_execz .LBB106_50
; %bb.49:
	s_waitcnt lgkmcnt(0)
	v_add_nc_u32_e32 v18, v2, v19
	ds_read_u8 v20, v18 offset:1
	v_mov_b32_e32 v18, v16
.LBB106_50:
	s_or_b32 exec_lo, exec_lo, s13
	v_add_nc_u32_e32 v22, 1, v21
	v_add_nc_u32_e32 v23, 1, v19
	s_waitcnt lgkmcnt(0)
	v_cmp_lt_u16_sdwa s15, v20, v18 src0_sel:BYTE_0 src1_sel:BYTE_0
	v_cndmask_b32_e32 v22, v22, v21, vcc_lo
	v_cndmask_b32_e32 v23, v19, v23, vcc_lo
                                        ; implicit-def: $vgpr21
	v_cmp_ge_i32_e64 s13, v22, v9
	v_cmp_lt_i32_e64 s14, v23, v8
	s_or_b32 s13, s13, s15
	s_and_b32 s13, s14, s13
	s_xor_b32 s14, s13, -1
	s_and_saveexec_b32 s15, s14
	s_xor_b32 s14, exec_lo, s15
; %bb.51:
	v_add_nc_u32_e32 v19, v2, v22
	ds_read_u8 v21, v19 offset:1
; %bb.52:
	s_or_saveexec_b32 s14, s14
	v_mov_b32_e32 v24, v20
	s_xor_b32 exec_lo, exec_lo, s14
	s_cbranch_execz .LBB106_54
; %bb.53:
	v_add_nc_u32_e32 v19, v2, v23
	s_waitcnt lgkmcnt(0)
	v_mov_b32_e32 v21, v18
	ds_read_u8 v24, v19 offset:1
.LBB106_54:
	s_or_b32 exec_lo, exec_lo, s14
	v_min_i32_e32 v19, 0, v6
	v_add_nc_u32_e32 v26, 1, v22
	v_add_nc_u32_e32 v25, 1, v23
	v_cndmask_b32_sdwa v16, v16, v17, vcc_lo dst_sel:BYTE_1 dst_unused:UNUSED_PAD src0_sel:DWORD src1_sel:DWORD
	v_cndmask_b32_e64 v18, v18, v20, s13
	v_add_nc_u32_e32 v17, 16, v19
	v_cndmask_b32_e64 v22, v26, v22, s13
	v_cndmask_b32_e64 v20, v23, v25, s13
	s_mov_b32 vcc_lo, s11
	v_cndmask_b32_e64 v11, v11, v12, s10
	v_cndmask_b32_sdwa v13, v3, v13, vcc_lo dst_sel:BYTE_1 dst_unused:UNUSED_PAD src0_sel:DWORD src1_sel:DWORD
	v_min_i32_e32 v3, v6, v17
	v_cmp_ge_i32_e32 vcc_lo, v22, v9
	s_waitcnt lgkmcnt(0)
	v_cmp_lt_u16_sdwa s10, v24, v21 src0_sel:BYTE_0 src1_sel:BYTE_0
	v_cndmask_b32_e64 v7, v7, v10, s9
	v_cmp_lt_i32_e64 s9, v20, v8
	v_add_nc_u32_e32 v9, 16, v3
	v_cndmask_b32_e64 v1, v0, v1, s8
	s_or_b32 s8, vcc_lo, s10
	v_lshlrev_b16 v8, 8, v7
	s_and_b32 vcc_lo, s9, s8
	v_min_i32_e32 v7, v6, v9
	v_cndmask_b32_e32 v9, v21, v24, vcc_lo
	v_cndmask_b32_e64 v14, v14, v15, s12
	v_min_i32_e32 v0, v6, v5
	v_or_b32_sdwa v1, v1, v8 dst_sel:DWORD dst_unused:UNUSED_PAD src0_sel:BYTE_0 src1_sel:DWORD
	v_sub_nc_u32_e32 v6, v7, v3
	v_lshlrev_b16 v8, 8, v9
	v_or_b32_sdwa v9, v11, v13 dst_sel:WORD_1 dst_unused:UNUSED_PAD src0_sel:BYTE_0 src1_sel:DWORD
	v_or_b32_sdwa v11, v14, v16 dst_sel:DWORD dst_unused:UNUSED_PAD src0_sel:BYTE_0 src1_sel:DWORD
	v_sub_nc_u32_e32 v13, v3, v19
	v_sub_nc_u32_e32 v12, v0, v6
	v_or_b32_sdwa v14, v18, v8 dst_sel:WORD_1 dst_unused:UNUSED_PAD src0_sel:BYTE_0 src1_sel:DWORD
	v_cmp_ge_i32_e32 vcc_lo, v0, v6
	v_add_nc_u32_e32 v10, v2, v5
	v_or_b32_sdwa v8, v1, v9 dst_sel:DWORD dst_unused:UNUSED_PAD src0_sel:WORD_0 src1_sel:DWORD
	v_min_i32_e32 v6, v0, v13
	v_or_b32_sdwa v9, v11, v14 dst_sel:DWORD dst_unused:UNUSED_PAD src0_sel:WORD_0 src1_sel:DWORD
	v_cndmask_b32_e32 v1, 0, v12, vcc_lo
	s_mov_b32 s9, 0
	s_mov_b32 s8, exec_lo
	; wave barrier
	ds_write_b64 v10, v[8:9]
	; wave barrier
	v_cmpx_lt_i32_e64 v1, v6
	s_cbranch_execz .LBB106_58
; %bb.55:
	v_add_nc_u32_e32 v8, v2, v19
	v_add3_u32 v9, v2, v3, v0
	.p2align	6
.LBB106_56:                             ; =>This Inner Loop Header: Depth=1
	v_sub_nc_u32_e32 v10, v6, v1
	v_lshrrev_b32_e32 v10, 1, v10
	v_add_nc_u32_e32 v10, v10, v1
	v_add_nc_u32_e32 v11, v8, v10
	v_xad_u32 v12, v10, -1, v9
	v_add_nc_u32_e32 v13, 1, v10
	ds_read_u8 v11, v11
	ds_read_u8 v12, v12
	s_waitcnt lgkmcnt(0)
	v_cmp_lt_u16_e32 vcc_lo, v12, v11
	v_cndmask_b32_e32 v6, v6, v10, vcc_lo
	v_cndmask_b32_e32 v1, v13, v1, vcc_lo
	v_cmp_ge_i32_e32 vcc_lo, v1, v6
	s_or_b32 s9, vcc_lo, s9
	s_andn2_b32 exec_lo, exec_lo, s9
	s_cbranch_execnz .LBB106_56
; %bb.57:
	s_or_b32 exec_lo, exec_lo, s9
.LBB106_58:
	s_or_b32 exec_lo, exec_lo, s8
	v_add_nc_u32_e32 v6, v3, v0
	v_add_nc_u32_e32 v0, v1, v19
                                        ; implicit-def: $vgpr9
	v_sub_nc_u32_e32 v1, v6, v1
	v_add_nc_u32_e32 v10, v2, v0
	v_cmp_le_i32_e32 vcc_lo, v3, v0
	v_add_nc_u32_e32 v11, v2, v1
	v_cmp_gt_i32_e64 s8, v7, v1
	ds_read_u8 v6, v10
	ds_read_u8 v8, v11
	s_waitcnt lgkmcnt(0)
	v_cmp_lt_u16_sdwa s9, v8, v6 src0_sel:BYTE_0 src1_sel:BYTE_0
	s_or_b32 s9, vcc_lo, s9
	s_and_b32 vcc_lo, s8, s9
	s_xor_b32 s8, vcc_lo, -1
	s_and_saveexec_b32 s9, s8
	s_xor_b32 s8, exec_lo, s9
; %bb.59:
	ds_read_u8 v9, v10 offset:1
                                        ; implicit-def: $vgpr11
; %bb.60:
	s_or_saveexec_b32 s8, s8
	v_mov_b32_e32 v10, v8
	s_xor_b32 exec_lo, exec_lo, s8
	s_cbranch_execz .LBB106_62
; %bb.61:
	ds_read_u8 v10, v11 offset:1
	s_waitcnt lgkmcnt(1)
	v_mov_b32_e32 v9, v6
.LBB106_62:
	s_or_b32 exec_lo, exec_lo, s8
	v_add_nc_u32_e32 v11, 1, v0
	v_add_nc_u32_e32 v12, 1, v1
	s_waitcnt lgkmcnt(0)
	v_cmp_lt_u16_sdwa s10, v10, v9 src0_sel:BYTE_0 src1_sel:BYTE_0
	v_cndmask_b32_e32 v13, v11, v0, vcc_lo
	v_cndmask_b32_e32 v0, v1, v12, vcc_lo
                                        ; implicit-def: $vgpr11
	v_cmp_ge_i32_e64 s8, v13, v3
	v_cmp_lt_i32_e64 s9, v0, v7
	s_or_b32 s8, s8, s10
	s_and_b32 s8, s9, s8
	s_xor_b32 s9, s8, -1
	s_and_saveexec_b32 s10, s9
	s_xor_b32 s9, exec_lo, s10
; %bb.63:
	v_add_nc_u32_e32 v1, v2, v13
	ds_read_u8 v11, v1 offset:1
; %bb.64:
	s_or_saveexec_b32 s9, s9
	v_mov_b32_e32 v12, v10
	s_xor_b32 exec_lo, exec_lo, s9
	s_cbranch_execz .LBB106_66
; %bb.65:
	v_add_nc_u32_e32 v1, v2, v0
	s_waitcnt lgkmcnt(0)
	v_mov_b32_e32 v11, v9
	ds_read_u8 v12, v1 offset:1
.LBB106_66:
	s_or_b32 exec_lo, exec_lo, s9
	v_add_nc_u32_e32 v1, 1, v13
	v_add_nc_u32_e32 v14, 1, v0
	s_waitcnt lgkmcnt(0)
	v_cmp_lt_u16_sdwa s11, v12, v11 src0_sel:BYTE_0 src1_sel:BYTE_0
	v_cndmask_b32_e64 v1, v1, v13, s8
	v_cndmask_b32_e64 v0, v0, v14, s8
                                        ; implicit-def: $vgpr13
	v_cmp_ge_i32_e64 s9, v1, v3
	v_cmp_lt_i32_e64 s10, v0, v7
	s_or_b32 s9, s9, s11
	s_and_b32 s9, s10, s9
	s_xor_b32 s10, s9, -1
	s_and_saveexec_b32 s11, s10
	s_xor_b32 s10, exec_lo, s11
; %bb.67:
	v_add_nc_u32_e32 v13, v2, v1
	ds_read_u8 v13, v13 offset:1
; %bb.68:
	s_or_saveexec_b32 s10, s10
	v_mov_b32_e32 v14, v12
	s_xor_b32 exec_lo, exec_lo, s10
	s_cbranch_execz .LBB106_70
; %bb.69:
	s_waitcnt lgkmcnt(0)
	v_add_nc_u32_e32 v13, v2, v0
	ds_read_u8 v14, v13 offset:1
	v_mov_b32_e32 v13, v11
.LBB106_70:
	s_or_b32 exec_lo, exec_lo, s10
	v_add_nc_u32_e32 v15, 1, v1
	v_add_nc_u32_e32 v16, 1, v0
	s_waitcnt lgkmcnt(0)
	v_cmp_lt_u16_sdwa s12, v14, v13 src0_sel:BYTE_0 src1_sel:BYTE_0
	v_cndmask_b32_e64 v1, v15, v1, s9
	v_cndmask_b32_e64 v0, v0, v16, s9
                                        ; implicit-def: $vgpr15
	v_cmp_ge_i32_e64 s10, v1, v3
	v_cmp_lt_i32_e64 s11, v0, v7
	s_or_b32 s10, s10, s12
	s_and_b32 s10, s11, s10
	s_xor_b32 s11, s10, -1
	s_and_saveexec_b32 s12, s11
	s_xor_b32 s11, exec_lo, s12
; %bb.71:
	v_add_nc_u32_e32 v15, v2, v1
	ds_read_u8 v15, v15 offset:1
; %bb.72:
	s_or_saveexec_b32 s11, s11
	v_mov_b32_e32 v16, v14
	s_xor_b32 exec_lo, exec_lo, s11
	s_cbranch_execz .LBB106_74
; %bb.73:
	s_waitcnt lgkmcnt(0)
	v_add_nc_u32_e32 v15, v2, v0
	ds_read_u8 v16, v15 offset:1
	v_mov_b32_e32 v15, v13
.LBB106_74:
	s_or_b32 exec_lo, exec_lo, s11
	v_add_nc_u32_e32 v17, 1, v1
	v_add_nc_u32_e32 v18, 1, v0
	s_waitcnt lgkmcnt(0)
	v_cmp_lt_u16_sdwa s13, v16, v15 src0_sel:BYTE_0 src1_sel:BYTE_0
	v_cndmask_b32_e64 v1, v17, v1, s10
	v_cndmask_b32_e64 v0, v0, v18, s10
                                        ; implicit-def: $vgpr17
	v_cmp_ge_i32_e64 s11, v1, v3
	v_cmp_lt_i32_e64 s12, v0, v7
	s_or_b32 s11, s11, s13
	s_and_b32 s11, s12, s11
	s_xor_b32 s12, s11, -1
	s_and_saveexec_b32 s13, s12
	s_xor_b32 s12, exec_lo, s13
; %bb.75:
	v_add_nc_u32_e32 v17, v2, v1
	ds_read_u8 v17, v17 offset:1
; %bb.76:
	s_or_saveexec_b32 s12, s12
	v_mov_b32_e32 v18, v16
	s_xor_b32 exec_lo, exec_lo, s12
	s_cbranch_execz .LBB106_78
; %bb.77:
	s_waitcnt lgkmcnt(0)
	v_add_nc_u32_e32 v17, v2, v0
	ds_read_u8 v18, v17 offset:1
	v_mov_b32_e32 v17, v15
.LBB106_78:
	s_or_b32 exec_lo, exec_lo, s12
	v_add_nc_u32_e32 v19, 1, v1
	v_add_nc_u32_e32 v20, 1, v0
	s_waitcnt lgkmcnt(0)
	v_cmp_lt_u16_sdwa s14, v18, v17 src0_sel:BYTE_0 src1_sel:BYTE_0
	v_cndmask_b32_e64 v21, v19, v1, s11
	v_cndmask_b32_e64 v1, v0, v20, s11
                                        ; implicit-def: $vgpr19
	v_cmp_ge_i32_e64 s12, v21, v3
	v_cmp_lt_i32_e64 s13, v1, v7
	s_or_b32 s12, s12, s14
	s_and_b32 s12, s13, s12
	s_xor_b32 s13, s12, -1
	s_and_saveexec_b32 s14, s13
	s_xor_b32 s13, exec_lo, s14
; %bb.79:
	v_add_nc_u32_e32 v0, v2, v21
	ds_read_u8 v19, v0 offset:1
; %bb.80:
	s_or_saveexec_b32 s13, s13
	v_mov_b32_e32 v20, v18
	s_xor_b32 exec_lo, exec_lo, s13
	s_cbranch_execz .LBB106_82
; %bb.81:
	v_add_nc_u32_e32 v0, v2, v1
	s_waitcnt lgkmcnt(0)
	v_mov_b32_e32 v19, v17
	ds_read_u8 v20, v0 offset:1
.LBB106_82:
	s_or_b32 exec_lo, exec_lo, s13
	v_add_nc_u32_e32 v0, 1, v21
	v_add_nc_u32_e32 v22, 1, v1
	s_waitcnt lgkmcnt(0)
	v_cmp_lt_u16_sdwa s15, v20, v19 src0_sel:BYTE_0 src1_sel:BYTE_0
                                        ; implicit-def: $vgpr23
	v_cndmask_b32_e64 v0, v0, v21, s12
	v_cndmask_b32_e64 v21, v1, v22, s12
                                        ; implicit-def: $vgpr22
	v_cmp_ge_i32_e64 s13, v0, v3
	v_cmp_lt_i32_e64 s14, v21, v7
	s_or_b32 s13, s13, s15
	s_and_b32 s13, s14, s13
	s_xor_b32 s14, s13, -1
	s_and_saveexec_b32 s15, s14
	s_xor_b32 s14, exec_lo, s15
; %bb.83:
	v_add_nc_u32_e32 v1, v2, v0
	v_add_nc_u32_e32 v23, 1, v0
                                        ; implicit-def: $vgpr2
                                        ; implicit-def: $vgpr0
	ds_read_u8 v22, v1 offset:1
; %bb.84:
	s_or_saveexec_b32 s14, s14
	v_mov_b32_e32 v24, v20
	s_xor_b32 exec_lo, exec_lo, s14
	s_cbranch_execz .LBB106_86
; %bb.85:
	v_add_nc_u32_e32 v1, v2, v21
	v_add_nc_u32_e32 v21, 1, v21
	v_mov_b32_e32 v23, v0
	s_waitcnt lgkmcnt(0)
	v_mov_b32_e32 v22, v19
	ds_read_u8 v24, v1 offset:1
.LBB106_86:
	s_or_b32 exec_lo, exec_lo, s14
	v_add_co_u32 v0, s14, s18, v4
	v_add_co_ci_u32_e64 v1, null, s19, 0, s14
	v_add_co_u32 v0, s14, v0, v5
	v_add_co_ci_u32_e64 v1, null, 0, v1, s14
	s_and_saveexec_b32 s14, s0
	s_cbranch_execnz .LBB106_95
; %bb.87:
	s_or_b32 exec_lo, exec_lo, s14
	s_and_saveexec_b32 s0, s1
	s_cbranch_execnz .LBB106_96
.LBB106_88:
	s_or_b32 exec_lo, exec_lo, s0
	s_and_saveexec_b32 s0, s2
	s_cbranch_execnz .LBB106_97
.LBB106_89:
	s_or_b32 exec_lo, exec_lo, s0
	s_and_saveexec_b32 s0, s3
	s_cbranch_execnz .LBB106_98
.LBB106_90:
	s_or_b32 exec_lo, exec_lo, s0
	s_and_saveexec_b32 s0, s4
	s_cbranch_execnz .LBB106_99
.LBB106_91:
	s_or_b32 exec_lo, exec_lo, s0
	s_and_saveexec_b32 s0, s5
	s_cbranch_execnz .LBB106_100
.LBB106_92:
	s_or_b32 exec_lo, exec_lo, s0
	s_and_saveexec_b32 s0, s6
	s_cbranch_execnz .LBB106_101
.LBB106_93:
	s_or_b32 exec_lo, exec_lo, s0
	s_and_saveexec_b32 s0, s7
	s_cbranch_execnz .LBB106_102
.LBB106_94:
	s_endpgm
.LBB106_95:
	v_cndmask_b32_e32 v2, v6, v8, vcc_lo
	global_store_byte v[0:1], v2, off
	s_or_b32 exec_lo, exec_lo, s14
	s_and_saveexec_b32 s0, s1
	s_cbranch_execz .LBB106_88
.LBB106_96:
	v_cndmask_b32_e64 v2, v9, v10, s8
	global_store_byte v[0:1], v2, off offset:1
	s_or_b32 exec_lo, exec_lo, s0
	s_and_saveexec_b32 s0, s2
	s_cbranch_execz .LBB106_89
.LBB106_97:
	v_cndmask_b32_e64 v2, v11, v12, s9
	global_store_byte v[0:1], v2, off offset:2
	s_or_b32 exec_lo, exec_lo, s0
	s_and_saveexec_b32 s0, s3
	s_cbranch_execz .LBB106_90
.LBB106_98:
	v_cndmask_b32_e64 v2, v13, v14, s10
	global_store_byte v[0:1], v2, off offset:3
	s_or_b32 exec_lo, exec_lo, s0
	s_and_saveexec_b32 s0, s4
	s_cbranch_execz .LBB106_91
.LBB106_99:
	v_cndmask_b32_e64 v2, v15, v16, s11
	global_store_byte v[0:1], v2, off offset:4
	s_or_b32 exec_lo, exec_lo, s0
	s_and_saveexec_b32 s0, s5
	s_cbranch_execz .LBB106_92
.LBB106_100:
	v_cndmask_b32_e64 v2, v17, v18, s12
	global_store_byte v[0:1], v2, off offset:5
	s_or_b32 exec_lo, exec_lo, s0
	s_and_saveexec_b32 s0, s6
	s_cbranch_execz .LBB106_93
.LBB106_101:
	v_cndmask_b32_e64 v2, v19, v20, s13
	global_store_byte v[0:1], v2, off offset:6
	s_or_b32 exec_lo, exec_lo, s0
	s_and_saveexec_b32 s0, s7
	s_cbranch_execz .LBB106_94
.LBB106_102:
	v_cmp_ge_i32_e32 vcc_lo, v23, v3
	s_waitcnt lgkmcnt(0)
	v_cmp_lt_u16_sdwa s1, v24, v22 src0_sel:BYTE_0 src1_sel:BYTE_0
	v_cmp_lt_i32_e64 s0, v21, v7
	s_or_b32 s1, vcc_lo, s1
	s_and_b32 vcc_lo, s0, s1
	v_cndmask_b32_e32 v2, v22, v24, vcc_lo
	global_store_byte v[0:1], v2, off offset:7
	s_endpgm
	.section	.rodata,"a",@progbits
	.p2align	6, 0x0
	.amdhsa_kernel _Z19sort_keys_segmentedILj256ELj4ELj8EhN10test_utils4lessEEvPKT2_PS2_PKjT3_
		.amdhsa_group_segment_fixed_size 2112
		.amdhsa_private_segment_fixed_size 0
		.amdhsa_kernarg_size 28
		.amdhsa_user_sgpr_count 6
		.amdhsa_user_sgpr_private_segment_buffer 1
		.amdhsa_user_sgpr_dispatch_ptr 0
		.amdhsa_user_sgpr_queue_ptr 0
		.amdhsa_user_sgpr_kernarg_segment_ptr 1
		.amdhsa_user_sgpr_dispatch_id 0
		.amdhsa_user_sgpr_flat_scratch_init 0
		.amdhsa_user_sgpr_private_segment_size 0
		.amdhsa_wavefront_size32 1
		.amdhsa_uses_dynamic_stack 0
		.amdhsa_system_sgpr_private_segment_wavefront_offset 0
		.amdhsa_system_sgpr_workgroup_id_x 1
		.amdhsa_system_sgpr_workgroup_id_y 0
		.amdhsa_system_sgpr_workgroup_id_z 0
		.amdhsa_system_sgpr_workgroup_info 0
		.amdhsa_system_vgpr_workitem_id 0
		.amdhsa_next_free_vgpr 27
		.amdhsa_next_free_sgpr 20
		.amdhsa_reserve_vcc 1
		.amdhsa_reserve_flat_scratch 0
		.amdhsa_float_round_mode_32 0
		.amdhsa_float_round_mode_16_64 0
		.amdhsa_float_denorm_mode_32 3
		.amdhsa_float_denorm_mode_16_64 3
		.amdhsa_dx10_clamp 1
		.amdhsa_ieee_mode 1
		.amdhsa_fp16_overflow 0
		.amdhsa_workgroup_processor_mode 1
		.amdhsa_memory_ordered 1
		.amdhsa_forward_progress 1
		.amdhsa_shared_vgpr_count 0
		.amdhsa_exception_fp_ieee_invalid_op 0
		.amdhsa_exception_fp_denorm_src 0
		.amdhsa_exception_fp_ieee_div_zero 0
		.amdhsa_exception_fp_ieee_overflow 0
		.amdhsa_exception_fp_ieee_underflow 0
		.amdhsa_exception_fp_ieee_inexact 0
		.amdhsa_exception_int_div_zero 0
	.end_amdhsa_kernel
	.section	.text._Z19sort_keys_segmentedILj256ELj4ELj8EhN10test_utils4lessEEvPKT2_PS2_PKjT3_,"axG",@progbits,_Z19sort_keys_segmentedILj256ELj4ELj8EhN10test_utils4lessEEvPKT2_PS2_PKjT3_,comdat
.Lfunc_end106:
	.size	_Z19sort_keys_segmentedILj256ELj4ELj8EhN10test_utils4lessEEvPKT2_PS2_PKjT3_, .Lfunc_end106-_Z19sort_keys_segmentedILj256ELj4ELj8EhN10test_utils4lessEEvPKT2_PS2_PKjT3_
                                        ; -- End function
	.set _Z19sort_keys_segmentedILj256ELj4ELj8EhN10test_utils4lessEEvPKT2_PS2_PKjT3_.num_vgpr, 27
	.set _Z19sort_keys_segmentedILj256ELj4ELj8EhN10test_utils4lessEEvPKT2_PS2_PKjT3_.num_agpr, 0
	.set _Z19sort_keys_segmentedILj256ELj4ELj8EhN10test_utils4lessEEvPKT2_PS2_PKjT3_.numbered_sgpr, 20
	.set _Z19sort_keys_segmentedILj256ELj4ELj8EhN10test_utils4lessEEvPKT2_PS2_PKjT3_.num_named_barrier, 0
	.set _Z19sort_keys_segmentedILj256ELj4ELj8EhN10test_utils4lessEEvPKT2_PS2_PKjT3_.private_seg_size, 0
	.set _Z19sort_keys_segmentedILj256ELj4ELj8EhN10test_utils4lessEEvPKT2_PS2_PKjT3_.uses_vcc, 1
	.set _Z19sort_keys_segmentedILj256ELj4ELj8EhN10test_utils4lessEEvPKT2_PS2_PKjT3_.uses_flat_scratch, 0
	.set _Z19sort_keys_segmentedILj256ELj4ELj8EhN10test_utils4lessEEvPKT2_PS2_PKjT3_.has_dyn_sized_stack, 0
	.set _Z19sort_keys_segmentedILj256ELj4ELj8EhN10test_utils4lessEEvPKT2_PS2_PKjT3_.has_recursion, 0
	.set _Z19sort_keys_segmentedILj256ELj4ELj8EhN10test_utils4lessEEvPKT2_PS2_PKjT3_.has_indirect_call, 0
	.section	.AMDGPU.csdata,"",@progbits
; Kernel info:
; codeLenInByte = 5292
; TotalNumSgprs: 22
; NumVgprs: 27
; ScratchSize: 0
; MemoryBound: 0
; FloatMode: 240
; IeeeMode: 1
; LDSByteSize: 2112 bytes/workgroup (compile time only)
; SGPRBlocks: 0
; VGPRBlocks: 3
; NumSGPRsForWavesPerEU: 22
; NumVGPRsForWavesPerEU: 27
; Occupancy: 16
; WaveLimiterHint : 0
; COMPUTE_PGM_RSRC2:SCRATCH_EN: 0
; COMPUTE_PGM_RSRC2:USER_SGPR: 6
; COMPUTE_PGM_RSRC2:TRAP_HANDLER: 0
; COMPUTE_PGM_RSRC2:TGID_X_EN: 1
; COMPUTE_PGM_RSRC2:TGID_Y_EN: 0
; COMPUTE_PGM_RSRC2:TGID_Z_EN: 0
; COMPUTE_PGM_RSRC2:TIDIG_COMP_CNT: 0
	.section	.text._Z20sort_pairs_segmentedILj256ELj4ELj8EhN10test_utils4lessEEvPKT2_PS2_PKjT3_,"axG",@progbits,_Z20sort_pairs_segmentedILj256ELj4ELj8EhN10test_utils4lessEEvPKT2_PS2_PKjT3_,comdat
	.protected	_Z20sort_pairs_segmentedILj256ELj4ELj8EhN10test_utils4lessEEvPKT2_PS2_PKjT3_ ; -- Begin function _Z20sort_pairs_segmentedILj256ELj4ELj8EhN10test_utils4lessEEvPKT2_PS2_PKjT3_
	.globl	_Z20sort_pairs_segmentedILj256ELj4ELj8EhN10test_utils4lessEEvPKT2_PS2_PKjT3_
	.p2align	8
	.type	_Z20sort_pairs_segmentedILj256ELj4ELj8EhN10test_utils4lessEEvPKT2_PS2_PKjT3_,@function
_Z20sort_pairs_segmentedILj256ELj4ELj8EhN10test_utils4lessEEvPKT2_PS2_PKjT3_: ; @_Z20sort_pairs_segmentedILj256ELj4ELj8EhN10test_utils4lessEEvPKT2_PS2_PKjT3_
; %bb.0:
	s_clause 0x1
	s_load_dwordx2 s[0:1], s[4:5], 0x10
	s_load_dwordx4 s[16:19], s[4:5], 0x0
	v_lshrrev_b32_e32 v11, 2, v0
	v_mov_b32_e32 v1, 0
	v_mov_b32_e32 v6, 0
	;; [unrolled: 1-line block ×4, first 2 shown]
	v_lshl_or_b32 v0, s6, 6, v11
	v_mov_b32_e32 v13, 0
	v_mov_b32_e32 v4, 0
	v_lshlrev_b64 v[2:3], 2, v[0:1]
	v_lshlrev_b32_e32 v9, 5, v0
	s_waitcnt lgkmcnt(0)
	v_add_co_u32 v2, vcc_lo, s0, v2
	v_add_co_ci_u32_e64 v3, null, s1, v3, vcc_lo
	v_add_co_u32 v0, s0, s16, v9
	global_load_dword v10, v[2:3], off
	v_mbcnt_lo_u32_b32 v2, -1, 0
	v_add_co_ci_u32_e64 v3, null, s17, 0, s0
	v_lshlrev_b32_e32 v12, 3, v2
	v_and_b32_e32 v8, 24, v12
	v_add_co_u32 v2, vcc_lo, v0, v8
	v_add_co_ci_u32_e64 v3, null, 0, v3, vcc_lo
	v_mov_b32_e32 v0, 0
	s_waitcnt vmcnt(0)
	v_cmp_lt_u32_e64 s0, v8, v10
	s_and_saveexec_b32 s1, s0
	s_cbranch_execz .LBB107_2
; %bb.1:
	global_load_ubyte v6, v[2:3], off
	v_mov_b32_e32 v7, 0
	v_mov_b32_e32 v14, 0
	;; [unrolled: 1-line block ×5, first 2 shown]
.LBB107_2:
	s_or_b32 exec_lo, exec_lo, s1
	v_or_b32_e32 v5, 1, v8
	v_mov_b32_e32 v16, v1
	v_cmp_lt_u32_e64 s1, v5, v10
	s_and_saveexec_b32 s2, s1
	s_cbranch_execz .LBB107_4
; %bb.3:
	global_load_ubyte v16, v[2:3], off offset:1
.LBB107_4:
	s_or_b32 exec_lo, exec_lo, s2
	v_or_b32_e32 v15, 2, v8
	v_cmp_lt_u32_e64 s2, v15, v10
	s_and_saveexec_b32 s3, s2
	s_cbranch_execz .LBB107_6
; %bb.5:
	global_load_ubyte v1, v[2:3], off offset:2
.LBB107_6:
	s_or_b32 exec_lo, exec_lo, s3
	v_or_b32_e32 v17, 3, v8
	;; [unrolled: 8-line block ×6, first 2 shown]
	v_cmp_lt_u32_e64 s7, v21, v10
	s_and_saveexec_b32 s8, s7
	s_cbranch_execz .LBB107_16
; %bb.15:
	global_load_ubyte v0, v[2:3], off offset:7
.LBB107_16:
	s_or_b32 exec_lo, exec_lo, s8
	s_waitcnt vmcnt(0)
	v_add_nc_u16 v2, v6, 1
	v_mov_b32_e32 v3, 0xffff
	v_add_nc_u16 v22, v14, 1
	v_perm_b32 v14, v14, v13, 0xc0c0004
	v_lshlrev_b16 v23, 8, v16
	v_lshlrev_b16 v13, 8, v13
	v_and_b32_sdwa v2, v3, v2 dst_sel:DWORD dst_unused:UNUSED_PAD src0_sel:DWORD src1_sel:BYTE_0
	v_perm_b32 v3, v22, 0, 0x3020104
	v_perm_b32 v22, v4, v0, 0xc0c0004
	;; [unrolled: 1-line block ×4, first 2 shown]
	v_cndmask_b32_e64 v2, 0, v2, s0
	v_cndmask_b32_e64 v3, 0, v3, s4
	v_or_b32_e32 v6, 0xffffff00, v6
	v_lshlrev_b32_e32 v24, 16, v24
	v_lshl_or_b32 v22, v22, 16, v14
	v_or_b32_e32 v23, v23, v2
	v_or_b32_sdwa v13, v13, v3 dst_sel:DWORD dst_unused:UNUSED_PAD src0_sel:DWORD src1_sel:BYTE_0
	v_or_b32_e32 v14, 0xff, v14
	v_or_b32_e32 v16, v16, v24
	v_or_b32_sdwa v6, v6, v24 dst_sel:DWORD dst_unused:UNUSED_PAD src0_sel:WORD_0 src1_sel:DWORD
	v_add_nc_u16 v23, 0x100, v23
	v_add_nc_u16 v13, 0x100, v13
	v_and_b32_e32 v14, 0xffff, v14
	v_cmp_lt_i32_e32 vcc_lo, v5, v10
	v_add_nc_u16 v1, v1, 1
	v_and_b32_e32 v23, 0xffff, v23
	v_and_b32_e32 v13, 0xffff, v13
	v_mov_b32_e32 v25, 0xff
	v_cndmask_b32_e32 v5, v6, v16, vcc_lo
	v_and_or_b32 v6, 0xffff0000, v22, v14
	v_cndmask_b32_e64 v23, v2, v23, s1
	v_and_or_b32 v2, 0xffff0000, v3, v13
	v_cmp_lt_i32_e32 vcc_lo, v18, v10
	v_add_nc_u16 v4, v4, 1
	v_or_b32_sdwa v13, v5, v25 dst_sel:WORD_1 dst_unused:UNUSED_PAD src0_sel:WORD_1 src1_sel:DWORD
	v_perm_b32 v1, v1, v23, 0xc0c0304
	v_cndmask_b32_e64 v3, v3, v2, s5
	v_cndmask_b32_e32 v6, v6, v22, vcc_lo
	v_cmp_lt_i32_e64 s8, v15, v10
	v_and_or_b32 v5, 0xffff, v5, v13
	v_lshl_or_b32 v1, v1, 16, v23
	v_perm_b32 v4, v3, v4, 0x7000504
	v_or_b32_e32 v13, 0xffffff00, v6
	v_mov_b32_e32 v2, 0xffffff00
	v_lshlrev_b16 v7, 8, v7
	v_cndmask_b32_e64 v1, v23, v1, s2
	v_cndmask_b32_e64 v3, v3, v4, s6
	;; [unrolled: 1-line block ×3, first 2 shown]
	v_and_b32_e32 v5, 0xffff, v13
	v_lshlrev_b16 v0, 8, v0
	v_and_b32_sdwa v13, v1, v25 dst_sel:DWORD dst_unused:UNUSED_PAD src0_sel:WORD_1 src1_sel:DWORD
	v_and_b32_sdwa v14, v3, v25 dst_sel:DWORD dst_unused:UNUSED_PAD src0_sel:WORD_1 src1_sel:DWORD
	v_cmp_lt_i32_e64 s8, v19, v10
	v_and_or_b32 v5, 0xffff0000, v6, v5
	v_or_b32_sdwa v6, v4, v2 dst_sel:WORD_1 dst_unused:UNUSED_PAD src0_sel:WORD_1 src1_sel:DWORD
	v_or_b32_e32 v7, v7, v13
	v_or_b32_e32 v0, v0, v14
	v_cmp_lt_i32_e64 s9, v17, v10
	v_cndmask_b32_e64 v5, v5, v22, s8
	v_and_or_b32 v4, 0xffff, v4, v6
	v_add_nc_u16 v6, 0x100, v7
	v_add_nc_u16 v0, 0x100, v0
	v_or_b32_sdwa v7, v5, v25 dst_sel:WORD_1 dst_unused:UNUSED_PAD src0_sel:WORD_1 src1_sel:DWORD
	v_cndmask_b32_e64 v4, v4, v16, s9
	v_cmp_lt_i32_e64 s9, v20, v10
	v_lshlrev_b32_e32 v6, 16, v6
	v_lshlrev_b32_e32 v0, 16, v0
	v_and_or_b32 v5, 0xffff, v5, v7
	v_cndmask_b32_e32 v4, v4, v16, vcc_lo
	s_or_b32 vcc_lo, s9, s8
	v_and_or_b32 v6, 0xffff, v1, v6
	v_and_or_b32 v7, 0xffff, v3, v0
	v_cndmask_b32_e64 v5, v5, v22, s9
	v_cndmask_b32_e32 v4, v4, v16, vcc_lo
	v_cmp_lt_i32_e64 s8, v21, v10
	v_cndmask_b32_e64 v0, v1, v6, s3
	v_cndmask_b32_e64 v1, v3, v7, s7
	v_lshrrev_b32_e32 v15, 24, v5
	v_lshrrev_b64 v[6:7], 24, v[4:5]
	v_lshrrev_b32_e32 v13, 16, v5
	v_lshrrev_b32_e32 v14, 8, v5
	;; [unrolled: 1-line block ×4, first 2 shown]
	s_mov_b32 s9, exec_lo
                                        ; implicit-def: $vgpr3
	v_cmpx_ge_i32_e64 v21, v10
	s_cbranch_execz .LBB107_18
; %bb.17:
	v_lshrrev_b32_e32 v14, 8, v5
	v_lshrrev_b32_e32 v13, 16, v5
	;; [unrolled: 1-line block ×3, first 2 shown]
	v_cmp_lt_i32_e32 vcc_lo, v8, v10
	v_lshrrev_b32_e32 v7, 8, v4
	v_lshlrev_b16 v3, 8, v14
	v_or_b32_sdwa v15, v13, v2 dst_sel:WORD_1 dst_unused:UNUSED_PAD src0_sel:DWORD src1_sel:DWORD
	v_perm_b32 v2, v4, v16, 0x7000504
	s_andn2_b32 s8, s8, exec_lo
	s_and_b32 s10, vcc_lo, exec_lo
	v_or_b32_sdwa v3, v5, v3 dst_sel:DWORD dst_unused:UNUSED_PAD src0_sel:BYTE_0 src1_sel:DWORD
	s_or_b32 s8, s8, s10
	v_or_b32_sdwa v3, v3, v15 dst_sel:DWORD dst_unused:UNUSED_PAD src0_sel:WORD_0 src1_sel:DWORD
	v_mov_b32_e32 v15, 0xff
.LBB107_18:
	s_or_b32 exec_lo, exec_lo, s9
	s_and_saveexec_b32 s9, s8
	s_cbranch_execz .LBB107_22
; %bb.19:
	v_perm_b32 v2, v16, v6, 0xc0c0004
	v_perm_b32 v3, 0, v0, 0xc0c0001
	;; [unrolled: 1-line block ×4, first 2 shown]
	v_cmp_lt_u16_sdwa vcc_lo, v7, v4 src0_sel:BYTE_0 src1_sel:BYTE_0
	v_lshlrev_b32_e32 v2, 16, v2
	v_and_or_b32 v3, 0xffff0000, v0, v3
	v_perm_b32 v4, v13, v15, 0xc0c0004
	v_perm_b32 v13, v1, v1, 0x7060405
	v_or_b32_e32 v6, v6, v2
	v_or_b32_e32 v2, v16, v2
	v_cndmask_b32_e32 v0, v0, v3, vcc_lo
	v_perm_b32 v3, v5, v14, 0xc0c0004
	v_cndmask_b32_e32 v2, v2, v6, vcc_lo
	v_lshrrev_b32_e32 v5, 16, v0
	v_lshl_or_b32 v3, v4, 16, v3
	v_lshrrev_b32_e32 v6, 16, v2
	v_perm_b32 v4, 0, v5, 0xc0c0001
	v_lshrrev_b32_e32 v7, 8, v3
	v_perm_b32 v14, v3, v3, 0x7060405
	v_perm_b32 v5, 0, v6, 0xc0c0001
	v_lshlrev_b32_e32 v4, 16, v4
	v_cmp_lt_u16_sdwa vcc_lo, v7, v3 src0_sel:BYTE_0 src1_sel:BYTE_0
	v_cmp_lt_u16_sdwa s8, v2, v6 src0_sel:BYTE_3 src1_sel:BYTE_0
	v_mov_b32_e32 v6, 0xff
	v_lshlrev_b32_e32 v5, 16, v5
	v_and_or_b32 v4, 0xffff, v0, v4
	v_cndmask_b32_e32 v3, v3, v14, vcc_lo
	v_cndmask_b32_e32 v1, v1, v13, vcc_lo
	v_and_or_b32 v5, 0xffff, v2, v5
	v_cndmask_b32_e64 v0, v0, v4, s8
	v_and_b32_sdwa v4, v3, v6 dst_sel:DWORD dst_unused:UNUSED_PAD src0_sel:WORD_1 src1_sel:DWORD
	v_perm_b32 v14, v3, v3, 0x6070504
	v_cndmask_b32_e64 v2, v2, v5, s8
	v_perm_b32 v5, v1, v1, 0x6070504
	v_cmp_lt_u16_sdwa vcc_lo, v3, v4 src0_sel:BYTE_3 src1_sel:DWORD
	v_perm_b32 v4, v0, v0, 0x7050604
	v_and_b32_sdwa v7, v2, v6 dst_sel:DWORD dst_unused:UNUSED_PAD src0_sel:WORD_1 src1_sel:DWORD
	v_lshrrev_b32_e32 v13, 8, v2
	v_perm_b32 v15, v2, v2, 0x7050604
	v_cndmask_b32_e32 v3, v3, v14, vcc_lo
	v_cndmask_b32_e32 v1, v1, v5, vcc_lo
	v_cmp_lt_u16_sdwa s8, v7, v13 src0_sel:DWORD src1_sel:BYTE_0
	v_lshlrev_b16 v5, 8, v3
	v_cndmask_b32_e64 v2, v2, v15, s8
	v_cndmask_b32_e64 v0, v0, v4, s8
	v_lshlrev_b16 v4, 8, v1
	v_and_b32_sdwa v13, v2, v6 dst_sel:DWORD dst_unused:UNUSED_PAD src0_sel:WORD_1 src1_sel:DWORD
	v_and_b32_sdwa v7, v0, v6 dst_sel:DWORD dst_unused:UNUSED_PAD src0_sel:WORD_1 src1_sel:DWORD
	v_cmp_lt_u16_sdwa vcc_lo, v3, v2 src0_sel:BYTE_0 src1_sel:BYTE_3
	v_or_b32_sdwa v5, v13, v5 dst_sel:WORD_1 dst_unused:UNUSED_PAD src0_sel:DWORD src1_sel:DWORD
	v_or_b32_sdwa v4, v7, v4 dst_sel:WORD_1 dst_unused:UNUSED_PAD src0_sel:DWORD src1_sel:DWORD
	v_and_or_b32 v5, 0xffff, v2, v5
	v_and_or_b32 v4, 0xffff, v0, v4
	v_cndmask_b32_e32 v5, v2, v5, vcc_lo
	v_cndmask_b32_e32 v4, v0, v4, vcc_lo
	v_perm_b32 v2, v2, v3, 0x3020107
	v_perm_b32 v0, v0, v1, 0x3020107
	;; [unrolled: 1-line block ×3, first 2 shown]
	v_lshrrev_b32_e32 v14, 8, v5
	v_perm_b32 v7, 0, v4, 0xc0c0001
	v_cndmask_b32_e32 v2, v3, v2, vcc_lo
	v_cndmask_b32_e32 v0, v1, v0, vcc_lo
	v_and_or_b32 v3, 0xffff0000, v5, v13
	v_cmp_lt_u16_sdwa vcc_lo, v14, v5 src0_sel:BYTE_0 src1_sel:BYTE_0
	v_and_or_b32 v1, 0xffff0000, v4, v7
	v_and_b32_sdwa v7, v2, v6 dst_sel:DWORD dst_unused:UNUSED_PAD src0_sel:WORD_1 src1_sel:DWORD
	v_lshrrev_b32_e32 v13, 8, v2
	v_cndmask_b32_e32 v3, v5, v3, vcc_lo
	v_cndmask_b32_e32 v1, v4, v1, vcc_lo
	v_perm_b32 v4, v2, v2, 0x7050604
	v_perm_b32 v5, v0, v0, 0x7050604
	v_cmp_lt_u16_sdwa vcc_lo, v7, v13 src0_sel:DWORD src1_sel:BYTE_0
	v_lshrrev_b32_e32 v13, 16, v3
	v_lshrrev_b32_e32 v7, 16, v1
	v_cndmask_b32_e32 v0, v0, v5, vcc_lo
	v_cndmask_b32_e32 v2, v2, v4, vcc_lo
	v_perm_b32 v5, 0, v13, 0xc0c0001
	v_perm_b32 v4, 0, v7, 0xc0c0001
	v_cmp_lt_u16_sdwa s8, v3, v13 src0_sel:BYTE_3 src1_sel:BYTE_0
	v_perm_b32 v14, v0, v0, 0x7060405
	v_lshrrev_b32_e32 v7, 8, v2
	v_lshlrev_b32_e32 v5, 16, v5
	v_lshlrev_b32_e32 v4, 16, v4
	v_perm_b32 v15, v2, v2, 0x7060405
	v_cmp_lt_u16_sdwa vcc_lo, v7, v2 src0_sel:BYTE_0 src1_sel:BYTE_0
	v_and_or_b32 v5, 0xffff, v3, v5
	v_and_or_b32 v4, 0xffff, v1, v4
	v_cndmask_b32_e32 v2, v2, v15, vcc_lo
	v_cndmask_b32_e64 v3, v3, v5, s8
	v_cndmask_b32_e64 v1, v1, v4, s8
	v_cndmask_b32_e32 v0, v0, v14, vcc_lo
	v_and_b32_sdwa v4, v2, v6 dst_sel:DWORD dst_unused:UNUSED_PAD src0_sel:WORD_1 src1_sel:DWORD
	v_and_b32_sdwa v7, v3, v6 dst_sel:DWORD dst_unused:UNUSED_PAD src0_sel:WORD_1 src1_sel:DWORD
	v_lshrrev_b32_e32 v13, 8, v3
	v_perm_b32 v14, v2, v2, 0x6070504
	v_perm_b32 v15, v3, v3, 0x7050604
	v_cmp_lt_u16_sdwa vcc_lo, v2, v4 src0_sel:BYTE_3 src1_sel:DWORD
	v_perm_b32 v5, v0, v0, 0x6070504
	v_cmp_lt_u16_sdwa s8, v7, v13 src0_sel:DWORD src1_sel:BYTE_0
	v_perm_b32 v4, v1, v1, 0x7050604
	v_cndmask_b32_e32 v2, v2, v14, vcc_lo
	v_cndmask_b32_e32 v0, v0, v5, vcc_lo
	v_cndmask_b32_e64 v3, v3, v15, s8
	v_cndmask_b32_e64 v1, v1, v4, s8
	v_lshlrev_b16 v5, 8, v2
	v_lshlrev_b16 v4, 8, v0
	v_and_b32_sdwa v13, v3, v6 dst_sel:DWORD dst_unused:UNUSED_PAD src0_sel:WORD_1 src1_sel:DWORD
	v_and_b32_sdwa v7, v1, v6 dst_sel:DWORD dst_unused:UNUSED_PAD src0_sel:WORD_1 src1_sel:DWORD
	v_cmp_lt_u16_sdwa vcc_lo, v2, v3 src0_sel:BYTE_0 src1_sel:BYTE_3
	v_or_b32_sdwa v5, v13, v5 dst_sel:WORD_1 dst_unused:UNUSED_PAD src0_sel:DWORD src1_sel:DWORD
	v_or_b32_sdwa v4, v7, v4 dst_sel:WORD_1 dst_unused:UNUSED_PAD src0_sel:DWORD src1_sel:DWORD
	v_and_or_b32 v5, 0xffff, v3, v5
	v_and_or_b32 v4, 0xffff, v1, v4
	v_cndmask_b32_e32 v5, v3, v5, vcc_lo
	v_cndmask_b32_e32 v4, v1, v4, vcc_lo
	v_perm_b32 v3, v3, v2, 0x3020107
	v_perm_b32 v1, v1, v0, 0x3020107
	;; [unrolled: 1-line block ×3, first 2 shown]
	v_lshrrev_b32_e32 v14, 8, v5
	v_perm_b32 v7, 0, v4, 0xc0c0001
	v_cndmask_b32_e32 v2, v2, v3, vcc_lo
	v_cndmask_b32_e32 v0, v0, v1, vcc_lo
	v_and_or_b32 v3, 0xffff0000, v5, v13
	v_cmp_lt_u16_sdwa vcc_lo, v14, v5 src0_sel:BYTE_0 src1_sel:BYTE_0
	v_and_or_b32 v1, 0xffff0000, v4, v7
	v_and_b32_sdwa v7, v2, v6 dst_sel:DWORD dst_unused:UNUSED_PAD src0_sel:WORD_1 src1_sel:DWORD
	v_lshrrev_b32_e32 v13, 8, v2
	v_cndmask_b32_e32 v3, v5, v3, vcc_lo
	v_cndmask_b32_e32 v1, v4, v1, vcc_lo
	v_perm_b32 v4, v2, v2, 0x7050604
	v_perm_b32 v5, v0, v0, 0x7050604
	v_cmp_lt_u16_sdwa vcc_lo, v7, v13 src0_sel:DWORD src1_sel:BYTE_0
	v_lshrrev_b32_e32 v13, 16, v3
	v_lshrrev_b32_e32 v7, 16, v1
	v_cndmask_b32_e32 v0, v0, v5, vcc_lo
	v_cndmask_b32_e32 v2, v2, v4, vcc_lo
	v_perm_b32 v5, 0, v13, 0xc0c0001
	v_perm_b32 v4, 0, v7, 0xc0c0001
	v_cmp_lt_u16_sdwa s8, v3, v13 src0_sel:BYTE_3 src1_sel:BYTE_0
	v_perm_b32 v14, v0, v0, 0x7060405
	v_lshrrev_b32_e32 v7, 8, v2
	v_lshlrev_b32_e32 v5, 16, v5
	v_lshlrev_b32_e32 v4, 16, v4
	v_perm_b32 v15, v2, v2, 0x7060405
	v_cmp_lt_u16_sdwa vcc_lo, v7, v2 src0_sel:BYTE_0 src1_sel:BYTE_0
	v_and_or_b32 v5, 0xffff, v3, v5
	v_and_or_b32 v4, 0xffff, v1, v4
	v_cndmask_b32_e32 v2, v2, v15, vcc_lo
	v_cndmask_b32_e64 v3, v3, v5, s8
	v_cndmask_b32_e64 v1, v1, v4, s8
	v_cndmask_b32_e32 v0, v0, v14, vcc_lo
	v_and_b32_sdwa v4, v2, v6 dst_sel:DWORD dst_unused:UNUSED_PAD src0_sel:WORD_1 src1_sel:DWORD
	v_and_b32_sdwa v7, v3, v6 dst_sel:DWORD dst_unused:UNUSED_PAD src0_sel:WORD_1 src1_sel:DWORD
	v_lshrrev_b32_e32 v13, 8, v3
	v_perm_b32 v14, v2, v2, 0x6070504
	v_perm_b32 v15, v3, v3, 0x7050604
	v_cmp_lt_u16_sdwa vcc_lo, v2, v4 src0_sel:BYTE_3 src1_sel:DWORD
	v_perm_b32 v5, v0, v0, 0x6070504
	v_cmp_lt_u16_sdwa s8, v7, v13 src0_sel:DWORD src1_sel:BYTE_0
	v_perm_b32 v4, v1, v1, 0x7050604
	v_cndmask_b32_e32 v2, v2, v14, vcc_lo
	v_cndmask_b32_e32 v0, v0, v5, vcc_lo
	v_cndmask_b32_e64 v3, v3, v15, s8
	v_cndmask_b32_e64 v1, v1, v4, s8
	v_lshlrev_b16 v5, 8, v2
	v_lshlrev_b16 v4, 8, v0
	v_and_b32_sdwa v13, v3, v6 dst_sel:DWORD dst_unused:UNUSED_PAD src0_sel:WORD_1 src1_sel:DWORD
	v_and_b32_sdwa v7, v1, v6 dst_sel:DWORD dst_unused:UNUSED_PAD src0_sel:WORD_1 src1_sel:DWORD
	v_cmp_lt_u16_sdwa vcc_lo, v2, v3 src0_sel:BYTE_0 src1_sel:BYTE_3
	v_or_b32_sdwa v5, v13, v5 dst_sel:WORD_1 dst_unused:UNUSED_PAD src0_sel:DWORD src1_sel:DWORD
	v_or_b32_sdwa v4, v7, v4 dst_sel:WORD_1 dst_unused:UNUSED_PAD src0_sel:DWORD src1_sel:DWORD
	v_and_or_b32 v5, 0xffff, v3, v5
	v_and_or_b32 v4, 0xffff, v1, v4
	v_cndmask_b32_e32 v5, v3, v5, vcc_lo
	v_cndmask_b32_e32 v4, v1, v4, vcc_lo
	v_perm_b32 v3, v3, v2, 0x3020107
	v_perm_b32 v1, v1, v0, 0x3020107
	;; [unrolled: 1-line block ×3, first 2 shown]
	v_lshrrev_b32_e32 v14, 8, v5
	v_perm_b32 v7, 0, v4, 0xc0c0001
	v_cndmask_b32_e32 v2, v2, v3, vcc_lo
	v_cndmask_b32_e32 v0, v0, v1, vcc_lo
	v_and_or_b32 v3, 0xffff0000, v5, v13
	v_cmp_lt_u16_sdwa vcc_lo, v14, v5 src0_sel:BYTE_0 src1_sel:BYTE_0
	v_and_or_b32 v1, 0xffff0000, v4, v7
	v_and_b32_sdwa v7, v2, v6 dst_sel:DWORD dst_unused:UNUSED_PAD src0_sel:WORD_1 src1_sel:DWORD
	v_lshrrev_b32_e32 v13, 8, v2
	v_cndmask_b32_e32 v3, v5, v3, vcc_lo
	v_cndmask_b32_e32 v1, v4, v1, vcc_lo
	v_perm_b32 v4, v2, v2, 0x7050604
	v_perm_b32 v5, v0, v0, 0x7050604
	v_cmp_lt_u16_sdwa vcc_lo, v7, v13 src0_sel:DWORD src1_sel:BYTE_0
	v_lshrrev_b32_e32 v13, 16, v3
	v_lshrrev_b32_e32 v7, 16, v1
	v_cndmask_b32_e32 v0, v0, v5, vcc_lo
	v_cndmask_b32_e32 v2, v2, v4, vcc_lo
	v_perm_b32 v5, 0, v13, 0xc0c0001
	v_perm_b32 v4, 0, v7, 0xc0c0001
	v_cmp_lt_u16_sdwa s8, v3, v13 src0_sel:BYTE_3 src1_sel:BYTE_0
	v_perm_b32 v14, v0, v0, 0x7060405
	v_lshrrev_b32_e32 v7, 8, v2
	v_lshlrev_b32_e32 v5, 16, v5
	v_lshlrev_b32_e32 v4, 16, v4
	v_perm_b32 v15, v2, v2, 0x7060405
	v_cmp_lt_u16_sdwa vcc_lo, v7, v2 src0_sel:BYTE_0 src1_sel:BYTE_0
	v_and_or_b32 v5, 0xffff, v3, v5
	v_and_or_b32 v4, 0xffff, v1, v4
	v_cndmask_b32_e32 v2, v2, v15, vcc_lo
	v_cndmask_b32_e64 v3, v3, v5, s8
	v_cndmask_b32_e32 v0, v0, v14, vcc_lo
	v_cndmask_b32_e64 v1, v1, v4, s8
	v_and_b32_sdwa v5, v2, v6 dst_sel:DWORD dst_unused:UNUSED_PAD src0_sel:WORD_1 src1_sel:DWORD
	v_and_b32_sdwa v7, v3, v6 dst_sel:DWORD dst_unused:UNUSED_PAD src0_sel:WORD_1 src1_sel:DWORD
	v_lshrrev_b32_e32 v13, 8, v3
	v_perm_b32 v4, v0, v0, 0x6070504
	v_perm_b32 v14, v1, v1, 0x7050604
	v_cmp_lt_u16_sdwa vcc_lo, v2, v5 src0_sel:BYTE_3 src1_sel:DWORD
	v_perm_b32 v5, v3, v3, 0x7050604
	v_cmp_lt_u16_sdwa s8, v7, v13 src0_sel:DWORD src1_sel:BYTE_0
	v_cndmask_b32_e32 v0, v0, v4, vcc_lo
	v_perm_b32 v4, v2, v2, 0x6070504
	v_cndmask_b32_e64 v1, v1, v14, s8
	v_cndmask_b32_e64 v5, v3, v5, s8
	v_lshlrev_b16 v7, 8, v0
	v_cndmask_b32_e32 v2, v2, v4, vcc_lo
	v_and_b32_sdwa v13, v1, v6 dst_sel:DWORD dst_unused:UNUSED_PAD src0_sel:WORD_1 src1_sel:DWORD
	v_lshlrev_b16 v4, 8, v2
	v_or_b32_sdwa v3, v13, v7 dst_sel:WORD_1 dst_unused:UNUSED_PAD src0_sel:DWORD src1_sel:DWORD
	v_and_b32_sdwa v7, v5, v6 dst_sel:DWORD dst_unused:UNUSED_PAD src0_sel:WORD_1 src1_sel:DWORD
	v_perm_b32 v13, v5, v2, 0x3020107
	v_cmp_lt_u16_sdwa vcc_lo, v2, v5 src0_sel:BYTE_0 src1_sel:BYTE_3
	v_and_or_b32 v3, 0xffff, v1, v3
	v_or_b32_sdwa v7, v7, v4 dst_sel:WORD_1 dst_unused:UNUSED_PAD src0_sel:DWORD src1_sel:DWORD
	v_cndmask_b32_e32 v4, v1, v3, vcc_lo
	v_cndmask_b32_e32 v3, v2, v13, vcc_lo
	v_and_or_b32 v2, 0xffff, v5, v7
	v_perm_b32 v1, v1, v0, 0x3020107
	v_and_b32_sdwa v6, v3, v6 dst_sel:DWORD dst_unused:UNUSED_PAD src0_sel:WORD_1 src1_sel:DWORD
	v_lshrrev_b32_e32 v7, 8, v3
	v_cndmask_b32_e32 v5, v5, v2, vcc_lo
	v_cndmask_b32_e32 v1, v0, v1, vcc_lo
	v_perm_b32 v0, v4, v4, 0x3020104
	v_cmp_lt_u16_sdwa s10, v6, v7 src0_sel:DWORD src1_sel:BYTE_0
	v_perm_b32 v2, v5, v5, 0x3020104
	s_and_saveexec_b32 s8, s10
; %bb.20:
	v_perm_b32 v1, v1, v1, 0x7050604
	v_perm_b32 v3, v3, v3, 0x7050604
	;; [unrolled: 1-line block ×4, first 2 shown]
; %bb.21:
	s_or_b32 exec_lo, exec_lo, s8
.LBB107_22:
	s_or_b32 exec_lo, exec_lo, s9
	v_and_b32_e32 v4, 16, v12
	v_and_b32_e32 v12, 8, v12
	v_mad_u32_u24 v15, v11, 33, v8
	s_mov_b32 s9, 0
	s_mov_b32 s8, exec_lo
	v_min_i32_e32 v7, v10, v4
	v_min_i32_e32 v12, v10, v12
	; wave barrier
	ds_write_b64 v15, v[2:3]
	v_add_nc_u32_e32 v4, 8, v7
	; wave barrier
	v_min_i32_e32 v5, v10, v4
	v_add_nc_u32_e32 v4, 8, v5
	v_sub_nc_u32_e32 v14, v5, v7
	v_min_i32_e32 v6, v10, v4
	v_min_i32_e32 v14, v12, v14
	v_sub_nc_u32_e32 v4, v6, v5
	v_sub_nc_u32_e32 v13, v12, v4
	v_cmp_ge_i32_e32 vcc_lo, v12, v4
	v_mul_u32_u24_e32 v4, 33, v11
	v_cndmask_b32_e32 v13, 0, v13, vcc_lo
	v_cmpx_lt_i32_e64 v13, v14
	s_cbranch_execz .LBB107_26
; %bb.23:
	v_add_nc_u32_e32 v2, v4, v7
	v_add3_u32 v3, v4, v5, v12
	.p2align	6
.LBB107_24:                             ; =>This Inner Loop Header: Depth=1
	v_sub_nc_u32_e32 v11, v14, v13
	v_lshrrev_b32_e32 v11, 1, v11
	v_add_nc_u32_e32 v11, v11, v13
	v_add_nc_u32_e32 v15, v2, v11
	v_xad_u32 v16, v11, -1, v3
	v_add_nc_u32_e32 v17, 1, v11
	ds_read_u8 v15, v15
	ds_read_u8 v16, v16
	s_waitcnt lgkmcnt(0)
	v_cmp_lt_u16_e32 vcc_lo, v16, v15
	v_cndmask_b32_e32 v14, v14, v11, vcc_lo
	v_cndmask_b32_e32 v13, v17, v13, vcc_lo
	v_cmp_ge_i32_e32 vcc_lo, v13, v14
	s_or_b32 s9, vcc_lo, s9
	s_andn2_b32 exec_lo, exec_lo, s9
	s_cbranch_execnz .LBB107_24
; %bb.25:
	s_or_b32 exec_lo, exec_lo, s9
.LBB107_26:
	s_or_b32 exec_lo, exec_lo, s8
	v_add_nc_u32_e32 v3, v5, v12
	v_add_nc_u32_e32 v2, v13, v7
                                        ; implicit-def: $vgpr12
	v_sub_nc_u32_e32 v3, v3, v13
	v_add_nc_u32_e32 v13, v4, v2
	v_cmp_le_i32_e32 vcc_lo, v5, v2
	v_add_nc_u32_e32 v14, v4, v3
	v_cmp_gt_i32_e64 s8, v6, v3
	ds_read_u8 v7, v13
	ds_read_u8 v11, v14
	s_waitcnt lgkmcnt(0)
	v_cmp_lt_u16_sdwa s9, v11, v7 src0_sel:BYTE_0 src1_sel:BYTE_0
	s_or_b32 s9, vcc_lo, s9
	s_and_b32 s8, s8, s9
	s_xor_b32 s9, s8, -1
	s_and_saveexec_b32 s10, s9
	s_xor_b32 s9, exec_lo, s10
; %bb.27:
	ds_read_u8 v12, v13 offset:1
                                        ; implicit-def: $vgpr14
; %bb.28:
	s_or_saveexec_b32 s9, s9
	v_mov_b32_e32 v13, v11
	s_xor_b32 exec_lo, exec_lo, s9
	s_cbranch_execz .LBB107_30
; %bb.29:
	ds_read_u8 v13, v14 offset:1
	s_waitcnt lgkmcnt(1)
	v_mov_b32_e32 v12, v7
.LBB107_30:
	s_or_b32 exec_lo, exec_lo, s9
	v_add_nc_u32_e32 v14, 1, v2
	v_add_nc_u32_e32 v15, 1, v3
	s_waitcnt lgkmcnt(0)
	v_cmp_lt_u16_sdwa s10, v13, v12 src0_sel:BYTE_0 src1_sel:BYTE_0
                                        ; implicit-def: $vgpr16
	v_cndmask_b32_e64 v14, v14, v2, s8
	v_cndmask_b32_e64 v15, v3, v15, s8
	v_cmp_ge_i32_e32 vcc_lo, v14, v5
	v_cmp_lt_i32_e64 s9, v15, v6
	s_or_b32 s10, vcc_lo, s10
	s_and_b32 s9, s9, s10
	s_xor_b32 s10, s9, -1
	s_and_saveexec_b32 s11, s10
	s_xor_b32 s10, exec_lo, s11
; %bb.31:
	v_add_nc_u32_e32 v16, v4, v14
	ds_read_u8 v16, v16 offset:1
; %bb.32:
	s_or_saveexec_b32 s10, s10
	v_mov_b32_e32 v17, v13
	s_xor_b32 exec_lo, exec_lo, s10
	s_cbranch_execz .LBB107_34
; %bb.33:
	s_waitcnt lgkmcnt(0)
	v_add_nc_u32_e32 v16, v4, v15
	ds_read_u8 v17, v16 offset:1
	v_mov_b32_e32 v16, v12
.LBB107_34:
	s_or_b32 exec_lo, exec_lo, s10
	v_add_nc_u32_e32 v18, 1, v14
	v_add_nc_u32_e32 v19, 1, v15
	s_waitcnt lgkmcnt(0)
	v_cmp_lt_u16_sdwa s11, v17, v16 src0_sel:BYTE_0 src1_sel:BYTE_0
                                        ; implicit-def: $vgpr20
	v_cndmask_b32_e64 v18, v18, v14, s9
	v_cndmask_b32_e64 v19, v15, v19, s9
	v_cmp_ge_i32_e32 vcc_lo, v18, v5
	v_cmp_lt_i32_e64 s10, v19, v6
	s_or_b32 s11, vcc_lo, s11
	s_and_b32 s10, s10, s11
	s_xor_b32 s11, s10, -1
	s_and_saveexec_b32 s12, s11
	s_xor_b32 s11, exec_lo, s12
; %bb.35:
	v_add_nc_u32_e32 v20, v4, v18
	ds_read_u8 v20, v20 offset:1
; %bb.36:
	s_or_saveexec_b32 s11, s11
	v_mov_b32_e32 v21, v17
	s_xor_b32 exec_lo, exec_lo, s11
	s_cbranch_execz .LBB107_38
; %bb.37:
	s_waitcnt lgkmcnt(0)
	v_add_nc_u32_e32 v20, v4, v19
	ds_read_u8 v21, v20 offset:1
	v_mov_b32_e32 v20, v16
.LBB107_38:
	s_or_b32 exec_lo, exec_lo, s11
	v_add_nc_u32_e32 v22, 1, v18
	v_add_nc_u32_e32 v23, 1, v19
	s_waitcnt lgkmcnt(0)
	v_cmp_lt_u16_sdwa s12, v21, v20 src0_sel:BYTE_0 src1_sel:BYTE_0
                                        ; implicit-def: $vgpr24
	v_cndmask_b32_e64 v22, v22, v18, s10
	v_cndmask_b32_e64 v23, v19, v23, s10
	v_cmp_ge_i32_e32 vcc_lo, v22, v5
	v_cmp_lt_i32_e64 s11, v23, v6
	s_or_b32 s12, vcc_lo, s12
	s_and_b32 s11, s11, s12
	s_xor_b32 s12, s11, -1
	s_and_saveexec_b32 s13, s12
	s_xor_b32 s12, exec_lo, s13
; %bb.39:
	v_add_nc_u32_e32 v24, v4, v22
	ds_read_u8 v24, v24 offset:1
; %bb.40:
	s_or_saveexec_b32 s12, s12
	v_mov_b32_e32 v25, v21
	s_xor_b32 exec_lo, exec_lo, s12
	s_cbranch_execz .LBB107_42
; %bb.41:
	s_waitcnt lgkmcnt(0)
	v_add_nc_u32_e32 v24, v4, v23
	ds_read_u8 v25, v24 offset:1
	v_mov_b32_e32 v24, v20
.LBB107_42:
	s_or_b32 exec_lo, exec_lo, s12
	v_add_nc_u32_e32 v26, 1, v22
	v_add_nc_u32_e32 v27, 1, v23
	s_waitcnt lgkmcnt(0)
	v_cmp_lt_u16_sdwa s13, v25, v24 src0_sel:BYTE_0 src1_sel:BYTE_0
                                        ; implicit-def: $vgpr28
	v_cndmask_b32_e64 v26, v26, v22, s11
	v_cndmask_b32_e64 v27, v23, v27, s11
	v_cmp_ge_i32_e32 vcc_lo, v26, v5
	v_cmp_lt_i32_e64 s12, v27, v6
	s_or_b32 s13, vcc_lo, s13
	s_and_b32 s12, s12, s13
	s_xor_b32 s13, s12, -1
	s_and_saveexec_b32 s14, s13
	s_xor_b32 s13, exec_lo, s14
; %bb.43:
	v_add_nc_u32_e32 v28, v4, v26
	ds_read_u8 v28, v28 offset:1
; %bb.44:
	s_or_saveexec_b32 s13, s13
	v_mov_b32_e32 v29, v25
	s_xor_b32 exec_lo, exec_lo, s13
	s_cbranch_execz .LBB107_46
; %bb.45:
	s_waitcnt lgkmcnt(0)
	v_add_nc_u32_e32 v28, v4, v27
	ds_read_u8 v29, v28 offset:1
	v_mov_b32_e32 v28, v24
.LBB107_46:
	s_or_b32 exec_lo, exec_lo, s13
	v_add_nc_u32_e32 v30, 1, v26
	v_add_nc_u32_e32 v31, 1, v27
	s_waitcnt lgkmcnt(0)
	v_cmp_lt_u16_sdwa s14, v29, v28 src0_sel:BYTE_0 src1_sel:BYTE_0
                                        ; implicit-def: $vgpr32
	v_cndmask_b32_e64 v30, v30, v26, s12
	v_cndmask_b32_e64 v31, v27, v31, s12
	v_cmp_ge_i32_e32 vcc_lo, v30, v5
	v_cmp_lt_i32_e64 s13, v31, v6
	s_or_b32 s14, vcc_lo, s14
	s_and_b32 vcc_lo, s13, s14
	s_xor_b32 s13, vcc_lo, -1
	s_and_saveexec_b32 s14, s13
	s_xor_b32 s13, exec_lo, s14
; %bb.47:
	v_add_nc_u32_e32 v32, v4, v30
	ds_read_u8 v32, v32 offset:1
; %bb.48:
	s_or_saveexec_b32 s13, s13
	v_mov_b32_e32 v33, v29
	s_xor_b32 exec_lo, exec_lo, s13
	s_cbranch_execz .LBB107_50
; %bb.49:
	s_waitcnt lgkmcnt(0)
	v_add_nc_u32_e32 v32, v4, v31
	ds_read_u8 v33, v32 offset:1
	v_mov_b32_e32 v32, v28
.LBB107_50:
	s_or_b32 exec_lo, exec_lo, s13
	v_add_nc_u32_e32 v34, 1, v30
	v_add_nc_u32_e32 v36, 1, v31
	s_waitcnt lgkmcnt(0)
	v_cmp_lt_u16_sdwa s15, v33, v32 src0_sel:BYTE_0 src1_sel:BYTE_0
	v_cndmask_b32_e32 v35, v34, v30, vcc_lo
	v_cndmask_b32_e32 v36, v31, v36, vcc_lo
                                        ; implicit-def: $vgpr34
	v_cmp_ge_i32_e64 s13, v35, v5
	v_cmp_lt_i32_e64 s14, v36, v6
	s_or_b32 s13, s13, s15
	s_and_b32 s13, s14, s13
	s_xor_b32 s14, s13, -1
	s_and_saveexec_b32 s15, s14
	s_xor_b32 s14, exec_lo, s15
; %bb.51:
	v_add_nc_u32_e32 v34, v4, v35
	ds_read_u8 v34, v34 offset:1
; %bb.52:
	s_or_saveexec_b32 s14, s14
	v_mov_b32_e32 v37, v33
	s_xor_b32 exec_lo, exec_lo, s14
	s_cbranch_execz .LBB107_54
; %bb.53:
	s_waitcnt lgkmcnt(0)
	v_add_nc_u32_e32 v34, v4, v36
	ds_read_u8 v37, v34 offset:1
	v_mov_b32_e32 v34, v32
.LBB107_54:
	s_or_b32 exec_lo, exec_lo, s14
	v_add_nc_u32_e32 v38, 1, v36
	v_add_nc_u32_e32 v39, 1, v35
	v_cndmask_b32_e64 v32, v32, v33, s13
	v_cndmask_b32_sdwa v28, v28, v29, vcc_lo dst_sel:BYTE_1 dst_unused:UNUSED_PAD src0_sel:DWORD src1_sel:DWORD
	v_cndmask_b32_e32 v29, v30, v31, vcc_lo
	v_cndmask_b32_e64 v33, v36, v38, s13
	v_cndmask_b32_e64 v38, v39, v35, s13
	;; [unrolled: 1-line block ×6, first 2 shown]
	v_cmp_ge_i32_e32 vcc_lo, v38, v5
	s_waitcnt lgkmcnt(0)
	v_cmp_lt_u16_sdwa s11, v37, v34 src0_sel:BYTE_0 src1_sel:BYTE_0
	v_cmp_lt_i32_e64 s10, v33, v6
	v_cndmask_b32_e64 v6, v14, v15, s9
	v_min_i32_e32 v15, 0, v10
	v_cndmask_b32_e64 v3, v2, v3, s8
	v_add_nc_u32_e32 v2, v4, v8
	v_cndmask_b32_e64 v5, v12, v13, s9
	v_cndmask_b32_e64 v18, v7, v11, s8
	s_or_b32 s9, vcc_lo, s11
	v_add_nc_u32_e32 v11, 16, v15
	s_and_b32 vcc_lo, s10, s9
	v_cndmask_b32_e64 v24, v24, v25, s12
	v_cndmask_b32_e64 v25, v26, v27, s12
	;; [unrolled: 1-line block ×3, first 2 shown]
	v_cndmask_b32_e32 v7, v38, v33, vcc_lo
	; wave barrier
	ds_write_b64 v2, v[0:1]
	v_add_nc_u32_e32 v1, v4, v3
	v_min_i32_e32 v14, v10, v11
	v_add_nc_u32_e32 v3, v4, v6
	v_add_nc_u32_e32 v6, v4, v17
	;; [unrolled: 1-line block ×5, first 2 shown]
	; wave barrier
	v_add_nc_u32_e32 v17, v4, v35
	v_add_nc_u32_e32 v21, v4, v7
	v_lshlrev_b16 v22, 8, v5
	ds_read_u8 v1, v1
	ds_read_u8 v3, v3
	;; [unrolled: 1-line block ×8, first 2 shown]
	v_add_nc_u32_e32 v0, 16, v14
	v_cndmask_b32_e32 v19, v34, v37, vcc_lo
	v_lshlrev_b16 v17, 8, v20
	v_or_b32_sdwa v18, v18, v22 dst_sel:DWORD dst_unused:UNUSED_PAD src0_sel:BYTE_0 src1_sel:DWORD
	v_or_b32_sdwa v21, v24, v28 dst_sel:DWORD dst_unused:UNUSED_PAD src0_sel:BYTE_0 src1_sel:DWORD
	v_min_i32_e32 v0, v10, v0
	v_min_i32_e32 v10, v10, v8
	v_lshlrev_b16 v19, 8, v19
	v_or_b32_sdwa v16, v16, v17 dst_sel:WORD_1 dst_unused:UNUSED_PAD src0_sel:BYTE_0 src1_sel:DWORD
	v_sub_nc_u32_e32 v22, v14, v15
	v_sub_nc_u32_e32 v20, v0, v14
	s_mov_b32 s9, 0
	v_or_b32_sdwa v19, v32, v19 dst_sel:WORD_1 dst_unused:UNUSED_PAD src0_sel:BYTE_0 src1_sel:DWORD
	v_or_b32_sdwa v18, v18, v16 dst_sel:DWORD dst_unused:UNUSED_PAD src0_sel:WORD_0 src1_sel:DWORD
	s_mov_b32 s8, exec_lo
	v_sub_nc_u32_e32 v17, v10, v20
	v_cmp_ge_i32_e32 vcc_lo, v10, v20
	v_or_b32_sdwa v19, v21, v19 dst_sel:DWORD dst_unused:UNUSED_PAD src0_sel:WORD_0 src1_sel:DWORD
	; wave barrier
	v_cndmask_b32_e32 v16, 0, v17, vcc_lo
	v_min_i32_e32 v17, v10, v22
	ds_write_b64 v2, v[18:19]
	; wave barrier
	v_cmpx_lt_i32_e64 v16, v17
	s_cbranch_execz .LBB107_58
; %bb.55:
	v_add_nc_u32_e32 v18, v4, v15
	v_add3_u32 v19, v4, v14, v10
	.p2align	6
.LBB107_56:                             ; =>This Inner Loop Header: Depth=1
	v_sub_nc_u32_e32 v20, v17, v16
	v_lshrrev_b32_e32 v20, 1, v20
	v_add_nc_u32_e32 v20, v20, v16
	v_add_nc_u32_e32 v21, v18, v20
	v_xad_u32 v22, v20, -1, v19
	v_add_nc_u32_e32 v23, 1, v20
	ds_read_u8 v21, v21
	ds_read_u8 v22, v22
	s_waitcnt lgkmcnt(0)
	v_cmp_lt_u16_e32 vcc_lo, v22, v21
	v_cndmask_b32_e32 v17, v17, v20, vcc_lo
	v_cndmask_b32_e32 v16, v23, v16, vcc_lo
	v_cmp_ge_i32_e32 vcc_lo, v16, v17
	s_or_b32 s9, vcc_lo, s9
	s_andn2_b32 exec_lo, exec_lo, s9
	s_cbranch_execnz .LBB107_56
; %bb.57:
	s_or_b32 exec_lo, exec_lo, s9
.LBB107_58:
	s_or_b32 exec_lo, exec_lo, s8
	v_add_nc_u32_e32 v17, v14, v10
	v_add_nc_u32_e32 v10, v16, v15
                                        ; implicit-def: $vgpr20
	v_sub_nc_u32_e32 v15, v17, v16
	v_add_nc_u32_e32 v17, v4, v10
	v_cmp_le_i32_e32 vcc_lo, v14, v10
	v_add_nc_u32_e32 v16, v4, v15
	v_cmp_gt_i32_e64 s8, v0, v15
	ds_read_u8 v18, v17
	ds_read_u8 v19, v16
	s_waitcnt lgkmcnt(0)
	v_cmp_lt_u16_sdwa s9, v19, v18 src0_sel:BYTE_0 src1_sel:BYTE_0
	s_or_b32 s9, vcc_lo, s9
	s_and_b32 s8, s8, s9
	s_xor_b32 s9, s8, -1
	s_and_saveexec_b32 s10, s9
	s_xor_b32 s9, exec_lo, s10
; %bb.59:
	ds_read_u8 v20, v17 offset:1
                                        ; implicit-def: $vgpr16
; %bb.60:
	s_or_saveexec_b32 s9, s9
	v_mov_b32_e32 v21, v19
	s_xor_b32 exec_lo, exec_lo, s9
	s_cbranch_execz .LBB107_62
; %bb.61:
	ds_read_u8 v21, v16 offset:1
	s_waitcnt lgkmcnt(1)
	v_mov_b32_e32 v20, v18
.LBB107_62:
	s_or_b32 exec_lo, exec_lo, s9
	v_add_nc_u32_e32 v16, 1, v10
	v_add_nc_u32_e32 v17, 1, v15
	s_waitcnt lgkmcnt(0)
	v_cmp_lt_u16_sdwa s10, v21, v20 src0_sel:BYTE_0 src1_sel:BYTE_0
                                        ; implicit-def: $vgpr22
	v_cndmask_b32_e64 v16, v16, v10, s8
	v_cndmask_b32_e64 v17, v15, v17, s8
	v_cmp_ge_i32_e32 vcc_lo, v16, v14
	v_cmp_lt_i32_e64 s9, v17, v0
	s_or_b32 s10, vcc_lo, s10
	s_and_b32 vcc_lo, s9, s10
	s_xor_b32 s9, vcc_lo, -1
	s_and_saveexec_b32 s10, s9
	s_xor_b32 s9, exec_lo, s10
; %bb.63:
	v_add_nc_u32_e32 v22, v4, v16
	ds_read_u8 v22, v22 offset:1
; %bb.64:
	s_or_saveexec_b32 s9, s9
	v_mov_b32_e32 v23, v21
	s_xor_b32 exec_lo, exec_lo, s9
	s_cbranch_execz .LBB107_66
; %bb.65:
	s_waitcnt lgkmcnt(0)
	v_add_nc_u32_e32 v22, v4, v17
	ds_read_u8 v23, v22 offset:1
	v_mov_b32_e32 v22, v20
.LBB107_66:
	s_or_b32 exec_lo, exec_lo, s9
	v_add_nc_u32_e32 v24, 1, v16
	v_add_nc_u32_e32 v25, 1, v17
	s_waitcnt lgkmcnt(0)
	v_cmp_lt_u16_sdwa s11, v23, v22 src0_sel:BYTE_0 src1_sel:BYTE_0
                                        ; implicit-def: $vgpr26
	v_cndmask_b32_e32 v24, v24, v16, vcc_lo
	v_cndmask_b32_e32 v25, v17, v25, vcc_lo
	v_cmp_ge_i32_e64 s9, v24, v14
	v_cmp_lt_i32_e64 s10, v25, v0
	s_or_b32 s9, s9, s11
	s_and_b32 s9, s10, s9
	s_xor_b32 s10, s9, -1
	s_and_saveexec_b32 s11, s10
	s_xor_b32 s10, exec_lo, s11
; %bb.67:
	v_add_nc_u32_e32 v26, v4, v24
	ds_read_u8 v26, v26 offset:1
; %bb.68:
	s_or_saveexec_b32 s10, s10
	v_mov_b32_e32 v27, v23
	s_xor_b32 exec_lo, exec_lo, s10
	s_cbranch_execz .LBB107_70
; %bb.69:
	s_waitcnt lgkmcnt(0)
	v_add_nc_u32_e32 v26, v4, v25
	ds_read_u8 v27, v26 offset:1
	v_mov_b32_e32 v26, v22
.LBB107_70:
	s_or_b32 exec_lo, exec_lo, s10
	v_add_nc_u32_e32 v28, 1, v24
	v_add_nc_u32_e32 v29, 1, v25
	s_waitcnt lgkmcnt(0)
	v_cmp_lt_u16_sdwa s12, v27, v26 src0_sel:BYTE_0 src1_sel:BYTE_0
                                        ; implicit-def: $vgpr30
	v_cndmask_b32_e64 v28, v28, v24, s9
	v_cndmask_b32_e64 v29, v25, v29, s9
	v_cmp_ge_i32_e64 s10, v28, v14
	v_cmp_lt_i32_e64 s11, v29, v0
	s_or_b32 s10, s10, s12
	s_and_b32 s10, s11, s10
	s_xor_b32 s11, s10, -1
	s_and_saveexec_b32 s12, s11
	s_xor_b32 s11, exec_lo, s12
; %bb.71:
	v_add_nc_u32_e32 v30, v4, v28
	ds_read_u8 v30, v30 offset:1
; %bb.72:
	s_or_saveexec_b32 s11, s11
	v_mov_b32_e32 v31, v27
	s_xor_b32 exec_lo, exec_lo, s11
	s_cbranch_execz .LBB107_74
; %bb.73:
	s_waitcnt lgkmcnt(0)
	v_add_nc_u32_e32 v30, v4, v29
	ds_read_u8 v31, v30 offset:1
	v_mov_b32_e32 v30, v26
.LBB107_74:
	s_or_b32 exec_lo, exec_lo, s11
	v_add_nc_u32_e32 v32, 1, v28
	v_add_nc_u32_e32 v33, 1, v29
	s_waitcnt lgkmcnt(0)
	v_cmp_lt_u16_sdwa s13, v31, v30 src0_sel:BYTE_0 src1_sel:BYTE_0
                                        ; implicit-def: $vgpr34
	v_cndmask_b32_e64 v32, v32, v28, s10
	v_cndmask_b32_e64 v33, v29, v33, s10
	v_cmp_ge_i32_e64 s11, v32, v14
	v_cmp_lt_i32_e64 s12, v33, v0
	s_or_b32 s11, s11, s13
	s_and_b32 s11, s12, s11
	s_xor_b32 s12, s11, -1
	s_and_saveexec_b32 s13, s12
	s_xor_b32 s12, exec_lo, s13
; %bb.75:
	v_add_nc_u32_e32 v34, v4, v32
	ds_read_u8 v34, v34 offset:1
; %bb.76:
	s_or_saveexec_b32 s12, s12
	v_mov_b32_e32 v35, v31
	s_xor_b32 exec_lo, exec_lo, s12
	s_cbranch_execz .LBB107_78
; %bb.77:
	s_waitcnt lgkmcnt(0)
	v_add_nc_u32_e32 v34, v4, v33
	ds_read_u8 v35, v34 offset:1
	v_mov_b32_e32 v34, v30
.LBB107_78:
	s_or_b32 exec_lo, exec_lo, s12
	v_add_nc_u32_e32 v36, 1, v32
	v_add_nc_u32_e32 v38, 1, v33
	s_waitcnt lgkmcnt(0)
	v_cmp_lt_u16_sdwa s14, v35, v34 src0_sel:BYTE_0 src1_sel:BYTE_0
                                        ; implicit-def: $vgpr42
	v_cndmask_b32_e64 v37, v36, v32, s11
	v_cndmask_b32_e64 v38, v33, v38, s11
	v_cmp_ge_i32_e64 s12, v37, v14
	v_cmp_lt_i32_e64 s13, v38, v0
	s_or_b32 s12, s12, s14
	s_and_b32 s12, s13, s12
	s_xor_b32 s13, s12, -1
	s_and_saveexec_b32 s14, s13
	s_xor_b32 s13, exec_lo, s14
; %bb.79:
	v_add_nc_u32_e32 v36, v4, v37
	ds_read_u8 v42, v36 offset:1
; %bb.80:
	s_or_saveexec_b32 s13, s13
	v_mov_b32_e32 v44, v35
	s_xor_b32 exec_lo, exec_lo, s13
	s_cbranch_execz .LBB107_82
; %bb.81:
	v_add_nc_u32_e32 v36, v4, v38
	s_waitcnt lgkmcnt(0)
	v_mov_b32_e32 v42, v34
	ds_read_u8 v44, v36 offset:1
.LBB107_82:
	s_or_b32 exec_lo, exec_lo, s13
	v_add_nc_u32_e32 v36, 1, v37
	v_add_nc_u32_e32 v39, 1, v38
	s_waitcnt lgkmcnt(0)
	v_cmp_lt_u16_sdwa s15, v44, v42 src0_sel:BYTE_0 src1_sel:BYTE_0
                                        ; implicit-def: $vgpr41
	v_cndmask_b32_e64 v45, v36, v37, s12
	v_cndmask_b32_e64 v36, v38, v39, s12
                                        ; implicit-def: $vgpr39
	v_cmp_ge_i32_e64 s13, v45, v14
	v_cmp_lt_i32_e64 s14, v36, v0
	s_or_b32 s13, s13, s15
	s_and_b32 s13, s14, s13
	s_xor_b32 s14, s13, -1
	s_and_saveexec_b32 s15, s14
	s_xor_b32 s14, exec_lo, s15
; %bb.83:
	v_add_nc_u32_e32 v39, v4, v45
	ds_read_u8 v41, v39 offset:1
	v_add_nc_u32_e32 v39, 1, v45
; %bb.84:
	s_or_saveexec_b32 s14, s14
	v_mov_b32_e32 v40, v45
	v_mov_b32_e32 v43, v44
	s_xor_b32 exec_lo, exec_lo, s14
	s_cbranch_execz .LBB107_86
; %bb.85:
	v_add_nc_u32_e32 v39, v4, v36
	s_waitcnt lgkmcnt(0)
	v_add_nc_u32_e32 v41, 1, v36
	v_mov_b32_e32 v40, v36
	ds_read_u8 v43, v39 offset:1
	v_mov_b32_e32 v39, v45
	v_mov_b32_e32 v36, v41
	;; [unrolled: 1-line block ×3, first 2 shown]
.LBB107_86:
	s_or_b32 exec_lo, exec_lo, s14
	v_perm_b32 v7, v7, v11, 0xc0c0004
	v_perm_b32 v11, v12, v13, 0xc0c0004
	v_perm_b32 v3, v1, v3, 0xc0c0004
	v_perm_b32 v5, v5, v6, 0xc0c0004
	v_cndmask_b32_e64 v6, v10, v15, s8
	v_cndmask_b32_e64 v18, v18, v19, s8
	v_cmp_lt_i32_e64 s8, v36, v0
	v_lshl_or_b32 v1, v11, 16, v7
	v_lshl_or_b32 v0, v5, 16, v3
	v_add_nc_u32_e32 v3, v4, v6
	; wave barrier
	v_cndmask_b32_sdwa v19, v20, v21, vcc_lo dst_sel:BYTE_1 dst_unused:UNUSED_PAD src0_sel:DWORD src1_sel:DWORD
	ds_write_b64 v2, v[0:1]
	; wave barrier
	ds_read_u8 v0, v3
	v_cndmask_b32_e64 v20, v22, v23, s9
	v_cndmask_b32_e64 v21, v26, v27, s10
	v_cndmask_b32_e64 v28, v28, v29, s10
	v_cndmask_b32_e64 v24, v24, v25, s9
	v_cmp_ge_i32_e64 s9, v39, v14
	s_waitcnt lgkmcnt(2)
	v_cmp_lt_u16_sdwa s10, v43, v41 src0_sel:BYTE_0 src1_sel:BYTE_0
	v_cndmask_b32_e64 v22, v30, v31, s11
	v_cndmask_b32_e64 v30, v32, v33, s11
	v_cndmask_b32_e32 v1, v16, v17, vcc_lo
	v_cndmask_b32_e64 v27, v37, v38, s12
	s_or_b32 s9, s9, s10
	v_add_nc_u32_e32 v6, v4, v24
	s_and_b32 vcc_lo, s8, s9
	v_add_nc_u32_e32 v7, v4, v30
	v_cndmask_b32_e32 v5, v39, v36, vcc_lo
	v_add_nc_u32_e32 v1, v4, v1
	v_add_nc_u32_e32 v10, v4, v28
	v_cndmask_b32_e64 v23, v34, v35, s12
	v_cndmask_b32_e32 v2, v41, v43, vcc_lo
	v_lshlrev_b16 v3, 8, v21
	v_add_nc_u32_e32 v11, v4, v27
	v_add_nc_u32_e32 v12, v4, v40
	v_add_nc_u32_e32 v4, v4, v5
	s_waitcnt lgkmcnt(0)
	v_add_nc_u16 v0, v0, v18
	ds_read_u8 v5, v7
	ds_read_u8 v1, v1
	;; [unrolled: 1-line block ×7, first 2 shown]
	v_cndmask_b32_e64 v26, v42, v44, s13
	v_lshlrev_b16 v12, 8, v23
	v_lshlrev_b16 v2, 8, v2
	v_or_b32_sdwa v13, v18, v19 dst_sel:DWORD dst_unused:UNUSED_PAD src0_sel:BYTE_0 src1_sel:DWORD
	v_or_b32_sdwa v3, v20, v3 dst_sel:WORD_1 dst_unused:UNUSED_PAD src0_sel:BYTE_0 src1_sel:DWORD
	v_or_b32_sdwa v0, v0, v19 dst_sel:DWORD dst_unused:UNUSED_PAD src0_sel:BYTE_0 src1_sel:DWORD
	v_or_b32_sdwa v12, v22, v12 dst_sel:DWORD dst_unused:UNUSED_PAD src0_sel:BYTE_0 src1_sel:DWORD
	v_or_b32_sdwa v2, v26, v2 dst_sel:WORD_1 dst_unused:UNUSED_PAD src0_sel:BYTE_0 src1_sel:DWORD
	v_or_b32_sdwa v13, v13, v3 dst_sel:DWORD dst_unused:UNUSED_PAD src0_sel:WORD_0 src1_sel:DWORD
	v_or_b32_sdwa v0, v0, v3 dst_sel:DWORD dst_unused:UNUSED_PAD src0_sel:WORD_0 src1_sel:DWORD
	;; [unrolled: 1-line block ×3, first 2 shown]
	s_waitcnt lgkmcnt(6)
	v_add_nc_u16 v3, v12, v5
	v_cndmask_b32_e64 v0, v13, v0, s0
	v_perm_b32 v3, v3, v2, 0x3020104
	v_lshrrev_b32_e32 v5, 8, v0
	v_cndmask_b32_e64 v2, v2, v3, s4
	s_waitcnt lgkmcnt(5)
	v_add_nc_u16 v1, v5, v1
	v_mov_b32_e32 v5, 0xff
	v_lshrrev_b32_e32 v3, 8, v2
	v_lshlrev_b16 v1, 8, v1
	s_waitcnt lgkmcnt(2)
	v_add_nc_u16 v3, v3, v10
	v_or_b32_sdwa v1, v0, v1 dst_sel:DWORD dst_unused:UNUSED_PAD src0_sel:BYTE_0 src1_sel:DWORD
	v_lshlrev_b16 v3, 8, v3
	v_and_b32_e32 v1, 0xffff, v1
	v_or_b32_sdwa v3, v2, v3 dst_sel:DWORD dst_unused:UNUSED_PAD src0_sel:BYTE_0 src1_sel:DWORD
	v_and_or_b32 v1, 0xffff0000, v0, v1
	v_and_b32_e32 v3, 0xffff, v3
	v_cndmask_b32_e64 v0, v0, v1, s1
	v_and_or_b32 v1, 0xffff0000, v2, v3
	v_lshrrev_b32_e32 v3, 16, v0
	v_cndmask_b32_e64 v1, v2, v1, s5
	v_add_nc_u16 v2, v3, v6
	v_lshrrev_b32_e32 v3, 16, v1
	v_perm_b32 v2, v2, v0, 0xc0c0304
	s_waitcnt lgkmcnt(1)
	v_add_nc_u16 v3, v3, v11
	v_lshlrev_b32_e32 v2, 16, v2
	v_perm_b32 v3, v1, v3, 0x7000504
	v_and_or_b32 v2, 0xffff, v0, v2
	v_cndmask_b32_e64 v1, v1, v3, s6
	v_cndmask_b32_e64 v0, v0, v2, s2
	v_lshrrev_b32_e32 v2, 24, v1
	v_lshrrev_b32_e32 v3, 24, v0
	s_waitcnt lgkmcnt(0)
	v_add_nc_u16 v2, v2, v4
	v_and_b32_sdwa v4, v1, v5 dst_sel:DWORD dst_unused:UNUSED_PAD src0_sel:WORD_1 src1_sel:DWORD
	v_add_nc_u16 v3, v3, v7
	v_and_b32_sdwa v5, v0, v5 dst_sel:DWORD dst_unused:UNUSED_PAD src0_sel:WORD_1 src1_sel:DWORD
	v_lshlrev_b16 v2, 8, v2
	v_lshlrev_b16 v3, 8, v3
	v_or_b32_sdwa v2, v4, v2 dst_sel:WORD_1 dst_unused:UNUSED_PAD src0_sel:DWORD src1_sel:DWORD
	v_add_co_u32 v4, s8, s18, v9
	v_or_b32_sdwa v3, v5, v3 dst_sel:WORD_1 dst_unused:UNUSED_PAD src0_sel:DWORD src1_sel:DWORD
	v_add_co_ci_u32_e64 v5, null, s19, 0, s8
	v_and_or_b32 v2, 0xffff, v1, v2
	v_and_or_b32 v3, 0xffff, v0, v3
	v_cndmask_b32_e64 v2, v1, v2, s7
	v_cndmask_b32_e64 v3, v0, v3, s3
	v_add_co_u32 v0, vcc_lo, v4, v8
	v_add_co_ci_u32_e64 v1, null, 0, v5, vcc_lo
	s_and_saveexec_b32 s8, s0
	s_cbranch_execnz .LBB107_95
; %bb.87:
	s_or_b32 exec_lo, exec_lo, s8
	s_and_saveexec_b32 s0, s1
	s_cbranch_execnz .LBB107_96
.LBB107_88:
	s_or_b32 exec_lo, exec_lo, s0
	s_and_saveexec_b32 s0, s2
	s_cbranch_execnz .LBB107_97
.LBB107_89:
	s_or_b32 exec_lo, exec_lo, s0
	s_and_saveexec_b32 s0, s3
	s_cbranch_execnz .LBB107_98
.LBB107_90:
	s_or_b32 exec_lo, exec_lo, s0
	s_and_saveexec_b32 s0, s4
	s_cbranch_execnz .LBB107_99
.LBB107_91:
	s_or_b32 exec_lo, exec_lo, s0
	s_and_saveexec_b32 s0, s5
	s_cbranch_execnz .LBB107_100
.LBB107_92:
	s_or_b32 exec_lo, exec_lo, s0
	s_and_saveexec_b32 s0, s6
	s_cbranch_execnz .LBB107_101
.LBB107_93:
	s_or_b32 exec_lo, exec_lo, s0
	s_and_saveexec_b32 s0, s7
	s_cbranch_execnz .LBB107_102
.LBB107_94:
	s_endpgm
.LBB107_95:
	global_store_byte v[0:1], v3, off
	s_or_b32 exec_lo, exec_lo, s8
	s_and_saveexec_b32 s0, s1
	s_cbranch_execz .LBB107_88
.LBB107_96:
	v_lshrrev_b32_e32 v4, 8, v3
	global_store_byte v[0:1], v4, off offset:1
	s_or_b32 exec_lo, exec_lo, s0
	s_and_saveexec_b32 s0, s2
	s_cbranch_execz .LBB107_89
.LBB107_97:
	global_store_byte_d16_hi v[0:1], v3, off offset:2
	s_or_b32 exec_lo, exec_lo, s0
	s_and_saveexec_b32 s0, s3
	s_cbranch_execz .LBB107_90
.LBB107_98:
	v_lshrrev_b32_e32 v3, 24, v3
	global_store_byte v[0:1], v3, off offset:3
	s_or_b32 exec_lo, exec_lo, s0
	s_and_saveexec_b32 s0, s4
	s_cbranch_execz .LBB107_91
.LBB107_99:
	global_store_byte v[0:1], v2, off offset:4
	s_or_b32 exec_lo, exec_lo, s0
	s_and_saveexec_b32 s0, s5
	s_cbranch_execz .LBB107_92
.LBB107_100:
	v_lshrrev_b32_e32 v3, 8, v2
	global_store_byte v[0:1], v3, off offset:5
	s_or_b32 exec_lo, exec_lo, s0
	s_and_saveexec_b32 s0, s6
	s_cbranch_execz .LBB107_93
.LBB107_101:
	global_store_byte_d16_hi v[0:1], v2, off offset:6
	s_or_b32 exec_lo, exec_lo, s0
	s_and_saveexec_b32 s0, s7
	s_cbranch_execz .LBB107_94
.LBB107_102:
	v_lshrrev_b32_e32 v2, 24, v2
	global_store_byte v[0:1], v2, off offset:7
	s_endpgm
	.section	.rodata,"a",@progbits
	.p2align	6, 0x0
	.amdhsa_kernel _Z20sort_pairs_segmentedILj256ELj4ELj8EhN10test_utils4lessEEvPKT2_PS2_PKjT3_
		.amdhsa_group_segment_fixed_size 2112
		.amdhsa_private_segment_fixed_size 0
		.amdhsa_kernarg_size 28
		.amdhsa_user_sgpr_count 6
		.amdhsa_user_sgpr_private_segment_buffer 1
		.amdhsa_user_sgpr_dispatch_ptr 0
		.amdhsa_user_sgpr_queue_ptr 0
		.amdhsa_user_sgpr_kernarg_segment_ptr 1
		.amdhsa_user_sgpr_dispatch_id 0
		.amdhsa_user_sgpr_flat_scratch_init 0
		.amdhsa_user_sgpr_private_segment_size 0
		.amdhsa_wavefront_size32 1
		.amdhsa_uses_dynamic_stack 0
		.amdhsa_system_sgpr_private_segment_wavefront_offset 0
		.amdhsa_system_sgpr_workgroup_id_x 1
		.amdhsa_system_sgpr_workgroup_id_y 0
		.amdhsa_system_sgpr_workgroup_id_z 0
		.amdhsa_system_sgpr_workgroup_info 0
		.amdhsa_system_vgpr_workitem_id 0
		.amdhsa_next_free_vgpr 46
		.amdhsa_next_free_sgpr 20
		.amdhsa_reserve_vcc 1
		.amdhsa_reserve_flat_scratch 0
		.amdhsa_float_round_mode_32 0
		.amdhsa_float_round_mode_16_64 0
		.amdhsa_float_denorm_mode_32 3
		.amdhsa_float_denorm_mode_16_64 3
		.amdhsa_dx10_clamp 1
		.amdhsa_ieee_mode 1
		.amdhsa_fp16_overflow 0
		.amdhsa_workgroup_processor_mode 1
		.amdhsa_memory_ordered 1
		.amdhsa_forward_progress 1
		.amdhsa_shared_vgpr_count 0
		.amdhsa_exception_fp_ieee_invalid_op 0
		.amdhsa_exception_fp_denorm_src 0
		.amdhsa_exception_fp_ieee_div_zero 0
		.amdhsa_exception_fp_ieee_overflow 0
		.amdhsa_exception_fp_ieee_underflow 0
		.amdhsa_exception_fp_ieee_inexact 0
		.amdhsa_exception_int_div_zero 0
	.end_amdhsa_kernel
	.section	.text._Z20sort_pairs_segmentedILj256ELj4ELj8EhN10test_utils4lessEEvPKT2_PS2_PKjT3_,"axG",@progbits,_Z20sort_pairs_segmentedILj256ELj4ELj8EhN10test_utils4lessEEvPKT2_PS2_PKjT3_,comdat
.Lfunc_end107:
	.size	_Z20sort_pairs_segmentedILj256ELj4ELj8EhN10test_utils4lessEEvPKT2_PS2_PKjT3_, .Lfunc_end107-_Z20sort_pairs_segmentedILj256ELj4ELj8EhN10test_utils4lessEEvPKT2_PS2_PKjT3_
                                        ; -- End function
	.set _Z20sort_pairs_segmentedILj256ELj4ELj8EhN10test_utils4lessEEvPKT2_PS2_PKjT3_.num_vgpr, 46
	.set _Z20sort_pairs_segmentedILj256ELj4ELj8EhN10test_utils4lessEEvPKT2_PS2_PKjT3_.num_agpr, 0
	.set _Z20sort_pairs_segmentedILj256ELj4ELj8EhN10test_utils4lessEEvPKT2_PS2_PKjT3_.numbered_sgpr, 20
	.set _Z20sort_pairs_segmentedILj256ELj4ELj8EhN10test_utils4lessEEvPKT2_PS2_PKjT3_.num_named_barrier, 0
	.set _Z20sort_pairs_segmentedILj256ELj4ELj8EhN10test_utils4lessEEvPKT2_PS2_PKjT3_.private_seg_size, 0
	.set _Z20sort_pairs_segmentedILj256ELj4ELj8EhN10test_utils4lessEEvPKT2_PS2_PKjT3_.uses_vcc, 1
	.set _Z20sort_pairs_segmentedILj256ELj4ELj8EhN10test_utils4lessEEvPKT2_PS2_PKjT3_.uses_flat_scratch, 0
	.set _Z20sort_pairs_segmentedILj256ELj4ELj8EhN10test_utils4lessEEvPKT2_PS2_PKjT3_.has_dyn_sized_stack, 0
	.set _Z20sort_pairs_segmentedILj256ELj4ELj8EhN10test_utils4lessEEvPKT2_PS2_PKjT3_.has_recursion, 0
	.set _Z20sort_pairs_segmentedILj256ELj4ELj8EhN10test_utils4lessEEvPKT2_PS2_PKjT3_.has_indirect_call, 0
	.section	.AMDGPU.csdata,"",@progbits
; Kernel info:
; codeLenInByte = 6840
; TotalNumSgprs: 22
; NumVgprs: 46
; ScratchSize: 0
; MemoryBound: 0
; FloatMode: 240
; IeeeMode: 1
; LDSByteSize: 2112 bytes/workgroup (compile time only)
; SGPRBlocks: 0
; VGPRBlocks: 5
; NumSGPRsForWavesPerEU: 22
; NumVGPRsForWavesPerEU: 46
; Occupancy: 16
; WaveLimiterHint : 0
; COMPUTE_PGM_RSRC2:SCRATCH_EN: 0
; COMPUTE_PGM_RSRC2:USER_SGPR: 6
; COMPUTE_PGM_RSRC2:TRAP_HANDLER: 0
; COMPUTE_PGM_RSRC2:TGID_X_EN: 1
; COMPUTE_PGM_RSRC2:TGID_Y_EN: 0
; COMPUTE_PGM_RSRC2:TGID_Z_EN: 0
; COMPUTE_PGM_RSRC2:TIDIG_COMP_CNT: 0
	.section	.text._Z9sort_keysILj256ELj16ELj1EhN10test_utils4lessEEvPKT2_PS2_T3_,"axG",@progbits,_Z9sort_keysILj256ELj16ELj1EhN10test_utils4lessEEvPKT2_PS2_T3_,comdat
	.protected	_Z9sort_keysILj256ELj16ELj1EhN10test_utils4lessEEvPKT2_PS2_T3_ ; -- Begin function _Z9sort_keysILj256ELj16ELj1EhN10test_utils4lessEEvPKT2_PS2_T3_
	.globl	_Z9sort_keysILj256ELj16ELj1EhN10test_utils4lessEEvPKT2_PS2_T3_
	.p2align	8
	.type	_Z9sort_keysILj256ELj16ELj1EhN10test_utils4lessEEvPKT2_PS2_T3_,@function
_Z9sort_keysILj256ELj16ELj1EhN10test_utils4lessEEvPKT2_PS2_T3_: ; @_Z9sort_keysILj256ELj16ELj1EhN10test_utils4lessEEvPKT2_PS2_T3_
; %bb.0:
	s_load_dwordx4 s[0:3], s[4:5], 0x0
	s_lshl_b32 s4, s6, 8
	v_mbcnt_lo_u32_b32 v4, -1, 0
	v_lshrrev_b32_e32 v10, 4, v0
	v_mov_b32_e32 v8, 0
	v_and_b32_e32 v6, 14, v4
	v_and_b32_e32 v7, 1, v4
	;; [unrolled: 1-line block ×3, first 2 shown]
	v_or_b32_e32 v5, 1, v6
	v_mad_u32_u24 v3, v10, 17, v1
	v_sub_nc_u32_e32 v2, v5, v6
	s_waitcnt lgkmcnt(0)
	s_add_u32 s0, s0, s4
	s_addc_u32 s1, s1, 0
	v_min_i32_e32 v11, v7, v2
	global_load_ubyte v9, v0, s[0:1]
	v_mul_u32_u24_e32 v2, 17, v10
	s_mov_b32 s0, 0
	s_mov_b32 s1, exec_lo
	; wave barrier
	s_waitcnt vmcnt(0)
	ds_write_b8 v3, v9
	; wave barrier
	v_cmpx_lt_i32_e32 0, v11
	s_cbranch_execz .LBB108_4
; %bb.1:
	v_add_nc_u32_e32 v9, v2, v6
	v_mov_b32_e32 v10, 1
	v_mov_b32_e32 v8, 0
	v_add_nc_u32_e32 v11, v9, v7
	.p2align	6
.LBB108_2:                              ; =>This Inner Loop Header: Depth=1
	v_sub_nc_u32_e32 v12, v10, v8
	v_lshrrev_b32_e32 v12, 1, v12
	v_add_nc_u32_e32 v12, v12, v8
	v_add_nc_u32_e32 v13, v9, v12
	v_sub_nc_u32_e32 v14, v11, v12
	v_add_nc_u32_e32 v15, 1, v12
	ds_read_u8 v13, v13
	ds_read_u8 v14, v14
	s_waitcnt lgkmcnt(0)
	v_cmp_lt_u16_e32 vcc_lo, v14, v13
	v_cndmask_b32_e32 v10, v10, v12, vcc_lo
	v_cndmask_b32_e32 v8, v15, v8, vcc_lo
	v_cmp_ge_i32_e32 vcc_lo, v8, v10
	s_or_b32 s0, vcc_lo, s0
	s_andn2_b32 exec_lo, exec_lo, s0
	s_cbranch_execnz .LBB108_2
; %bb.3:
	s_or_b32 exec_lo, exec_lo, s0
.LBB108_4:
	s_or_b32 exec_lo, exec_lo, s1
	v_add_nc_u32_e32 v9, v6, v7
	v_add3_u32 v6, v2, v8, v6
	v_cmp_lt_i32_e32 vcc_lo, 0, v8
	v_sub_nc_u32_e32 v9, v9, v8
	v_add_nc_u32_e32 v9, v2, v9
	ds_read_u8 v10, v6
	ds_read_u8 v11, v9 offset:1
	v_add_nc_u32_e32 v9, v5, v7
	v_and_b32_e32 v6, 12, v4
	; wave barrier
	v_sub_nc_u32_e32 v9, v9, v8
	v_or_b32_e32 v7, 2, v6
	v_and_b32_e32 v8, 3, v4
	v_cmp_ge_i32_e64 s0, v5, v9
	v_sub_nc_u32_e32 v12, v7, v6
	v_sub_nc_u32_e64 v5, v8, 2 clamp
	v_min_i32_e32 v9, v8, v12
	s_waitcnt lgkmcnt(0)
	v_cmp_lt_u16_sdwa s1, v11, v10 src0_sel:BYTE_0 src1_sel:BYTE_0
	s_or_b32 s1, vcc_lo, s1
	s_and_b32 vcc_lo, s0, s1
	s_mov_b32 s0, 0
	v_cndmask_b32_e32 v10, v10, v11, vcc_lo
	s_mov_b32 s1, exec_lo
	ds_write_b8 v3, v10
	; wave barrier
	v_cmpx_lt_i32_e64 v5, v9
	s_cbranch_execz .LBB108_8
; %bb.5:
	v_add_nc_u32_e32 v10, v2, v6
	v_add_nc_u32_e32 v11, v10, v8
	.p2align	6
.LBB108_6:                              ; =>This Inner Loop Header: Depth=1
	v_sub_nc_u32_e32 v12, v9, v5
	v_lshrrev_b32_e32 v12, 1, v12
	v_add_nc_u32_e32 v12, v12, v5
	v_add_nc_u32_e32 v13, v10, v12
	v_xad_u32 v14, v12, -1, v11
	v_add_nc_u32_e32 v15, 1, v12
	ds_read_u8 v13, v13
	ds_read_u8 v14, v14 offset:2
	s_waitcnt lgkmcnt(0)
	v_cmp_lt_u16_e32 vcc_lo, v14, v13
	v_cndmask_b32_e32 v9, v9, v12, vcc_lo
	v_cndmask_b32_e32 v5, v15, v5, vcc_lo
	v_cmp_ge_i32_e32 vcc_lo, v5, v9
	s_or_b32 s0, vcc_lo, s0
	s_andn2_b32 exec_lo, exec_lo, s0
	s_cbranch_execnz .LBB108_6
; %bb.7:
	s_or_b32 exec_lo, exec_lo, s0
.LBB108_8:
	s_or_b32 exec_lo, exec_lo, s1
	v_add_nc_u32_e32 v9, v6, v8
	v_add3_u32 v10, v2, v5, v6
	v_add_nc_u32_e32 v7, v7, v8
	v_add_nc_u32_e32 v8, 4, v6
	v_cmp_lt_i32_e32 vcc_lo, 1, v5
	v_sub_nc_u32_e32 v9, v9, v5
	v_sub_nc_u32_e32 v7, v7, v5
	v_add_nc_u32_e32 v9, v2, v9
	ds_read_u8 v10, v10
	ds_read_u8 v11, v9 offset:2
	v_and_b32_e32 v9, 8, v4
	v_cmp_gt_i32_e64 s0, v8, v7
	v_and_b32_e32 v4, 7, v4
	; wave barrier
	v_or_b32_e32 v6, 4, v9
	v_sub_nc_u32_e64 v5, v4, 4 clamp
	v_sub_nc_u32_e32 v12, v6, v9
	v_min_i32_e32 v7, v4, v12
	s_waitcnt lgkmcnt(0)
	v_cmp_lt_u16_sdwa s1, v11, v10 src0_sel:BYTE_0 src1_sel:BYTE_0
	s_or_b32 s1, vcc_lo, s1
	s_and_b32 vcc_lo, s0, s1
	s_mov_b32 s0, exec_lo
	v_cndmask_b32_e32 v8, v10, v11, vcc_lo
	ds_write_b8 v3, v8
	; wave barrier
	v_cmpx_lt_i32_e64 v5, v7
	s_cbranch_execz .LBB108_12
; %bb.9:
	v_add_nc_u32_e32 v8, v2, v9
	s_mov_b32 s1, 0
	v_add_nc_u32_e32 v10, v8, v4
	.p2align	6
.LBB108_10:                             ; =>This Inner Loop Header: Depth=1
	v_sub_nc_u32_e32 v11, v7, v5
	v_lshrrev_b32_e32 v11, 1, v11
	v_add_nc_u32_e32 v11, v11, v5
	v_add_nc_u32_e32 v12, v8, v11
	v_xad_u32 v13, v11, -1, v10
	v_add_nc_u32_e32 v14, 1, v11
	ds_read_u8 v12, v12
	ds_read_u8 v13, v13 offset:4
	s_waitcnt lgkmcnt(0)
	v_cmp_lt_u16_e32 vcc_lo, v13, v12
	v_cndmask_b32_e32 v7, v7, v11, vcc_lo
	v_cndmask_b32_e32 v5, v14, v5, vcc_lo
	v_cmp_ge_i32_e32 vcc_lo, v5, v7
	s_or_b32 s1, vcc_lo, s1
	s_andn2_b32 exec_lo, exec_lo, s1
	s_cbranch_execnz .LBB108_10
; %bb.11:
	s_or_b32 exec_lo, exec_lo, s1
.LBB108_12:
	s_or_b32 exec_lo, exec_lo, s0
	v_add_nc_u32_e32 v7, v9, v4
	v_add3_u32 v8, v2, v5, v9
	v_add_nc_u32_e32 v4, v6, v4
	v_add_nc_u32_e32 v6, 8, v9
	v_cmp_lt_i32_e32 vcc_lo, 3, v5
	v_sub_nc_u32_e32 v7, v7, v5
	v_sub_nc_u32_e32 v4, v4, v5
	v_min_u32_e32 v5, 8, v1
	v_add_nc_u32_e32 v7, v2, v7
	ds_read_u8 v8, v8
	ds_read_u8 v7, v7 offset:4
	v_cmp_gt_i32_e64 s0, v6, v4
	v_sub_nc_u32_e64 v4, v1, 8 clamp
	v_add_nc_u32_e32 v6, v2, v1
	; wave barrier
	s_waitcnt lgkmcnt(0)
	v_cmp_lt_u16_sdwa s1, v7, v8 src0_sel:BYTE_0 src1_sel:BYTE_0
	s_or_b32 s1, vcc_lo, s1
	s_and_b32 vcc_lo, s0, s1
	s_mov_b32 s0, exec_lo
	v_cndmask_b32_e32 v7, v8, v7, vcc_lo
	ds_write_b8 v6, v7
	; wave barrier
	v_cmpx_lt_u32_e64 v4, v5
	s_cbranch_execz .LBB108_16
; %bb.13:
	s_mov_b32 s1, 0
	.p2align	6
.LBB108_14:                             ; =>This Inner Loop Header: Depth=1
	v_sub_nc_u32_e32 v6, v5, v4
	v_lshrrev_b32_e32 v6, 1, v6
	v_add_nc_u32_e32 v6, v6, v4
	v_add_nc_u32_e32 v7, v2, v6
	v_xad_u32 v8, v6, -1, v3
	v_add_nc_u32_e32 v9, 1, v6
	ds_read_u8 v7, v7
	ds_read_u8 v8, v8 offset:8
	s_waitcnt lgkmcnt(0)
	v_cmp_lt_u16_e32 vcc_lo, v8, v7
	v_cndmask_b32_e32 v5, v5, v6, vcc_lo
	v_cndmask_b32_e32 v4, v9, v4, vcc_lo
	v_cmp_ge_i32_e32 vcc_lo, v4, v5
	s_or_b32 s1, vcc_lo, s1
	s_andn2_b32 exec_lo, exec_lo, s1
	s_cbranch_execnz .LBB108_14
; %bb.15:
	s_or_b32 exec_lo, exec_lo, s1
.LBB108_16:
	s_or_b32 exec_lo, exec_lo, s0
	v_sub_nc_u32_e32 v1, v1, v4
	v_add_nc_u32_e32 v3, v2, v4
	v_cmp_lt_i32_e32 vcc_lo, 7, v4
	v_add_nc_u32_e32 v2, v2, v1
	v_add_nc_u32_e32 v1, 8, v1
	ds_read_u8 v3, v3
	ds_read_u8 v2, v2 offset:8
	v_cmp_gt_i32_e64 s0, 16, v1
	s_waitcnt lgkmcnt(0)
	v_cmp_lt_u16_sdwa s1, v2, v3 src0_sel:BYTE_0 src1_sel:BYTE_0
	s_or_b32 s1, vcc_lo, s1
	s_and_b32 vcc_lo, s0, s1
	s_add_u32 s0, s2, s4
	s_addc_u32 s1, s3, 0
	v_add_co_u32 v0, s0, s0, v0
	v_cndmask_b32_e32 v2, v3, v2, vcc_lo
	v_add_co_ci_u32_e64 v1, null, s1, 0, s0
	global_store_byte v[0:1], v2, off
	s_endpgm
	.section	.rodata,"a",@progbits
	.p2align	6, 0x0
	.amdhsa_kernel _Z9sort_keysILj256ELj16ELj1EhN10test_utils4lessEEvPKT2_PS2_T3_
		.amdhsa_group_segment_fixed_size 272
		.amdhsa_private_segment_fixed_size 0
		.amdhsa_kernarg_size 20
		.amdhsa_user_sgpr_count 6
		.amdhsa_user_sgpr_private_segment_buffer 1
		.amdhsa_user_sgpr_dispatch_ptr 0
		.amdhsa_user_sgpr_queue_ptr 0
		.amdhsa_user_sgpr_kernarg_segment_ptr 1
		.amdhsa_user_sgpr_dispatch_id 0
		.amdhsa_user_sgpr_flat_scratch_init 0
		.amdhsa_user_sgpr_private_segment_size 0
		.amdhsa_wavefront_size32 1
		.amdhsa_uses_dynamic_stack 0
		.amdhsa_system_sgpr_private_segment_wavefront_offset 0
		.amdhsa_system_sgpr_workgroup_id_x 1
		.amdhsa_system_sgpr_workgroup_id_y 0
		.amdhsa_system_sgpr_workgroup_id_z 0
		.amdhsa_system_sgpr_workgroup_info 0
		.amdhsa_system_vgpr_workitem_id 0
		.amdhsa_next_free_vgpr 16
		.amdhsa_next_free_sgpr 7
		.amdhsa_reserve_vcc 1
		.amdhsa_reserve_flat_scratch 0
		.amdhsa_float_round_mode_32 0
		.amdhsa_float_round_mode_16_64 0
		.amdhsa_float_denorm_mode_32 3
		.amdhsa_float_denorm_mode_16_64 3
		.amdhsa_dx10_clamp 1
		.amdhsa_ieee_mode 1
		.amdhsa_fp16_overflow 0
		.amdhsa_workgroup_processor_mode 1
		.amdhsa_memory_ordered 1
		.amdhsa_forward_progress 1
		.amdhsa_shared_vgpr_count 0
		.amdhsa_exception_fp_ieee_invalid_op 0
		.amdhsa_exception_fp_denorm_src 0
		.amdhsa_exception_fp_ieee_div_zero 0
		.amdhsa_exception_fp_ieee_overflow 0
		.amdhsa_exception_fp_ieee_underflow 0
		.amdhsa_exception_fp_ieee_inexact 0
		.amdhsa_exception_int_div_zero 0
	.end_amdhsa_kernel
	.section	.text._Z9sort_keysILj256ELj16ELj1EhN10test_utils4lessEEvPKT2_PS2_T3_,"axG",@progbits,_Z9sort_keysILj256ELj16ELj1EhN10test_utils4lessEEvPKT2_PS2_T3_,comdat
.Lfunc_end108:
	.size	_Z9sort_keysILj256ELj16ELj1EhN10test_utils4lessEEvPKT2_PS2_T3_, .Lfunc_end108-_Z9sort_keysILj256ELj16ELj1EhN10test_utils4lessEEvPKT2_PS2_T3_
                                        ; -- End function
	.set _Z9sort_keysILj256ELj16ELj1EhN10test_utils4lessEEvPKT2_PS2_T3_.num_vgpr, 16
	.set _Z9sort_keysILj256ELj16ELj1EhN10test_utils4lessEEvPKT2_PS2_T3_.num_agpr, 0
	.set _Z9sort_keysILj256ELj16ELj1EhN10test_utils4lessEEvPKT2_PS2_T3_.numbered_sgpr, 7
	.set _Z9sort_keysILj256ELj16ELj1EhN10test_utils4lessEEvPKT2_PS2_T3_.num_named_barrier, 0
	.set _Z9sort_keysILj256ELj16ELj1EhN10test_utils4lessEEvPKT2_PS2_T3_.private_seg_size, 0
	.set _Z9sort_keysILj256ELj16ELj1EhN10test_utils4lessEEvPKT2_PS2_T3_.uses_vcc, 1
	.set _Z9sort_keysILj256ELj16ELj1EhN10test_utils4lessEEvPKT2_PS2_T3_.uses_flat_scratch, 0
	.set _Z9sort_keysILj256ELj16ELj1EhN10test_utils4lessEEvPKT2_PS2_T3_.has_dyn_sized_stack, 0
	.set _Z9sort_keysILj256ELj16ELj1EhN10test_utils4lessEEvPKT2_PS2_T3_.has_recursion, 0
	.set _Z9sort_keysILj256ELj16ELj1EhN10test_utils4lessEEvPKT2_PS2_T3_.has_indirect_call, 0
	.section	.AMDGPU.csdata,"",@progbits
; Kernel info:
; codeLenInByte = 1084
; TotalNumSgprs: 9
; NumVgprs: 16
; ScratchSize: 0
; MemoryBound: 0
; FloatMode: 240
; IeeeMode: 1
; LDSByteSize: 272 bytes/workgroup (compile time only)
; SGPRBlocks: 0
; VGPRBlocks: 1
; NumSGPRsForWavesPerEU: 9
; NumVGPRsForWavesPerEU: 16
; Occupancy: 16
; WaveLimiterHint : 0
; COMPUTE_PGM_RSRC2:SCRATCH_EN: 0
; COMPUTE_PGM_RSRC2:USER_SGPR: 6
; COMPUTE_PGM_RSRC2:TRAP_HANDLER: 0
; COMPUTE_PGM_RSRC2:TGID_X_EN: 1
; COMPUTE_PGM_RSRC2:TGID_Y_EN: 0
; COMPUTE_PGM_RSRC2:TGID_Z_EN: 0
; COMPUTE_PGM_RSRC2:TIDIG_COMP_CNT: 0
	.section	.text._Z10sort_pairsILj256ELj16ELj1EhN10test_utils4lessEEvPKT2_PS2_T3_,"axG",@progbits,_Z10sort_pairsILj256ELj16ELj1EhN10test_utils4lessEEvPKT2_PS2_T3_,comdat
	.protected	_Z10sort_pairsILj256ELj16ELj1EhN10test_utils4lessEEvPKT2_PS2_T3_ ; -- Begin function _Z10sort_pairsILj256ELj16ELj1EhN10test_utils4lessEEvPKT2_PS2_T3_
	.globl	_Z10sort_pairsILj256ELj16ELj1EhN10test_utils4lessEEvPKT2_PS2_T3_
	.p2align	8
	.type	_Z10sort_pairsILj256ELj16ELj1EhN10test_utils4lessEEvPKT2_PS2_T3_,@function
_Z10sort_pairsILj256ELj16ELj1EhN10test_utils4lessEEvPKT2_PS2_T3_: ; @_Z10sort_pairsILj256ELj16ELj1EhN10test_utils4lessEEvPKT2_PS2_T3_
; %bb.0:
	s_load_dwordx4 s[0:3], s[4:5], 0x0
	s_lshl_b32 s4, s6, 8
	v_mbcnt_lo_u32_b32 v4, -1, 0
	v_lshrrev_b32_e32 v10, 4, v0
	v_mov_b32_e32 v9, 0
	v_and_b32_e32 v8, 14, v4
	v_and_b32_e32 v7, 1, v4
	;; [unrolled: 1-line block ×3, first 2 shown]
	v_or_b32_e32 v6, 1, v8
	v_mad_u32_u24 v3, v10, 17, v2
	v_sub_nc_u32_e32 v1, v6, v8
	s_waitcnt lgkmcnt(0)
	s_add_u32 s0, s0, s4
	s_addc_u32 s1, s1, 0
	v_min_i32_e32 v11, v7, v1
	global_load_ubyte v5, v0, s[0:1]
	v_mul_u32_u24_e32 v1, 17, v10
	s_mov_b32 s0, 0
	s_mov_b32 s1, exec_lo
	; wave barrier
	s_waitcnt vmcnt(0)
	ds_write_b8 v3, v5
	; wave barrier
	v_cmpx_lt_i32_e32 0, v11
	s_cbranch_execz .LBB109_4
; %bb.1:
	v_add_nc_u32_e32 v10, v1, v8
	v_mov_b32_e32 v11, 1
	v_mov_b32_e32 v9, 0
	v_add_nc_u32_e32 v12, v10, v7
	.p2align	6
.LBB109_2:                              ; =>This Inner Loop Header: Depth=1
	v_sub_nc_u32_e32 v13, v11, v9
	v_lshrrev_b32_e32 v13, 1, v13
	v_add_nc_u32_e32 v13, v13, v9
	v_add_nc_u32_e32 v14, v10, v13
	v_sub_nc_u32_e32 v15, v12, v13
	v_add_nc_u32_e32 v16, 1, v13
	ds_read_u8 v14, v14
	ds_read_u8 v15, v15
	s_waitcnt lgkmcnt(0)
	v_cmp_lt_u16_e32 vcc_lo, v15, v14
	v_cndmask_b32_e32 v11, v11, v13, vcc_lo
	v_cndmask_b32_e32 v9, v16, v9, vcc_lo
	v_cmp_ge_i32_e32 vcc_lo, v9, v11
	s_or_b32 s0, vcc_lo, s0
	s_andn2_b32 exec_lo, exec_lo, s0
	s_cbranch_execnz .LBB109_2
; %bb.3:
	s_or_b32 exec_lo, exec_lo, s0
.LBB109_4:
	s_or_b32 exec_lo, exec_lo, s1
	v_add_nc_u32_e32 v10, v8, v7
	v_add_nc_u32_e32 v8, v9, v8
	;; [unrolled: 1-line block ×3, first 2 shown]
	v_cmp_lt_i32_e32 vcc_lo, 0, v9
	v_add_nc_u16 v5, v5, 1
	v_sub_nc_u32_e32 v10, v10, v9
	v_add_nc_u32_e32 v11, v1, v8
	v_sub_nc_u32_e32 v7, v7, v9
	v_and_b32_e32 v9, 3, v4
	v_add_nc_u32_e32 v10, v1, v10
	ds_read_u8 v11, v11
	ds_read_u8 v10, v10 offset:1
	v_cmp_ge_i32_e64 s0, v6, v7
	v_and_b32_e32 v6, 12, v4
	; wave barrier
	ds_write_b8 v3, v5
	; wave barrier
	s_waitcnt lgkmcnt(1)
	v_cmp_lt_u16_sdwa s1, v10, v11 src0_sel:BYTE_0 src1_sel:BYTE_0
	s_or_b32 s1, vcc_lo, s1
	s_and_b32 vcc_lo, s0, s1
	s_mov_b32 s0, 0
	v_cndmask_b32_e32 v7, v8, v7, vcc_lo
	v_or_b32_e32 v8, 2, v6
	v_cndmask_b32_e32 v11, v11, v10, vcc_lo
	s_mov_b32 s1, exec_lo
	v_add_nc_u32_e32 v7, v1, v7
	v_sub_nc_u32_e32 v10, v8, v6
	ds_read_u8 v5, v7
	v_sub_nc_u32_e64 v7, v9, 2 clamp
	v_min_i32_e32 v10, v9, v10
	; wave barrier
	ds_write_b8 v3, v11
	; wave barrier
	v_cmpx_lt_i32_e64 v7, v10
	s_cbranch_execz .LBB109_8
; %bb.5:
	v_add_nc_u32_e32 v11, v1, v6
	v_add_nc_u32_e32 v12, v11, v9
	.p2align	6
.LBB109_6:                              ; =>This Inner Loop Header: Depth=1
	v_sub_nc_u32_e32 v13, v10, v7
	v_lshrrev_b32_e32 v13, 1, v13
	v_add_nc_u32_e32 v13, v13, v7
	v_add_nc_u32_e32 v14, v11, v13
	v_xad_u32 v15, v13, -1, v12
	v_add_nc_u32_e32 v16, 1, v13
	ds_read_u8 v14, v14
	ds_read_u8 v15, v15 offset:2
	s_waitcnt lgkmcnt(0)
	v_cmp_lt_u16_e32 vcc_lo, v15, v14
	v_cndmask_b32_e32 v10, v10, v13, vcc_lo
	v_cndmask_b32_e32 v7, v16, v7, vcc_lo
	v_cmp_ge_i32_e32 vcc_lo, v7, v10
	s_or_b32 s0, vcc_lo, s0
	s_andn2_b32 exec_lo, exec_lo, s0
	s_cbranch_execnz .LBB109_6
; %bb.7:
	s_or_b32 exec_lo, exec_lo, s0
.LBB109_8:
	s_or_b32 exec_lo, exec_lo, s1
	v_add_nc_u32_e32 v10, v6, v9
	v_add_nc_u32_e32 v11, v7, v6
	;; [unrolled: 1-line block ×4, first 2 shown]
	v_cmp_lt_i32_e32 vcc_lo, 1, v7
	v_sub_nc_u32_e32 v10, v10, v7
	v_add_nc_u32_e32 v12, v1, v11
	v_sub_nc_u32_e32 v8, v8, v7
	v_add_nc_u32_e32 v10, v1, v10
	ds_read_u8 v12, v12
	ds_read_u8 v10, v10 offset:2
	v_cmp_gt_i32_e64 s0, v6, v8
	v_and_b32_e32 v6, 8, v4
	; wave barrier
	s_waitcnt lgkmcnt(3)
	ds_write_b8 v3, v5
	; wave barrier
	s_waitcnt lgkmcnt(1)
	v_cmp_lt_u16_sdwa s1, v10, v12 src0_sel:BYTE_0 src1_sel:BYTE_0
	s_or_b32 s1, vcc_lo, s1
	s_and_b32 vcc_lo, s0, s1
	s_mov_b32 s0, exec_lo
	v_cndmask_b32_e32 v7, v11, v8, vcc_lo
	v_and_b32_e32 v8, 7, v4
	v_cndmask_b32_e32 v10, v12, v10, vcc_lo
	v_add_nc_u32_e32 v7, v1, v7
	v_sub_nc_u32_e64 v4, v8, 4 clamp
	ds_read_u8 v5, v7
	v_or_b32_e32 v7, 4, v6
	; wave barrier
	ds_write_b8 v3, v10
	v_sub_nc_u32_e32 v9, v7, v6
	; wave barrier
	v_min_i32_e32 v9, v8, v9
	v_cmpx_lt_i32_e64 v4, v9
	s_cbranch_execz .LBB109_12
; %bb.9:
	v_add_nc_u32_e32 v10, v1, v6
	s_mov_b32 s1, 0
	v_add_nc_u32_e32 v11, v10, v8
	.p2align	6
.LBB109_10:                             ; =>This Inner Loop Header: Depth=1
	v_sub_nc_u32_e32 v12, v9, v4
	v_lshrrev_b32_e32 v12, 1, v12
	v_add_nc_u32_e32 v12, v12, v4
	v_add_nc_u32_e32 v13, v10, v12
	v_xad_u32 v14, v12, -1, v11
	v_add_nc_u32_e32 v15, 1, v12
	ds_read_u8 v13, v13
	ds_read_u8 v14, v14 offset:4
	s_waitcnt lgkmcnt(0)
	v_cmp_lt_u16_e32 vcc_lo, v14, v13
	v_cndmask_b32_e32 v9, v9, v12, vcc_lo
	v_cndmask_b32_e32 v4, v15, v4, vcc_lo
	v_cmp_ge_i32_e32 vcc_lo, v4, v9
	s_or_b32 s1, vcc_lo, s1
	s_andn2_b32 exec_lo, exec_lo, s1
	s_cbranch_execnz .LBB109_10
; %bb.11:
	s_or_b32 exec_lo, exec_lo, s1
.LBB109_12:
	s_or_b32 exec_lo, exec_lo, s0
	v_add_nc_u32_e32 v9, v6, v8
	v_add_nc_u32_e32 v10, v4, v6
	;; [unrolled: 1-line block ×4, first 2 shown]
	v_cmp_lt_i32_e32 vcc_lo, 3, v4
	v_sub_nc_u32_e32 v9, v9, v4
	v_add_nc_u32_e32 v11, v1, v10
	v_sub_nc_u32_e32 v7, v7, v4
	v_add_nc_u32_e32 v4, v1, v2
	v_add_nc_u32_e32 v9, v1, v9
	ds_read_u8 v11, v11
	ds_read_u8 v9, v9 offset:4
	v_cmp_gt_i32_e64 s0, v6, v7
	; wave barrier
	s_waitcnt lgkmcnt(3)
	ds_write_b8 v4, v5
	; wave barrier
	s_waitcnt lgkmcnt(1)
	v_cmp_lt_u16_sdwa s1, v9, v11 src0_sel:BYTE_0 src1_sel:BYTE_0
	s_or_b32 s1, vcc_lo, s1
	s_and_b32 vcc_lo, s0, s1
	s_mov_b32 s0, exec_lo
	v_cndmask_b32_e32 v6, v10, v7, vcc_lo
	v_cndmask_b32_e32 v8, v11, v9, vcc_lo
	v_min_u32_e32 v7, 8, v2
	v_add_nc_u32_e32 v6, v1, v6
	ds_read_u8 v5, v6
	v_sub_nc_u32_e64 v6, v2, 8 clamp
	; wave barrier
	ds_write_b8 v4, v8
	; wave barrier
	v_cmpx_lt_u32_e64 v6, v7
	s_cbranch_execz .LBB109_16
; %bb.13:
	s_mov_b32 s1, 0
	.p2align	6
.LBB109_14:                             ; =>This Inner Loop Header: Depth=1
	v_sub_nc_u32_e32 v8, v7, v6
	v_lshrrev_b32_e32 v8, 1, v8
	v_add_nc_u32_e32 v8, v8, v6
	v_add_nc_u32_e32 v9, v1, v8
	v_xad_u32 v10, v8, -1, v3
	v_add_nc_u32_e32 v11, 1, v8
	ds_read_u8 v9, v9
	ds_read_u8 v10, v10 offset:8
	s_waitcnt lgkmcnt(0)
	v_cmp_lt_u16_e32 vcc_lo, v10, v9
	v_cndmask_b32_e32 v7, v7, v8, vcc_lo
	v_cndmask_b32_e32 v6, v11, v6, vcc_lo
	v_cmp_ge_i32_e32 vcc_lo, v6, v7
	s_or_b32 s1, vcc_lo, s1
	s_andn2_b32 exec_lo, exec_lo, s1
	s_cbranch_execnz .LBB109_14
; %bb.15:
	s_or_b32 exec_lo, exec_lo, s1
.LBB109_16:
	s_or_b32 exec_lo, exec_lo, s0
	v_sub_nc_u32_e32 v2, v2, v6
	v_add_nc_u32_e32 v3, v1, v6
	v_cmp_lt_i32_e32 vcc_lo, 7, v6
	v_add_nc_u32_e32 v7, v1, v2
	v_add_nc_u32_e32 v2, 8, v2
	ds_read_u8 v3, v3
	ds_read_u8 v7, v7 offset:8
	v_cmp_gt_i32_e64 s0, 16, v2
	; wave barrier
	s_waitcnt lgkmcnt(3)
	ds_write_b8 v4, v5
	; wave barrier
	s_waitcnt lgkmcnt(1)
	v_cmp_lt_u16_sdwa s1, v7, v3 src0_sel:BYTE_0 src1_sel:BYTE_0
	s_or_b32 s1, vcc_lo, s1
	s_and_b32 vcc_lo, s0, s1
	s_add_u32 s0, s2, s4
	v_cndmask_b32_e32 v2, v6, v2, vcc_lo
	v_cndmask_b32_e32 v3, v3, v7, vcc_lo
	s_addc_u32 s1, s3, 0
	v_add_co_u32 v0, s0, s0, v0
	v_add_nc_u32_e32 v1, v1, v2
	ds_read_u8 v1, v1
	s_waitcnt lgkmcnt(0)
	v_add_nc_u16 v2, v1, v3
	v_add_co_ci_u32_e64 v1, null, s1, 0, s0
	global_store_byte v[0:1], v2, off
	s_endpgm
	.section	.rodata,"a",@progbits
	.p2align	6, 0x0
	.amdhsa_kernel _Z10sort_pairsILj256ELj16ELj1EhN10test_utils4lessEEvPKT2_PS2_T3_
		.amdhsa_group_segment_fixed_size 272
		.amdhsa_private_segment_fixed_size 0
		.amdhsa_kernarg_size 20
		.amdhsa_user_sgpr_count 6
		.amdhsa_user_sgpr_private_segment_buffer 1
		.amdhsa_user_sgpr_dispatch_ptr 0
		.amdhsa_user_sgpr_queue_ptr 0
		.amdhsa_user_sgpr_kernarg_segment_ptr 1
		.amdhsa_user_sgpr_dispatch_id 0
		.amdhsa_user_sgpr_flat_scratch_init 0
		.amdhsa_user_sgpr_private_segment_size 0
		.amdhsa_wavefront_size32 1
		.amdhsa_uses_dynamic_stack 0
		.amdhsa_system_sgpr_private_segment_wavefront_offset 0
		.amdhsa_system_sgpr_workgroup_id_x 1
		.amdhsa_system_sgpr_workgroup_id_y 0
		.amdhsa_system_sgpr_workgroup_id_z 0
		.amdhsa_system_sgpr_workgroup_info 0
		.amdhsa_system_vgpr_workitem_id 0
		.amdhsa_next_free_vgpr 17
		.amdhsa_next_free_sgpr 7
		.amdhsa_reserve_vcc 1
		.amdhsa_reserve_flat_scratch 0
		.amdhsa_float_round_mode_32 0
		.amdhsa_float_round_mode_16_64 0
		.amdhsa_float_denorm_mode_32 3
		.amdhsa_float_denorm_mode_16_64 3
		.amdhsa_dx10_clamp 1
		.amdhsa_ieee_mode 1
		.amdhsa_fp16_overflow 0
		.amdhsa_workgroup_processor_mode 1
		.amdhsa_memory_ordered 1
		.amdhsa_forward_progress 1
		.amdhsa_shared_vgpr_count 0
		.amdhsa_exception_fp_ieee_invalid_op 0
		.amdhsa_exception_fp_denorm_src 0
		.amdhsa_exception_fp_ieee_div_zero 0
		.amdhsa_exception_fp_ieee_overflow 0
		.amdhsa_exception_fp_ieee_underflow 0
		.amdhsa_exception_fp_ieee_inexact 0
		.amdhsa_exception_int_div_zero 0
	.end_amdhsa_kernel
	.section	.text._Z10sort_pairsILj256ELj16ELj1EhN10test_utils4lessEEvPKT2_PS2_T3_,"axG",@progbits,_Z10sort_pairsILj256ELj16ELj1EhN10test_utils4lessEEvPKT2_PS2_T3_,comdat
.Lfunc_end109:
	.size	_Z10sort_pairsILj256ELj16ELj1EhN10test_utils4lessEEvPKT2_PS2_T3_, .Lfunc_end109-_Z10sort_pairsILj256ELj16ELj1EhN10test_utils4lessEEvPKT2_PS2_T3_
                                        ; -- End function
	.set _Z10sort_pairsILj256ELj16ELj1EhN10test_utils4lessEEvPKT2_PS2_T3_.num_vgpr, 17
	.set _Z10sort_pairsILj256ELj16ELj1EhN10test_utils4lessEEvPKT2_PS2_T3_.num_agpr, 0
	.set _Z10sort_pairsILj256ELj16ELj1EhN10test_utils4lessEEvPKT2_PS2_T3_.numbered_sgpr, 7
	.set _Z10sort_pairsILj256ELj16ELj1EhN10test_utils4lessEEvPKT2_PS2_T3_.num_named_barrier, 0
	.set _Z10sort_pairsILj256ELj16ELj1EhN10test_utils4lessEEvPKT2_PS2_T3_.private_seg_size, 0
	.set _Z10sort_pairsILj256ELj16ELj1EhN10test_utils4lessEEvPKT2_PS2_T3_.uses_vcc, 1
	.set _Z10sort_pairsILj256ELj16ELj1EhN10test_utils4lessEEvPKT2_PS2_T3_.uses_flat_scratch, 0
	.set _Z10sort_pairsILj256ELj16ELj1EhN10test_utils4lessEEvPKT2_PS2_T3_.has_dyn_sized_stack, 0
	.set _Z10sort_pairsILj256ELj16ELj1EhN10test_utils4lessEEvPKT2_PS2_T3_.has_recursion, 0
	.set _Z10sort_pairsILj256ELj16ELj1EhN10test_utils4lessEEvPKT2_PS2_T3_.has_indirect_call, 0
	.section	.AMDGPU.csdata,"",@progbits
; Kernel info:
; codeLenInByte = 1188
; TotalNumSgprs: 9
; NumVgprs: 17
; ScratchSize: 0
; MemoryBound: 0
; FloatMode: 240
; IeeeMode: 1
; LDSByteSize: 272 bytes/workgroup (compile time only)
; SGPRBlocks: 0
; VGPRBlocks: 2
; NumSGPRsForWavesPerEU: 9
; NumVGPRsForWavesPerEU: 17
; Occupancy: 16
; WaveLimiterHint : 0
; COMPUTE_PGM_RSRC2:SCRATCH_EN: 0
; COMPUTE_PGM_RSRC2:USER_SGPR: 6
; COMPUTE_PGM_RSRC2:TRAP_HANDLER: 0
; COMPUTE_PGM_RSRC2:TGID_X_EN: 1
; COMPUTE_PGM_RSRC2:TGID_Y_EN: 0
; COMPUTE_PGM_RSRC2:TGID_Z_EN: 0
; COMPUTE_PGM_RSRC2:TIDIG_COMP_CNT: 0
	.section	.text._Z19sort_keys_segmentedILj256ELj16ELj1EhN10test_utils4lessEEvPKT2_PS2_PKjT3_,"axG",@progbits,_Z19sort_keys_segmentedILj256ELj16ELj1EhN10test_utils4lessEEvPKT2_PS2_PKjT3_,comdat
	.protected	_Z19sort_keys_segmentedILj256ELj16ELj1EhN10test_utils4lessEEvPKT2_PS2_PKjT3_ ; -- Begin function _Z19sort_keys_segmentedILj256ELj16ELj1EhN10test_utils4lessEEvPKT2_PS2_PKjT3_
	.globl	_Z19sort_keys_segmentedILj256ELj16ELj1EhN10test_utils4lessEEvPKT2_PS2_PKjT3_
	.p2align	8
	.type	_Z19sort_keys_segmentedILj256ELj16ELj1EhN10test_utils4lessEEvPKT2_PS2_PKjT3_,@function
_Z19sort_keys_segmentedILj256ELj16ELj1EhN10test_utils4lessEEvPKT2_PS2_PKjT3_: ; @_Z19sort_keys_segmentedILj256ELj16ELj1EhN10test_utils4lessEEvPKT2_PS2_PKjT3_
; %bb.0:
	s_load_dwordx2 s[0:1], s[4:5], 0x10
	v_lshrrev_b32_e32 v3, 4, v0
	v_mov_b32_e32 v7, 0
	v_mbcnt_lo_u32_b32 v5, -1, 0
	v_lshl_or_b32 v6, s6, 4, v3
	s_load_dwordx4 s[4:7], s[4:5], 0x0
	v_lshlrev_b64 v[0:1], 2, v[6:7]
	v_lshlrev_b32_e32 v2, 4, v6
	s_waitcnt lgkmcnt(0)
	v_add_co_u32 v0, vcc_lo, s0, v0
	v_add_co_ci_u32_e64 v1, null, s1, v1, vcc_lo
	global_load_dword v4, v[0:1], off
	v_and_b32_e32 v0, 15, v5
	v_mov_b32_e32 v1, v7
	s_waitcnt vmcnt(0)
	v_cmp_ge_u32_e64 s0, v0, v4
	v_cmp_lt_u32_e32 vcc_lo, v0, v4
	s_and_saveexec_b32 s1, s0
	s_xor_b32 s0, exec_lo, s1
	s_or_saveexec_b32 s1, s0
                                        ; implicit-def: $vgpr12
	s_xor_b32 exec_lo, exec_lo, s1
	s_cbranch_execz .LBB110_2
; %bb.1:
	v_add_co_u32 v6, s0, s4, v2
	v_add_co_ci_u32_e64 v7, null, s5, 0, s0
	v_add_co_u32 v6, s0, v6, v0
	v_add_co_ci_u32_e64 v7, null, 0, v7, s0
	global_load_ubyte v12, v[6:7], off
.LBB110_2:
	s_or_b32 exec_lo, exec_lo, s1
	v_and_b32_e32 v6, 14, v5
	v_and_b32_e32 v10, 1, v5
	s_mov_b32 s2, 0
	s_mov_b32 s1, exec_lo
	v_min_i32_e32 v7, v4, v6
	v_min_i32_e32 v10, v4, v10
	; wave barrier
	v_add_nc_u32_e32 v6, 1, v7
	v_min_i32_e32 v6, v4, v6
	v_add_nc_u32_e32 v8, 1, v6
	v_sub_nc_u32_e32 v13, v6, v7
	v_min_i32_e32 v9, v4, v8
	v_sub_nc_u32_e32 v8, v9, v6
	v_sub_nc_u32_e32 v11, v10, v8
	v_cmp_ge_i32_e64 s0, v10, v8
	v_cndmask_b32_e64 v8, 0, v11, s0
	v_min_i32_e32 v11, v10, v13
	v_mad_u32_u24 v13, v3, 17, v0
	v_mul_u32_u24_e32 v3, 17, v3
	s_waitcnt vmcnt(0)
	ds_write_b8 v13, v12
	; wave barrier
	v_cmpx_lt_i32_e64 v8, v11
	s_cbranch_execz .LBB110_6
; %bb.3:
	v_add_nc_u32_e32 v12, v3, v7
	v_add3_u32 v13, v3, v6, v10
	.p2align	6
.LBB110_4:                              ; =>This Inner Loop Header: Depth=1
	v_sub_nc_u32_e32 v14, v11, v8
	v_lshrrev_b32_e32 v14, 1, v14
	v_add_nc_u32_e32 v14, v14, v8
	v_add_nc_u32_e32 v15, v12, v14
	v_xad_u32 v16, v14, -1, v13
	v_add_nc_u32_e32 v17, 1, v14
	ds_read_u8 v15, v15
	ds_read_u8 v16, v16
	s_waitcnt lgkmcnt(0)
	v_cmp_lt_u16_e64 s0, v16, v15
	v_cndmask_b32_e64 v11, v11, v14, s0
	v_cndmask_b32_e64 v8, v17, v8, s0
	v_cmp_ge_i32_e64 s0, v8, v11
	s_or_b32 s2, s0, s2
	s_andn2_b32 exec_lo, exec_lo, s2
	s_cbranch_execnz .LBB110_4
; %bb.5:
	s_or_b32 exec_lo, exec_lo, s2
.LBB110_6:
	s_or_b32 exec_lo, exec_lo, s1
	v_add_nc_u32_e32 v10, v6, v10
	v_and_b32_e32 v11, 12, v5
	v_add_nc_u32_e32 v12, v8, v7
	v_sub_nc_u32_e32 v13, v10, v8
	v_min_i32_e32 v10, v4, v11
	v_add_nc_u32_e32 v7, v3, v12
	v_cmp_le_i32_e64 s0, v6, v12
	v_add_nc_u32_e32 v6, v3, v0
	v_add_nc_u32_e32 v8, v3, v13
	v_add_nc_u32_e32 v11, 2, v10
	v_cmp_gt_i32_e64 s1, v9, v13
	ds_read_u8 v14, v7
	ds_read_u8 v15, v8
	v_min_i32_e32 v8, v4, v11
	v_and_b32_e32 v11, 3, v5
	; wave barrier
	v_add_nc_u32_e32 v7, 2, v8
	v_min_i32_e32 v11, v4, v11
	v_sub_nc_u32_e32 v12, v8, v10
	v_min_i32_e32 v7, v4, v7
	v_min_i32_e32 v12, v11, v12
	v_sub_nc_u32_e32 v16, v7, v8
	s_waitcnt lgkmcnt(0)
	v_cmp_lt_u16_sdwa s2, v15, v14 src0_sel:BYTE_0 src1_sel:BYTE_0
	v_sub_nc_u32_e32 v17, v11, v16
	s_or_b32 s2, s0, s2
	v_cmp_ge_i32_e64 s0, v11, v16
	v_cndmask_b32_e64 v9, 0, v17, s0
	s_and_b32 s0, s1, s2
	s_mov_b32 s2, 0
	v_cndmask_b32_e64 v13, v14, v15, s0
	s_mov_b32 s1, exec_lo
	ds_write_b8 v6, v13
	; wave barrier
	v_cmpx_lt_i32_e64 v9, v12
	s_cbranch_execz .LBB110_10
; %bb.7:
	v_add_nc_u32_e32 v13, v3, v10
	v_add3_u32 v14, v3, v8, v11
	.p2align	6
.LBB110_8:                              ; =>This Inner Loop Header: Depth=1
	v_sub_nc_u32_e32 v15, v12, v9
	v_lshrrev_b32_e32 v15, 1, v15
	v_add_nc_u32_e32 v15, v15, v9
	v_add_nc_u32_e32 v16, v13, v15
	v_xad_u32 v17, v15, -1, v14
	v_add_nc_u32_e32 v18, 1, v15
	ds_read_u8 v16, v16
	ds_read_u8 v17, v17
	s_waitcnt lgkmcnt(0)
	v_cmp_lt_u16_e64 s0, v17, v16
	v_cndmask_b32_e64 v12, v12, v15, s0
	v_cndmask_b32_e64 v9, v18, v9, s0
	v_cmp_ge_i32_e64 s0, v9, v12
	s_or_b32 s2, s0, s2
	s_andn2_b32 exec_lo, exec_lo, s2
	s_cbranch_execnz .LBB110_8
; %bb.9:
	s_or_b32 exec_lo, exec_lo, s2
.LBB110_10:
	s_or_b32 exec_lo, exec_lo, s1
	v_add_nc_u32_e32 v11, v8, v11
	v_and_b32_e32 v12, 8, v5
	v_add_nc_u32_e32 v13, v9, v10
	v_sub_nc_u32_e32 v14, v11, v9
	v_min_i32_e32 v10, v4, v12
	v_add_nc_u32_e32 v9, v3, v13
	v_cmp_le_i32_e64 s0, v8, v13
	v_add_nc_u32_e32 v11, v3, v14
	v_add_nc_u32_e32 v12, 4, v10
	v_cmp_gt_i32_e64 s1, v7, v14
	ds_read_u8 v15, v9
	ds_read_u8 v16, v11
	v_min_i32_e32 v9, v4, v12
	v_and_b32_e32 v12, 7, v5
	; wave barrier
	v_add_nc_u32_e32 v11, 4, v9
	v_sub_nc_u32_e32 v8, v9, v10
	v_min_i32_e32 v5, v4, v11
	v_min_i32_e32 v11, v4, v12
	v_sub_nc_u32_e32 v12, v5, v9
	v_min_i32_e32 v8, v11, v8
	s_waitcnt lgkmcnt(0)
	v_cmp_lt_u16_sdwa s2, v16, v15 src0_sel:BYTE_0 src1_sel:BYTE_0
	v_sub_nc_u32_e32 v13, v11, v12
	s_or_b32 s2, s0, s2
	v_cmp_ge_i32_e64 s0, v11, v12
	v_cndmask_b32_e64 v7, 0, v13, s0
	s_and_b32 s0, s1, s2
	s_mov_b32 s2, 0
	v_cndmask_b32_e64 v12, v15, v16, s0
	s_mov_b32 s1, exec_lo
	ds_write_b8 v6, v12
	; wave barrier
	v_cmpx_lt_i32_e64 v7, v8
	s_cbranch_execz .LBB110_14
; %bb.11:
	v_add_nc_u32_e32 v12, v3, v10
	v_add3_u32 v13, v3, v9, v11
	.p2align	6
.LBB110_12:                             ; =>This Inner Loop Header: Depth=1
	v_sub_nc_u32_e32 v14, v8, v7
	v_lshrrev_b32_e32 v14, 1, v14
	v_add_nc_u32_e32 v14, v14, v7
	v_add_nc_u32_e32 v15, v12, v14
	v_xad_u32 v16, v14, -1, v13
	v_add_nc_u32_e32 v17, 1, v14
	ds_read_u8 v15, v15
	ds_read_u8 v16, v16
	s_waitcnt lgkmcnt(0)
	v_cmp_lt_u16_e64 s0, v16, v15
	v_cndmask_b32_e64 v8, v8, v14, s0
	v_cndmask_b32_e64 v7, v17, v7, s0
	v_cmp_ge_i32_e64 s0, v7, v8
	s_or_b32 s2, s0, s2
	s_andn2_b32 exec_lo, exec_lo, s2
	s_cbranch_execnz .LBB110_12
; %bb.13:
	s_or_b32 exec_lo, exec_lo, s2
.LBB110_14:
	s_or_b32 exec_lo, exec_lo, s1
	v_add_nc_u32_e32 v8, v9, v11
	v_add_nc_u32_e32 v11, v7, v10
	v_min_i32_e32 v10, 0, v4
	v_sub_nc_u32_e32 v12, v8, v7
	v_add_nc_u32_e32 v7, v3, v11
	v_add_nc_u32_e32 v13, 8, v10
	v_cmp_le_i32_e64 s0, v9, v11
	v_add_nc_u32_e32 v8, v3, v12
	v_cmp_gt_i32_e64 s1, v5, v12
	ds_read_u8 v14, v7
	ds_read_u8 v15, v8
	v_min_i32_e32 v8, v4, v13
	; wave barrier
	v_add_nc_u32_e32 v7, 8, v8
	v_sub_nc_u32_e32 v9, v8, v10
	v_min_i32_e32 v7, v4, v7
	v_min_i32_e32 v4, v4, v0
	v_sub_nc_u32_e32 v13, v7, v8
	v_min_i32_e32 v9, v4, v9
	s_waitcnt lgkmcnt(0)
	v_cmp_lt_u16_sdwa s2, v15, v14 src0_sel:BYTE_0 src1_sel:BYTE_0
	v_sub_nc_u32_e32 v11, v4, v13
	s_or_b32 s2, s0, s2
	v_cmp_ge_i32_e64 s0, v4, v13
	v_cndmask_b32_e64 v5, 0, v11, s0
	s_and_b32 s0, s1, s2
	s_mov_b32 s1, 0
	v_cndmask_b32_e64 v11, v14, v15, s0
	s_mov_b32 s2, exec_lo
	ds_write_b8 v6, v11
	; wave barrier
	v_cmpx_lt_i32_e64 v5, v9
	s_cbranch_execnz .LBB110_17
; %bb.15:
	s_or_b32 exec_lo, exec_lo, s2
	s_and_saveexec_b32 s0, vcc_lo
	s_cbranch_execnz .LBB110_20
.LBB110_16:
	s_endpgm
.LBB110_17:
	v_add_nc_u32_e32 v6, v3, v10
	v_add3_u32 v11, v3, v8, v4
	.p2align	6
.LBB110_18:                             ; =>This Inner Loop Header: Depth=1
	v_sub_nc_u32_e32 v12, v9, v5
	v_lshrrev_b32_e32 v12, 1, v12
	v_add_nc_u32_e32 v12, v12, v5
	v_add_nc_u32_e32 v13, v6, v12
	v_xad_u32 v14, v12, -1, v11
	v_add_nc_u32_e32 v15, 1, v12
	ds_read_u8 v13, v13
	ds_read_u8 v14, v14
	s_waitcnt lgkmcnt(0)
	v_cmp_lt_u16_e64 s0, v14, v13
	v_cndmask_b32_e64 v9, v9, v12, s0
	v_cndmask_b32_e64 v5, v15, v5, s0
	v_cmp_ge_i32_e64 s0, v5, v9
	s_or_b32 s1, s0, s1
	s_andn2_b32 exec_lo, exec_lo, s1
	s_cbranch_execnz .LBB110_18
; %bb.19:
	s_or_b32 exec_lo, exec_lo, s1
	s_or_b32 exec_lo, exec_lo, s2
	s_and_saveexec_b32 s0, vcc_lo
	s_cbranch_execz .LBB110_16
.LBB110_20:
	v_add_nc_u32_e32 v4, v8, v4
	v_add_co_u32 v2, s0, s6, v2
	v_sub_nc_u32_e32 v4, v4, v5
	v_add_nc_u32_e32 v5, v5, v10
	v_add_nc_u32_e32 v6, v3, v4
	v_add_nc_u32_e32 v3, v3, v5
	v_cmp_le_i32_e32 vcc_lo, v8, v5
	v_add_co_ci_u32_e64 v5, null, s7, 0, s0
	ds_read_u8 v6, v6
	ds_read_u8 v3, v3
	v_cmp_gt_i32_e64 s0, v7, v4
	s_waitcnt lgkmcnt(0)
	v_cmp_lt_u16_sdwa s1, v6, v3 src0_sel:BYTE_0 src1_sel:BYTE_0
	s_or_b32 s1, vcc_lo, s1
	v_add_co_u32 v0, vcc_lo, v2, v0
	v_add_co_ci_u32_e64 v1, null, v5, v1, vcc_lo
	s_and_b32 vcc_lo, s0, s1
	v_cndmask_b32_e32 v2, v3, v6, vcc_lo
	global_store_byte v[0:1], v2, off
	s_endpgm
	.section	.rodata,"a",@progbits
	.p2align	6, 0x0
	.amdhsa_kernel _Z19sort_keys_segmentedILj256ELj16ELj1EhN10test_utils4lessEEvPKT2_PS2_PKjT3_
		.amdhsa_group_segment_fixed_size 272
		.amdhsa_private_segment_fixed_size 0
		.amdhsa_kernarg_size 28
		.amdhsa_user_sgpr_count 6
		.amdhsa_user_sgpr_private_segment_buffer 1
		.amdhsa_user_sgpr_dispatch_ptr 0
		.amdhsa_user_sgpr_queue_ptr 0
		.amdhsa_user_sgpr_kernarg_segment_ptr 1
		.amdhsa_user_sgpr_dispatch_id 0
		.amdhsa_user_sgpr_flat_scratch_init 0
		.amdhsa_user_sgpr_private_segment_size 0
		.amdhsa_wavefront_size32 1
		.amdhsa_uses_dynamic_stack 0
		.amdhsa_system_sgpr_private_segment_wavefront_offset 0
		.amdhsa_system_sgpr_workgroup_id_x 1
		.amdhsa_system_sgpr_workgroup_id_y 0
		.amdhsa_system_sgpr_workgroup_id_z 0
		.amdhsa_system_sgpr_workgroup_info 0
		.amdhsa_system_vgpr_workitem_id 0
		.amdhsa_next_free_vgpr 19
		.amdhsa_next_free_sgpr 8
		.amdhsa_reserve_vcc 1
		.amdhsa_reserve_flat_scratch 0
		.amdhsa_float_round_mode_32 0
		.amdhsa_float_round_mode_16_64 0
		.amdhsa_float_denorm_mode_32 3
		.amdhsa_float_denorm_mode_16_64 3
		.amdhsa_dx10_clamp 1
		.amdhsa_ieee_mode 1
		.amdhsa_fp16_overflow 0
		.amdhsa_workgroup_processor_mode 1
		.amdhsa_memory_ordered 1
		.amdhsa_forward_progress 1
		.amdhsa_shared_vgpr_count 0
		.amdhsa_exception_fp_ieee_invalid_op 0
		.amdhsa_exception_fp_denorm_src 0
		.amdhsa_exception_fp_ieee_div_zero 0
		.amdhsa_exception_fp_ieee_overflow 0
		.amdhsa_exception_fp_ieee_underflow 0
		.amdhsa_exception_fp_ieee_inexact 0
		.amdhsa_exception_int_div_zero 0
	.end_amdhsa_kernel
	.section	.text._Z19sort_keys_segmentedILj256ELj16ELj1EhN10test_utils4lessEEvPKT2_PS2_PKjT3_,"axG",@progbits,_Z19sort_keys_segmentedILj256ELj16ELj1EhN10test_utils4lessEEvPKT2_PS2_PKjT3_,comdat
.Lfunc_end110:
	.size	_Z19sort_keys_segmentedILj256ELj16ELj1EhN10test_utils4lessEEvPKT2_PS2_PKjT3_, .Lfunc_end110-_Z19sort_keys_segmentedILj256ELj16ELj1EhN10test_utils4lessEEvPKT2_PS2_PKjT3_
                                        ; -- End function
	.set _Z19sort_keys_segmentedILj256ELj16ELj1EhN10test_utils4lessEEvPKT2_PS2_PKjT3_.num_vgpr, 19
	.set _Z19sort_keys_segmentedILj256ELj16ELj1EhN10test_utils4lessEEvPKT2_PS2_PKjT3_.num_agpr, 0
	.set _Z19sort_keys_segmentedILj256ELj16ELj1EhN10test_utils4lessEEvPKT2_PS2_PKjT3_.numbered_sgpr, 8
	.set _Z19sort_keys_segmentedILj256ELj16ELj1EhN10test_utils4lessEEvPKT2_PS2_PKjT3_.num_named_barrier, 0
	.set _Z19sort_keys_segmentedILj256ELj16ELj1EhN10test_utils4lessEEvPKT2_PS2_PKjT3_.private_seg_size, 0
	.set _Z19sort_keys_segmentedILj256ELj16ELj1EhN10test_utils4lessEEvPKT2_PS2_PKjT3_.uses_vcc, 1
	.set _Z19sort_keys_segmentedILj256ELj16ELj1EhN10test_utils4lessEEvPKT2_PS2_PKjT3_.uses_flat_scratch, 0
	.set _Z19sort_keys_segmentedILj256ELj16ELj1EhN10test_utils4lessEEvPKT2_PS2_PKjT3_.has_dyn_sized_stack, 0
	.set _Z19sort_keys_segmentedILj256ELj16ELj1EhN10test_utils4lessEEvPKT2_PS2_PKjT3_.has_recursion, 0
	.set _Z19sort_keys_segmentedILj256ELj16ELj1EhN10test_utils4lessEEvPKT2_PS2_PKjT3_.has_indirect_call, 0
	.section	.AMDGPU.csdata,"",@progbits
; Kernel info:
; codeLenInByte = 1504
; TotalNumSgprs: 10
; NumVgprs: 19
; ScratchSize: 0
; MemoryBound: 0
; FloatMode: 240
; IeeeMode: 1
; LDSByteSize: 272 bytes/workgroup (compile time only)
; SGPRBlocks: 0
; VGPRBlocks: 2
; NumSGPRsForWavesPerEU: 10
; NumVGPRsForWavesPerEU: 19
; Occupancy: 16
; WaveLimiterHint : 0
; COMPUTE_PGM_RSRC2:SCRATCH_EN: 0
; COMPUTE_PGM_RSRC2:USER_SGPR: 6
; COMPUTE_PGM_RSRC2:TRAP_HANDLER: 0
; COMPUTE_PGM_RSRC2:TGID_X_EN: 1
; COMPUTE_PGM_RSRC2:TGID_Y_EN: 0
; COMPUTE_PGM_RSRC2:TGID_Z_EN: 0
; COMPUTE_PGM_RSRC2:TIDIG_COMP_CNT: 0
	.section	.text._Z20sort_pairs_segmentedILj256ELj16ELj1EhN10test_utils4lessEEvPKT2_PS2_PKjT3_,"axG",@progbits,_Z20sort_pairs_segmentedILj256ELj16ELj1EhN10test_utils4lessEEvPKT2_PS2_PKjT3_,comdat
	.protected	_Z20sort_pairs_segmentedILj256ELj16ELj1EhN10test_utils4lessEEvPKT2_PS2_PKjT3_ ; -- Begin function _Z20sort_pairs_segmentedILj256ELj16ELj1EhN10test_utils4lessEEvPKT2_PS2_PKjT3_
	.globl	_Z20sort_pairs_segmentedILj256ELj16ELj1EhN10test_utils4lessEEvPKT2_PS2_PKjT3_
	.p2align	8
	.type	_Z20sort_pairs_segmentedILj256ELj16ELj1EhN10test_utils4lessEEvPKT2_PS2_PKjT3_,@function
_Z20sort_pairs_segmentedILj256ELj16ELj1EhN10test_utils4lessEEvPKT2_PS2_PKjT3_: ; @_Z20sort_pairs_segmentedILj256ELj16ELj1EhN10test_utils4lessEEvPKT2_PS2_PKjT3_
; %bb.0:
	s_load_dwordx2 s[0:1], s[4:5], 0x10
	v_lshrrev_b32_e32 v3, 4, v0
	v_mov_b32_e32 v2, 0
	v_mbcnt_lo_u32_b32 v6, -1, 0
	v_lshl_or_b32 v1, s6, 4, v3
	s_load_dwordx4 s[4:7], s[4:5], 0x0
	v_and_b32_e32 v0, 15, v6
	v_lshlrev_b64 v[4:5], 2, v[1:2]
	v_lshlrev_b32_e32 v1, 4, v1
	s_waitcnt lgkmcnt(0)
	v_add_co_u32 v4, vcc_lo, s0, v4
	v_add_co_ci_u32_e64 v5, null, s1, v5, vcc_lo
	global_load_dword v4, v[4:5], off
	s_waitcnt vmcnt(0)
	v_cmp_ge_u32_e64 s0, v0, v4
	v_cmp_lt_u32_e32 vcc_lo, v0, v4
	s_and_saveexec_b32 s1, s0
	s_xor_b32 s0, exec_lo, s1
	s_or_saveexec_b32 s1, s0
                                        ; implicit-def: $vgpr5
	s_xor_b32 exec_lo, exec_lo, s1
	s_cbranch_execz .LBB111_2
; %bb.1:
	v_add_co_u32 v5, s0, s4, v1
	v_add_co_ci_u32_e64 v8, null, s5, 0, s0
	v_add_co_u32 v7, s0, v5, v0
	v_add_co_ci_u32_e64 v8, null, 0, v8, s0
	global_load_ubyte v5, v[7:8], off
.LBB111_2:
	s_or_b32 exec_lo, exec_lo, s1
	v_and_b32_e32 v7, 14, v6
	v_and_b32_e32 v10, 1, v6
	s_mov_b32 s2, 0
	s_mov_b32 s1, exec_lo
	v_min_i32_e32 v9, v4, v7
	v_min_i32_e32 v10, v4, v10
	; wave barrier
	v_add_nc_u32_e32 v7, 1, v9
	v_min_i32_e32 v7, v4, v7
	v_add_nc_u32_e32 v8, 1, v7
	v_sub_nc_u32_e32 v13, v7, v9
	v_min_i32_e32 v8, v4, v8
	v_sub_nc_u32_e32 v11, v8, v7
	v_sub_nc_u32_e32 v12, v10, v11
	v_cmp_ge_i32_e64 s0, v10, v11
	v_cndmask_b32_e64 v11, 0, v12, s0
	v_min_i32_e32 v12, v10, v13
	v_mad_u32_u24 v13, v3, 17, v0
	v_mul_u32_u24_e32 v3, 17, v3
	s_waitcnt vmcnt(0)
	ds_write_b8 v13, v5
	; wave barrier
	v_cmpx_lt_i32_e64 v11, v12
	s_cbranch_execz .LBB111_6
; %bb.3:
	v_add_nc_u32_e32 v13, v3, v9
	v_add3_u32 v14, v3, v7, v10
	.p2align	6
.LBB111_4:                              ; =>This Inner Loop Header: Depth=1
	v_sub_nc_u32_e32 v15, v12, v11
	v_lshrrev_b32_e32 v15, 1, v15
	v_add_nc_u32_e32 v15, v15, v11
	v_add_nc_u32_e32 v16, v13, v15
	v_xad_u32 v17, v15, -1, v14
	v_add_nc_u32_e32 v18, 1, v15
	ds_read_u8 v16, v16
	ds_read_u8 v17, v17
	s_waitcnt lgkmcnt(0)
	v_cmp_lt_u16_e64 s0, v17, v16
	v_cndmask_b32_e64 v12, v12, v15, s0
	v_cndmask_b32_e64 v11, v18, v11, s0
	v_cmp_ge_i32_e64 s0, v11, v12
	s_or_b32 s2, s0, s2
	s_andn2_b32 exec_lo, exec_lo, s2
	s_cbranch_execnz .LBB111_4
; %bb.5:
	s_or_b32 exec_lo, exec_lo, s2
.LBB111_6:
	s_or_b32 exec_lo, exec_lo, s1
	v_add_nc_u32_e32 v10, v7, v10
	v_add_nc_u32_e32 v9, v11, v9
	v_sub_nc_u32_e32 v11, v10, v11
	v_add_nc_u32_e32 v10, v3, v9
	v_cmp_le_i32_e64 s0, v7, v9
	v_add_nc_u32_e32 v12, v3, v11
	v_cmp_gt_i32_e64 s1, v8, v11
	v_add_nc_u16 v8, v5, 1
	v_add_nc_u32_e32 v5, v3, v0
	ds_read_u8 v13, v10
	ds_read_u8 v12, v12
	v_and_b32_e32 v10, 12, v6
	; wave barrier
	ds_write_b8 v5, v8
	v_and_b32_e32 v8, 3, v6
	v_min_i32_e32 v10, v4, v10
	; wave barrier
	v_add_nc_u32_e32 v14, 2, v10
	v_min_i32_e32 v7, v4, v14
	s_waitcnt lgkmcnt(1)
	v_cmp_lt_u16_sdwa s2, v12, v13 src0_sel:BYTE_0 src1_sel:BYTE_0
	v_add_nc_u32_e32 v14, 2, v7
	s_or_b32 s0, s0, s2
	s_mov_b32 s2, 0
	s_and_b32 s0, s1, s0
	s_mov_b32 s1, exec_lo
	v_cndmask_b32_e64 v11, v9, v11, s0
	v_cndmask_b32_e64 v15, v13, v12, s0
	v_min_i32_e32 v9, v4, v14
	v_sub_nc_u32_e32 v14, v7, v10
	v_add_nc_u32_e32 v12, v3, v11
	v_min_i32_e32 v11, v4, v8
	v_sub_nc_u32_e32 v13, v9, v7
	ds_read_u8 v8, v12
	v_sub_nc_u32_e32 v12, v11, v13
	v_cmp_ge_i32_e64 s0, v11, v13
	v_min_i32_e32 v13, v11, v14
	; wave barrier
	ds_write_b8 v5, v15
	v_cndmask_b32_e64 v12, 0, v12, s0
	; wave barrier
	v_cmpx_lt_i32_e64 v12, v13
	s_cbranch_execz .LBB111_10
; %bb.7:
	v_add_nc_u32_e32 v14, v3, v10
	v_add3_u32 v15, v3, v7, v11
	.p2align	6
.LBB111_8:                              ; =>This Inner Loop Header: Depth=1
	v_sub_nc_u32_e32 v16, v13, v12
	v_lshrrev_b32_e32 v16, 1, v16
	v_add_nc_u32_e32 v16, v16, v12
	v_add_nc_u32_e32 v17, v14, v16
	v_xad_u32 v18, v16, -1, v15
	v_add_nc_u32_e32 v19, 1, v16
	ds_read_u8 v17, v17
	ds_read_u8 v18, v18
	s_waitcnt lgkmcnt(0)
	v_cmp_lt_u16_e64 s0, v18, v17
	v_cndmask_b32_e64 v13, v13, v16, s0
	v_cndmask_b32_e64 v12, v19, v12, s0
	v_cmp_ge_i32_e64 s0, v12, v13
	s_or_b32 s2, s0, s2
	s_andn2_b32 exec_lo, exec_lo, s2
	s_cbranch_execnz .LBB111_8
; %bb.9:
	s_or_b32 exec_lo, exec_lo, s2
.LBB111_10:
	s_or_b32 exec_lo, exec_lo, s1
	v_add_nc_u32_e32 v11, v7, v11
	v_add_nc_u32_e32 v13, v12, v10
	v_sub_nc_u32_e32 v11, v11, v12
	v_add_nc_u32_e32 v10, v3, v13
	v_cmp_le_i32_e64 s0, v7, v13
	v_add_nc_u32_e32 v12, v3, v11
	v_cmp_gt_i32_e64 s1, v9, v11
	ds_read_u8 v14, v10
	ds_read_u8 v12, v12
	v_and_b32_e32 v10, 8, v6
	v_and_b32_e32 v6, 7, v6
	; wave barrier
	s_waitcnt lgkmcnt(3)
	ds_write_b8 v5, v8
	v_min_i32_e32 v10, v4, v10
	; wave barrier
	v_add_nc_u32_e32 v15, 4, v10
	v_min_i32_e32 v7, v4, v15
	s_waitcnt lgkmcnt(1)
	v_cmp_lt_u16_sdwa s2, v12, v14 src0_sel:BYTE_0 src1_sel:BYTE_0
	v_add_nc_u32_e32 v9, 4, v7
	s_or_b32 s0, s0, s2
	v_min_i32_e32 v8, v4, v9
	s_and_b32 s0, s1, s0
	v_min_i32_e32 v9, v4, v6
	v_cndmask_b32_e64 v11, v13, v11, s0
	v_cndmask_b32_e64 v14, v14, v12, s0
	v_sub_nc_u32_e32 v12, v8, v7
	v_sub_nc_u32_e32 v13, v7, v10
	s_mov_b32 s2, 0
	v_add_nc_u32_e32 v11, v3, v11
	s_mov_b32 s1, exec_lo
	v_cmp_ge_i32_e64 s0, v9, v12
	ds_read_u8 v6, v11
	v_sub_nc_u32_e32 v11, v9, v12
	v_min_i32_e32 v12, v9, v13
	; wave barrier
	ds_write_b8 v5, v14
	v_cndmask_b32_e64 v11, 0, v11, s0
	; wave barrier
	v_cmpx_lt_i32_e64 v11, v12
	s_cbranch_execz .LBB111_14
; %bb.11:
	v_add_nc_u32_e32 v13, v3, v10
	v_add3_u32 v14, v3, v7, v9
	.p2align	6
.LBB111_12:                             ; =>This Inner Loop Header: Depth=1
	v_sub_nc_u32_e32 v15, v12, v11
	v_lshrrev_b32_e32 v15, 1, v15
	v_add_nc_u32_e32 v15, v15, v11
	v_add_nc_u32_e32 v16, v13, v15
	v_xad_u32 v17, v15, -1, v14
	v_add_nc_u32_e32 v18, 1, v15
	ds_read_u8 v16, v16
	ds_read_u8 v17, v17
	s_waitcnt lgkmcnt(0)
	v_cmp_lt_u16_e64 s0, v17, v16
	v_cndmask_b32_e64 v12, v12, v15, s0
	v_cndmask_b32_e64 v11, v18, v11, s0
	v_cmp_ge_i32_e64 s0, v11, v12
	s_or_b32 s2, s0, s2
	s_andn2_b32 exec_lo, exec_lo, s2
	s_cbranch_execnz .LBB111_12
; %bb.13:
	s_or_b32 exec_lo, exec_lo, s2
.LBB111_14:
	s_or_b32 exec_lo, exec_lo, s1
	v_add_nc_u32_e32 v9, v7, v9
	v_add_nc_u32_e32 v10, v11, v10
	v_sub_nc_u32_e32 v11, v9, v11
	v_add_nc_u32_e32 v9, v3, v10
	v_cmp_le_i32_e64 s0, v7, v10
	v_add_nc_u32_e32 v12, v3, v11
	v_cmp_gt_i32_e64 s1, v8, v11
	ds_read_u8 v13, v9
	ds_read_u8 v12, v12
	v_min_i32_e32 v9, 0, v4
	; wave barrier
	s_waitcnt lgkmcnt(3)
	ds_write_b8 v5, v6
	v_add_nc_u32_e32 v7, 8, v9
	; wave barrier
	v_min_i32_e32 v7, v4, v7
	v_add_nc_u32_e32 v8, 8, v7
	s_waitcnt lgkmcnt(1)
	v_cmp_lt_u16_sdwa s2, v12, v13 src0_sel:BYTE_0 src1_sel:BYTE_0
	v_min_i32_e32 v6, v4, v8
	v_min_i32_e32 v8, v4, v0
	s_or_b32 s0, s0, s2
	s_mov_b32 s2, 0
	s_and_b32 s0, s1, s0
	s_mov_b32 s1, exec_lo
	v_cndmask_b32_e64 v10, v10, v11, s0
	v_sub_nc_u32_e32 v11, v6, v7
	v_cndmask_b32_e64 v12, v13, v12, s0
	v_sub_nc_u32_e32 v13, v7, v9
	v_add_nc_u32_e32 v10, v3, v10
	v_cmp_ge_i32_e64 s0, v8, v11
	ds_read_u8 v4, v10
	v_sub_nc_u32_e32 v10, v8, v11
	v_min_i32_e32 v11, v8, v13
	; wave barrier
	ds_write_b8 v5, v12
	v_cndmask_b32_e64 v10, 0, v10, s0
	; wave barrier
	v_cmpx_lt_i32_e64 v10, v11
	s_cbranch_execz .LBB111_18
; %bb.15:
	v_add_nc_u32_e32 v12, v3, v9
	v_add3_u32 v13, v3, v7, v8
	.p2align	6
.LBB111_16:                             ; =>This Inner Loop Header: Depth=1
	v_sub_nc_u32_e32 v14, v11, v10
	v_lshrrev_b32_e32 v14, 1, v14
	v_add_nc_u32_e32 v14, v14, v10
	v_add_nc_u32_e32 v15, v12, v14
	v_xad_u32 v16, v14, -1, v13
	v_add_nc_u32_e32 v17, 1, v14
	ds_read_u8 v15, v15
	ds_read_u8 v16, v16
	s_waitcnt lgkmcnt(0)
	v_cmp_lt_u16_e64 s0, v16, v15
	v_cndmask_b32_e64 v11, v11, v14, s0
	v_cndmask_b32_e64 v10, v17, v10, s0
	v_cmp_ge_i32_e64 s0, v10, v11
	s_or_b32 s2, s0, s2
	s_andn2_b32 exec_lo, exec_lo, s2
	s_cbranch_execnz .LBB111_16
; %bb.17:
	s_or_b32 exec_lo, exec_lo, s2
.LBB111_18:
	s_or_b32 exec_lo, exec_lo, s1
	v_add_nc_u32_e32 v11, v7, v8
	v_add_nc_u32_e32 v8, v10, v9
	v_sub_nc_u32_e32 v9, v11, v10
	v_add_nc_u32_e32 v10, v3, v8
	v_add_nc_u32_e32 v11, v3, v9
	ds_read_u8 v10, v10
	ds_read_u8 v11, v11
	; wave barrier
	s_waitcnt lgkmcnt(3)
	ds_write_b8 v5, v4
	; wave barrier
	s_and_saveexec_b32 s0, vcc_lo
	s_cbranch_execz .LBB111_20
; %bb.19:
	v_cmp_le_i32_e32 vcc_lo, v7, v8
	s_waitcnt lgkmcnt(1)
	v_cmp_lt_u16_sdwa s1, v11, v10 src0_sel:BYTE_0 src1_sel:BYTE_0
	v_cmp_gt_i32_e64 s0, v6, v9
	s_or_b32 s1, vcc_lo, s1
	s_and_b32 vcc_lo, s0, s1
	v_add_co_u32 v1, s0, s6, v1
	v_cndmask_b32_e32 v5, v8, v9, vcc_lo
	v_cndmask_b32_e32 v4, v10, v11, vcc_lo
	v_add_co_u32 v0, vcc_lo, v1, v0
	v_add_nc_u32_e32 v3, v3, v5
	v_add_co_ci_u32_e64 v5, null, s7, 0, s0
	ds_read_u8 v3, v3
	v_add_co_ci_u32_e64 v1, null, v5, v2, vcc_lo
	s_waitcnt lgkmcnt(0)
	v_add_nc_u16 v3, v3, v4
	global_store_byte v[0:1], v3, off
.LBB111_20:
	s_endpgm
	.section	.rodata,"a",@progbits
	.p2align	6, 0x0
	.amdhsa_kernel _Z20sort_pairs_segmentedILj256ELj16ELj1EhN10test_utils4lessEEvPKT2_PS2_PKjT3_
		.amdhsa_group_segment_fixed_size 272
		.amdhsa_private_segment_fixed_size 0
		.amdhsa_kernarg_size 28
		.amdhsa_user_sgpr_count 6
		.amdhsa_user_sgpr_private_segment_buffer 1
		.amdhsa_user_sgpr_dispatch_ptr 0
		.amdhsa_user_sgpr_queue_ptr 0
		.amdhsa_user_sgpr_kernarg_segment_ptr 1
		.amdhsa_user_sgpr_dispatch_id 0
		.amdhsa_user_sgpr_flat_scratch_init 0
		.amdhsa_user_sgpr_private_segment_size 0
		.amdhsa_wavefront_size32 1
		.amdhsa_uses_dynamic_stack 0
		.amdhsa_system_sgpr_private_segment_wavefront_offset 0
		.amdhsa_system_sgpr_workgroup_id_x 1
		.amdhsa_system_sgpr_workgroup_id_y 0
		.amdhsa_system_sgpr_workgroup_id_z 0
		.amdhsa_system_sgpr_workgroup_info 0
		.amdhsa_system_vgpr_workitem_id 0
		.amdhsa_next_free_vgpr 20
		.amdhsa_next_free_sgpr 8
		.amdhsa_reserve_vcc 1
		.amdhsa_reserve_flat_scratch 0
		.amdhsa_float_round_mode_32 0
		.amdhsa_float_round_mode_16_64 0
		.amdhsa_float_denorm_mode_32 3
		.amdhsa_float_denorm_mode_16_64 3
		.amdhsa_dx10_clamp 1
		.amdhsa_ieee_mode 1
		.amdhsa_fp16_overflow 0
		.amdhsa_workgroup_processor_mode 1
		.amdhsa_memory_ordered 1
		.amdhsa_forward_progress 1
		.amdhsa_shared_vgpr_count 0
		.amdhsa_exception_fp_ieee_invalid_op 0
		.amdhsa_exception_fp_denorm_src 0
		.amdhsa_exception_fp_ieee_div_zero 0
		.amdhsa_exception_fp_ieee_overflow 0
		.amdhsa_exception_fp_ieee_underflow 0
		.amdhsa_exception_fp_ieee_inexact 0
		.amdhsa_exception_int_div_zero 0
	.end_amdhsa_kernel
	.section	.text._Z20sort_pairs_segmentedILj256ELj16ELj1EhN10test_utils4lessEEvPKT2_PS2_PKjT3_,"axG",@progbits,_Z20sort_pairs_segmentedILj256ELj16ELj1EhN10test_utils4lessEEvPKT2_PS2_PKjT3_,comdat
.Lfunc_end111:
	.size	_Z20sort_pairs_segmentedILj256ELj16ELj1EhN10test_utils4lessEEvPKT2_PS2_PKjT3_, .Lfunc_end111-_Z20sort_pairs_segmentedILj256ELj16ELj1EhN10test_utils4lessEEvPKT2_PS2_PKjT3_
                                        ; -- End function
	.set _Z20sort_pairs_segmentedILj256ELj16ELj1EhN10test_utils4lessEEvPKT2_PS2_PKjT3_.num_vgpr, 20
	.set _Z20sort_pairs_segmentedILj256ELj16ELj1EhN10test_utils4lessEEvPKT2_PS2_PKjT3_.num_agpr, 0
	.set _Z20sort_pairs_segmentedILj256ELj16ELj1EhN10test_utils4lessEEvPKT2_PS2_PKjT3_.numbered_sgpr, 8
	.set _Z20sort_pairs_segmentedILj256ELj16ELj1EhN10test_utils4lessEEvPKT2_PS2_PKjT3_.num_named_barrier, 0
	.set _Z20sort_pairs_segmentedILj256ELj16ELj1EhN10test_utils4lessEEvPKT2_PS2_PKjT3_.private_seg_size, 0
	.set _Z20sort_pairs_segmentedILj256ELj16ELj1EhN10test_utils4lessEEvPKT2_PS2_PKjT3_.uses_vcc, 1
	.set _Z20sort_pairs_segmentedILj256ELj16ELj1EhN10test_utils4lessEEvPKT2_PS2_PKjT3_.uses_flat_scratch, 0
	.set _Z20sort_pairs_segmentedILj256ELj16ELj1EhN10test_utils4lessEEvPKT2_PS2_PKjT3_.has_dyn_sized_stack, 0
	.set _Z20sort_pairs_segmentedILj256ELj16ELj1EhN10test_utils4lessEEvPKT2_PS2_PKjT3_.has_recursion, 0
	.set _Z20sort_pairs_segmentedILj256ELj16ELj1EhN10test_utils4lessEEvPKT2_PS2_PKjT3_.has_indirect_call, 0
	.section	.AMDGPU.csdata,"",@progbits
; Kernel info:
; codeLenInByte = 1608
; TotalNumSgprs: 10
; NumVgprs: 20
; ScratchSize: 0
; MemoryBound: 0
; FloatMode: 240
; IeeeMode: 1
; LDSByteSize: 272 bytes/workgroup (compile time only)
; SGPRBlocks: 0
; VGPRBlocks: 2
; NumSGPRsForWavesPerEU: 10
; NumVGPRsForWavesPerEU: 20
; Occupancy: 16
; WaveLimiterHint : 0
; COMPUTE_PGM_RSRC2:SCRATCH_EN: 0
; COMPUTE_PGM_RSRC2:USER_SGPR: 6
; COMPUTE_PGM_RSRC2:TRAP_HANDLER: 0
; COMPUTE_PGM_RSRC2:TGID_X_EN: 1
; COMPUTE_PGM_RSRC2:TGID_Y_EN: 0
; COMPUTE_PGM_RSRC2:TGID_Z_EN: 0
; COMPUTE_PGM_RSRC2:TIDIG_COMP_CNT: 0
	.section	.text._Z9sort_keysILj256ELj16ELj4EhN10test_utils4lessEEvPKT2_PS2_T3_,"axG",@progbits,_Z9sort_keysILj256ELj16ELj4EhN10test_utils4lessEEvPKT2_PS2_T3_,comdat
	.protected	_Z9sort_keysILj256ELj16ELj4EhN10test_utils4lessEEvPKT2_PS2_T3_ ; -- Begin function _Z9sort_keysILj256ELj16ELj4EhN10test_utils4lessEEvPKT2_PS2_T3_
	.globl	_Z9sort_keysILj256ELj16ELj4EhN10test_utils4lessEEvPKT2_PS2_T3_
	.p2align	8
	.type	_Z9sort_keysILj256ELj16ELj4EhN10test_utils4lessEEvPKT2_PS2_T3_,@function
_Z9sort_keysILj256ELj16ELj4EhN10test_utils4lessEEvPKT2_PS2_T3_: ; @_Z9sort_keysILj256ELj16ELj4EhN10test_utils4lessEEvPKT2_PS2_T3_
; %bb.0:
	s_load_dwordx4 s[8:11], s[4:5], 0x0
	s_lshl_b32 s3, s6, 10
	v_lshlrev_b32_e32 v1, 2, v0
	v_mov_b32_e32 v8, 0xffffff00
	v_lshrrev_b32_e32 v0, 4, v0
	s_waitcnt lgkmcnt(0)
	s_add_u32 s0, s8, s3
	s_addc_u32 s1, s9, 0
	global_load_dword v2, v1, s[0:1]
	s_mov_b32 s1, exec_lo
	; wave barrier
	s_waitcnt vmcnt(0)
	v_lshrrev_b32_e32 v3, 8, v2
	v_and_b32_e32 v4, 0xff, v2
	v_perm_b32 v5, v2, v2, 0x7060405
	v_and_b32_e32 v3, 0xff, v3
	v_cmp_lt_u16_e32 vcc_lo, v3, v4
	v_min_u16 v10, v3, v4
	v_max_u16 v3, v3, v4
	v_cndmask_b32_e32 v2, v2, v5, vcc_lo
	v_lshlrev_b16 v11, 8, v10
	v_lshrrev_b32_e32 v5, 16, v2
	v_lshrrev_b32_e32 v7, 24, v2
	v_perm_b32 v6, 0, v5, 0xc0c0001
	v_and_b32_e32 v5, 0xff, v5
	v_lshlrev_b32_e32 v6, 16, v6
	v_cmp_lt_u16_e32 vcc_lo, v7, v5
	v_min_u16 v9, v7, v5
	v_max_u16 v5, v7, v5
	v_and_or_b32 v6, 0xffff, v2, v6
	v_lshlrev_b16 v4, 8, v9
	v_min_u16 v12, v9, v3
	v_cmp_gt_u16_e64 s0, v3, v5
	v_cndmask_b32_e32 v2, v2, v6, vcc_lo
	v_cmp_lt_u16_e32 vcc_lo, v9, v3
	v_or_b32_e32 v11, v12, v11
	v_and_b32_sdwa v6, v2, v8 dst_sel:DWORD dst_unused:UNUSED_PAD src0_sel:WORD_1 src1_sel:DWORD
	v_or_b32_sdwa v4, v2, v4 dst_sel:DWORD dst_unused:UNUSED_PAD src0_sel:BYTE_0 src1_sel:DWORD
	v_and_b32_e32 v11, 0xffff, v11
	v_or_b32_sdwa v6, v3, v6 dst_sel:WORD_1 dst_unused:UNUSED_PAD src0_sel:DWORD src1_sel:DWORD
	v_or_b32_sdwa v4, v4, v6 dst_sel:DWORD dst_unused:UNUSED_PAD src0_sel:WORD_0 src1_sel:DWORD
	v_max_u16 v6, v9, v3
	v_cndmask_b32_e32 v2, v2, v4, vcc_lo
	v_lshlrev_b16 v4, 8, v6
	v_cmp_lt_u16_e32 vcc_lo, v9, v10
	v_cndmask_b32_e64 v13, v6, v5, s0
	v_and_or_b32 v7, 0xffff0000, v2, v11
	v_or_b32_sdwa v4, v5, v4 dst_sel:WORD_1 dst_unused:UNUSED_PAD src0_sel:DWORD src1_sel:DWORD
	v_cndmask_b32_e32 v12, v12, v10, vcc_lo
	v_lshlrev_b16 v3, 8, v13
	v_mov_b32_e32 v10, 0
	v_cndmask_b32_e32 v2, v2, v7, vcc_lo
	v_mbcnt_lo_u32_b32 v7, -1, 0
	v_cmp_lt_u16_e32 vcc_lo, v13, v12
	v_and_or_b32 v9, 0xffff, v2, v4
	v_lshlrev_b32_e32 v4, 2, v7
	v_cndmask_b32_e64 v11, v2, v9, s0
	v_and_b32_e32 v6, 56, v4
	v_and_b32_e32 v9, 4, v4
	s_mov_b32 s0, 0
	v_and_b32_sdwa v2, v11, v8 dst_sel:DWORD dst_unused:UNUSED_PAD src0_sel:WORD_1 src1_sel:DWORD
	v_or_b32_e32 v5, 4, v6
	v_or_b32_sdwa v3, v11, v3 dst_sel:DWORD dst_unused:UNUSED_PAD src0_sel:BYTE_0 src1_sel:DWORD
	v_or_b32_sdwa v7, v12, v2 dst_sel:WORD_1 dst_unused:UNUSED_PAD src0_sel:DWORD src1_sel:DWORD
	v_and_b32_e32 v2, 60, v4
	v_sub_nc_u32_e32 v8, v5, v6
	v_or_b32_sdwa v14, v3, v7 dst_sel:DWORD dst_unused:UNUSED_PAD src0_sel:WORD_0 src1_sel:DWORD
	v_mad_u32_u24 v3, 0x41, v0, v2
	v_min_i32_e32 v7, v9, v8
	v_mul_u32_u24_e32 v0, 0x41, v0
	v_cndmask_b32_e32 v8, v11, v14, vcc_lo
	ds_write_b32 v3, v8
	; wave barrier
	v_cmpx_lt_i32_e32 0, v7
	s_cbranch_execz .LBB112_4
; %bb.1:
	v_add_nc_u32_e32 v8, v0, v6
	v_mov_b32_e32 v10, 0
	v_add_nc_u32_e32 v11, v8, v9
	.p2align	6
.LBB112_2:                              ; =>This Inner Loop Header: Depth=1
	v_sub_nc_u32_e32 v12, v7, v10
	v_lshrrev_b32_e32 v12, 1, v12
	v_add_nc_u32_e32 v12, v12, v10
	v_add_nc_u32_e32 v13, v8, v12
	v_xad_u32 v14, v12, -1, v11
	v_add_nc_u32_e32 v15, 1, v12
	ds_read_u8 v13, v13
	ds_read_u8 v14, v14 offset:4
	s_waitcnt lgkmcnt(0)
	v_cmp_lt_u16_e32 vcc_lo, v14, v13
	v_cndmask_b32_e32 v7, v7, v12, vcc_lo
	v_cndmask_b32_e32 v10, v15, v10, vcc_lo
	v_cmp_ge_i32_e32 vcc_lo, v10, v7
	s_or_b32 s0, vcc_lo, s0
	s_andn2_b32 exec_lo, exec_lo, s0
	s_cbranch_execnz .LBB112_2
; %bb.3:
	s_or_b32 exec_lo, exec_lo, s0
.LBB112_4:
	s_or_b32 exec_lo, exec_lo, s1
	v_add_nc_u32_e32 v7, v6, v9
	v_add_nc_u32_e32 v11, v10, v6
	;; [unrolled: 1-line block ×4, first 2 shown]
	v_cmp_lt_i32_e32 vcc_lo, 3, v10
	v_sub_nc_u32_e32 v7, v7, v10
	v_add_nc_u32_e32 v14, v0, v11
	v_sub_nc_u32_e32 v12, v12, v10
                                        ; implicit-def: $vgpr6
	v_add_nc_u32_e32 v13, v0, v7
	ds_read_u8 v7, v14
	ds_read_u8 v8, v13 offset:4
	v_cmp_gt_i32_e64 s0, v9, v12
	s_waitcnt lgkmcnt(0)
	v_cmp_lt_u16_sdwa s1, v8, v7 src0_sel:BYTE_0 src1_sel:BYTE_0
	s_or_b32 s1, vcc_lo, s1
	s_and_b32 vcc_lo, s0, s1
	s_xor_b32 s0, vcc_lo, -1
	s_and_saveexec_b32 s1, s0
	s_xor_b32 s0, exec_lo, s1
; %bb.5:
	ds_read_u8 v6, v14 offset:1
                                        ; implicit-def: $vgpr13
; %bb.6:
	s_or_saveexec_b32 s0, s0
	v_mov_b32_e32 v10, v8
	s_xor_b32 exec_lo, exec_lo, s0
	s_cbranch_execz .LBB112_8
; %bb.7:
	ds_read_u8 v10, v13 offset:5
	s_waitcnt lgkmcnt(1)
	v_mov_b32_e32 v6, v7
.LBB112_8:
	s_or_b32 exec_lo, exec_lo, s0
	v_add_nc_u32_e32 v13, 1, v11
	v_add_nc_u32_e32 v14, 1, v12
	s_waitcnt lgkmcnt(0)
	v_cmp_lt_u16_sdwa s2, v10, v6 src0_sel:BYTE_0 src1_sel:BYTE_0
	v_cndmask_b32_e32 v13, v13, v11, vcc_lo
	v_cndmask_b32_e32 v12, v12, v14, vcc_lo
                                        ; implicit-def: $vgpr11
	v_cmp_ge_i32_e64 s0, v13, v5
	v_cmp_lt_i32_e64 s1, v12, v9
	s_or_b32 s0, s0, s2
	s_and_b32 s0, s1, s0
	s_xor_b32 s1, s0, -1
	s_and_saveexec_b32 s2, s1
	s_xor_b32 s1, exec_lo, s2
; %bb.9:
	v_add_nc_u32_e32 v11, v0, v13
	ds_read_u8 v11, v11 offset:1
; %bb.10:
	s_or_saveexec_b32 s1, s1
	v_mov_b32_e32 v15, v10
	s_xor_b32 exec_lo, exec_lo, s1
	s_cbranch_execz .LBB112_12
; %bb.11:
	s_waitcnt lgkmcnt(0)
	v_add_nc_u32_e32 v11, v0, v12
	ds_read_u8 v15, v11 offset:1
	v_mov_b32_e32 v11, v6
.LBB112_12:
	s_or_b32 exec_lo, exec_lo, s1
	v_add_nc_u32_e32 v14, 1, v13
	v_add_nc_u32_e32 v16, 1, v12
	s_waitcnt lgkmcnt(0)
	v_cmp_lt_u16_sdwa s4, v15, v11 src0_sel:BYTE_0 src1_sel:BYTE_0
	v_cndmask_b32_e64 v13, v14, v13, s0
	v_cndmask_b32_e64 v12, v12, v16, s0
                                        ; implicit-def: $vgpr14
	v_cmp_ge_i32_e64 s1, v13, v5
	v_cmp_lt_i32_e64 s2, v12, v9
	s_or_b32 s1, s1, s4
	s_and_b32 s1, s2, s1
	s_xor_b32 s2, s1, -1
	s_and_saveexec_b32 s4, s2
	s_xor_b32 s2, exec_lo, s4
; %bb.13:
	v_add_nc_u32_e32 v14, v0, v13
	ds_read_u8 v14, v14 offset:1
; %bb.14:
	s_or_saveexec_b32 s2, s2
	v_mov_b32_e32 v16, v15
	s_xor_b32 exec_lo, exec_lo, s2
	s_cbranch_execz .LBB112_16
; %bb.15:
	s_waitcnt lgkmcnt(0)
	v_add_nc_u32_e32 v14, v0, v12
	ds_read_u8 v16, v14 offset:1
	v_mov_b32_e32 v14, v11
.LBB112_16:
	s_or_b32 exec_lo, exec_lo, s2
	v_add_nc_u32_e32 v17, 1, v13
	v_cndmask_b32_e64 v15, v11, v15, s1
	v_and_b32_e32 v11, 48, v4
	v_add_nc_u32_e32 v18, 1, v12
	s_waitcnt lgkmcnt(0)
	v_cmp_lt_u16_sdwa s2, v16, v14 src0_sel:BYTE_0 src1_sel:BYTE_0
	v_cndmask_b32_e64 v13, v17, v13, s1
	v_cndmask_b32_e64 v17, v6, v10, s0
	v_or_b32_e32 v6, 8, v11
	v_cndmask_b32_e64 v10, v12, v18, s1
	v_cndmask_b32_e32 v8, v7, v8, vcc_lo
	v_cmp_ge_i32_e64 s0, v13, v5
	v_and_b32_e32 v5, 12, v4
	v_sub_nc_u32_e32 v7, v6, v11
	v_cmp_lt_i32_e64 s1, v10, v9
	s_or_b32 s0, s0, s2
	v_sub_nc_u32_e64 v10, v5, 8 clamp
	v_min_i32_e32 v7, v5, v7
	s_and_b32 vcc_lo, s1, s0
	s_mov_b32 s0, exec_lo
	v_cndmask_b32_e32 v9, v14, v16, vcc_lo
	; wave barrier
	ds_write_b8 v3, v8
	ds_write_b8 v3, v17 offset:1
	ds_write_b8 v3, v15 offset:2
	;; [unrolled: 1-line block ×3, first 2 shown]
	; wave barrier
	v_cmpx_lt_i32_e64 v10, v7
	s_cbranch_execz .LBB112_20
; %bb.17:
	v_add_nc_u32_e32 v8, v0, v11
	s_mov_b32 s1, 0
	v_add_nc_u32_e32 v9, v8, v5
	.p2align	6
.LBB112_18:                             ; =>This Inner Loop Header: Depth=1
	v_sub_nc_u32_e32 v12, v7, v10
	v_lshrrev_b32_e32 v12, 1, v12
	v_add_nc_u32_e32 v12, v12, v10
	v_add_nc_u32_e32 v13, v8, v12
	v_xad_u32 v14, v12, -1, v9
	v_add_nc_u32_e32 v15, 1, v12
	ds_read_u8 v13, v13
	ds_read_u8 v14, v14 offset:8
	s_waitcnt lgkmcnt(0)
	v_cmp_lt_u16_e32 vcc_lo, v14, v13
	v_cndmask_b32_e32 v7, v7, v12, vcc_lo
	v_cndmask_b32_e32 v10, v15, v10, vcc_lo
	v_cmp_ge_i32_e32 vcc_lo, v10, v7
	s_or_b32 s1, vcc_lo, s1
	s_andn2_b32 exec_lo, exec_lo, s1
	s_cbranch_execnz .LBB112_18
; %bb.19:
	s_or_b32 exec_lo, exec_lo, s1
.LBB112_20:
	s_or_b32 exec_lo, exec_lo, s0
	v_add_nc_u32_e32 v7, v11, v5
	v_add_nc_u32_e32 v12, v10, v11
	;; [unrolled: 1-line block ×4, first 2 shown]
	v_cmp_lt_i32_e32 vcc_lo, 7, v10
	v_sub_nc_u32_e32 v7, v7, v10
	v_add_nc_u32_e32 v14, v0, v12
	v_sub_nc_u32_e32 v11, v5, v10
                                        ; implicit-def: $vgpr5
	v_add_nc_u32_e32 v13, v0, v7
	ds_read_u8 v7, v14
	ds_read_u8 v8, v13 offset:8
	v_cmp_gt_i32_e64 s0, v9, v11
	s_waitcnt lgkmcnt(0)
	v_cmp_lt_u16_sdwa s1, v8, v7 src0_sel:BYTE_0 src1_sel:BYTE_0
	s_or_b32 s1, vcc_lo, s1
	s_and_b32 vcc_lo, s0, s1
	s_xor_b32 s0, vcc_lo, -1
	s_and_saveexec_b32 s1, s0
	s_xor_b32 s0, exec_lo, s1
; %bb.21:
	ds_read_u8 v5, v14 offset:1
                                        ; implicit-def: $vgpr13
; %bb.22:
	s_or_saveexec_b32 s0, s0
	v_mov_b32_e32 v10, v8
	s_xor_b32 exec_lo, exec_lo, s0
	s_cbranch_execz .LBB112_24
; %bb.23:
	ds_read_u8 v10, v13 offset:9
	s_waitcnt lgkmcnt(1)
	v_mov_b32_e32 v5, v7
.LBB112_24:
	s_or_b32 exec_lo, exec_lo, s0
	v_add_nc_u32_e32 v13, 1, v12
	v_add_nc_u32_e32 v14, 1, v11
	s_waitcnt lgkmcnt(0)
	v_cmp_lt_u16_sdwa s2, v10, v5 src0_sel:BYTE_0 src1_sel:BYTE_0
	v_cndmask_b32_e32 v13, v13, v12, vcc_lo
	v_cndmask_b32_e32 v12, v11, v14, vcc_lo
                                        ; implicit-def: $vgpr11
	v_cmp_ge_i32_e64 s0, v13, v6
	v_cmp_lt_i32_e64 s1, v12, v9
	s_or_b32 s0, s0, s2
	s_and_b32 s0, s1, s0
	s_xor_b32 s1, s0, -1
	s_and_saveexec_b32 s2, s1
	s_xor_b32 s1, exec_lo, s2
; %bb.25:
	v_add_nc_u32_e32 v11, v0, v13
	ds_read_u8 v11, v11 offset:1
; %bb.26:
	s_or_saveexec_b32 s1, s1
	v_mov_b32_e32 v15, v10
	s_xor_b32 exec_lo, exec_lo, s1
	s_cbranch_execz .LBB112_28
; %bb.27:
	s_waitcnt lgkmcnt(0)
	v_add_nc_u32_e32 v11, v0, v12
	ds_read_u8 v15, v11 offset:1
	v_mov_b32_e32 v11, v5
.LBB112_28:
	s_or_b32 exec_lo, exec_lo, s1
	v_add_nc_u32_e32 v14, 1, v13
	v_add_nc_u32_e32 v16, 1, v12
	s_waitcnt lgkmcnt(0)
	v_cmp_lt_u16_sdwa s4, v15, v11 src0_sel:BYTE_0 src1_sel:BYTE_0
	v_cndmask_b32_e64 v13, v14, v13, s0
	v_cndmask_b32_e64 v12, v12, v16, s0
                                        ; implicit-def: $vgpr14
	v_cmp_ge_i32_e64 s1, v13, v6
	v_cmp_lt_i32_e64 s2, v12, v9
	s_or_b32 s1, s1, s4
	s_and_b32 s1, s2, s1
	s_xor_b32 s2, s1, -1
	s_and_saveexec_b32 s4, s2
	s_xor_b32 s2, exec_lo, s4
; %bb.29:
	v_add_nc_u32_e32 v14, v0, v13
	ds_read_u8 v14, v14 offset:1
; %bb.30:
	s_or_saveexec_b32 s2, s2
	v_mov_b32_e32 v16, v15
	s_xor_b32 exec_lo, exec_lo, s2
	s_cbranch_execz .LBB112_32
; %bb.31:
	s_waitcnt lgkmcnt(0)
	v_add_nc_u32_e32 v14, v0, v12
	ds_read_u8 v16, v14 offset:1
	v_mov_b32_e32 v14, v11
.LBB112_32:
	s_or_b32 exec_lo, exec_lo, s2
	v_add_nc_u32_e32 v17, 1, v13
	v_cndmask_b32_e64 v15, v11, v15, s1
	v_and_b32_e32 v11, 32, v4
	v_add_nc_u32_e32 v18, 1, v12
	v_cndmask_b32_e64 v10, v5, v10, s0
	v_cndmask_b32_e64 v13, v17, v13, s1
	s_waitcnt lgkmcnt(0)
	v_cmp_lt_u16_sdwa s2, v16, v14 src0_sel:BYTE_0 src1_sel:BYTE_0
	v_or_b32_e32 v5, 16, v11
	v_cndmask_b32_e64 v12, v12, v18, s1
	v_and_b32_e32 v4, 28, v4
	v_cmp_ge_i32_e64 s0, v13, v6
	v_cndmask_b32_e32 v7, v7, v8, vcc_lo
	v_sub_nc_u32_e32 v6, v5, v11
	v_cmp_lt_i32_e64 s1, v12, v9
	v_sub_nc_u32_e64 v8, v4, 16 clamp
	s_or_b32 s0, s0, s2
	v_min_i32_e32 v6, v4, v6
	s_and_b32 vcc_lo, s1, s0
	s_mov_b32 s0, exec_lo
	v_cndmask_b32_e32 v9, v14, v16, vcc_lo
	; wave barrier
	ds_write_b8 v3, v7
	ds_write_b8 v3, v10 offset:1
	ds_write_b8 v3, v15 offset:2
	;; [unrolled: 1-line block ×3, first 2 shown]
	; wave barrier
	v_cmpx_lt_i32_e64 v8, v6
	s_cbranch_execz .LBB112_36
; %bb.33:
	v_add_nc_u32_e32 v7, v0, v11
	s_mov_b32 s1, 0
	v_add_nc_u32_e32 v9, v7, v4
	.p2align	6
.LBB112_34:                             ; =>This Inner Loop Header: Depth=1
	v_sub_nc_u32_e32 v10, v6, v8
	v_lshrrev_b32_e32 v10, 1, v10
	v_add_nc_u32_e32 v10, v10, v8
	v_add_nc_u32_e32 v12, v7, v10
	v_xad_u32 v13, v10, -1, v9
	v_add_nc_u32_e32 v14, 1, v10
	ds_read_u8 v12, v12
	ds_read_u8 v13, v13 offset:16
	s_waitcnt lgkmcnt(0)
	v_cmp_lt_u16_e32 vcc_lo, v13, v12
	v_cndmask_b32_e32 v6, v6, v10, vcc_lo
	v_cndmask_b32_e32 v8, v14, v8, vcc_lo
	v_cmp_ge_i32_e32 vcc_lo, v8, v6
	s_or_b32 s1, vcc_lo, s1
	s_andn2_b32 exec_lo, exec_lo, s1
	s_cbranch_execnz .LBB112_34
; %bb.35:
	s_or_b32 exec_lo, exec_lo, s1
.LBB112_36:
	s_or_b32 exec_lo, exec_lo, s0
	v_add_nc_u32_e32 v6, v11, v4
	v_add_nc_u32_e32 v10, v8, v11
	;; [unrolled: 1-line block ×4, first 2 shown]
	v_cmp_lt_i32_e32 vcc_lo, 15, v8
	v_sub_nc_u32_e32 v6, v6, v8
	v_add_nc_u32_e32 v9, v0, v10
	v_sub_nc_u32_e32 v11, v13, v8
                                        ; implicit-def: $vgpr8
	v_add_nc_u32_e32 v12, v0, v6
	ds_read_u8 v6, v9
	ds_read_u8 v7, v12 offset:16
	v_cmp_gt_i32_e64 s0, v4, v11
	s_waitcnt lgkmcnt(0)
	v_cmp_lt_u16_sdwa s1, v7, v6 src0_sel:BYTE_0 src1_sel:BYTE_0
	s_or_b32 s1, vcc_lo, s1
	s_and_b32 vcc_lo, s0, s1
	s_xor_b32 s0, vcc_lo, -1
	s_and_saveexec_b32 s1, s0
	s_xor_b32 s0, exec_lo, s1
; %bb.37:
	ds_read_u8 v8, v9 offset:1
                                        ; implicit-def: $vgpr12
; %bb.38:
	s_or_saveexec_b32 s0, s0
	v_mov_b32_e32 v9, v7
	s_xor_b32 exec_lo, exec_lo, s0
	s_cbranch_execz .LBB112_40
; %bb.39:
	ds_read_u8 v9, v12 offset:17
	s_waitcnt lgkmcnt(1)
	v_mov_b32_e32 v8, v6
.LBB112_40:
	s_or_b32 exec_lo, exec_lo, s0
	v_add_nc_u32_e32 v12, 1, v10
	v_add_nc_u32_e32 v14, 1, v11
	s_waitcnt lgkmcnt(0)
	v_cmp_lt_u16_sdwa s2, v9, v8 src0_sel:BYTE_0 src1_sel:BYTE_0
	v_cndmask_b32_e32 v13, v12, v10, vcc_lo
	v_cndmask_b32_e32 v12, v11, v14, vcc_lo
                                        ; implicit-def: $vgpr10
	v_cmp_ge_i32_e64 s0, v13, v5
	v_cmp_lt_i32_e64 s1, v12, v4
	s_or_b32 s0, s0, s2
	s_and_b32 s0, s1, s0
	s_xor_b32 s1, s0, -1
	s_and_saveexec_b32 s2, s1
	s_xor_b32 s1, exec_lo, s2
; %bb.41:
	v_add_nc_u32_e32 v10, v0, v13
	ds_read_u8 v10, v10 offset:1
; %bb.42:
	s_or_saveexec_b32 s1, s1
	v_mov_b32_e32 v11, v9
	s_xor_b32 exec_lo, exec_lo, s1
	s_cbranch_execz .LBB112_44
; %bb.43:
	s_waitcnt lgkmcnt(0)
	v_add_nc_u32_e32 v10, v0, v12
	ds_read_u8 v11, v10 offset:1
	v_mov_b32_e32 v10, v8
.LBB112_44:
	s_or_b32 exec_lo, exec_lo, s1
	v_add_nc_u32_e32 v14, 1, v13
	v_add_nc_u32_e32 v15, 1, v12
	s_waitcnt lgkmcnt(0)
	v_cmp_lt_u16_sdwa s4, v11, v10 src0_sel:BYTE_0 src1_sel:BYTE_0
	v_cndmask_b32_e64 v14, v14, v13, s0
	v_cndmask_b32_e64 v13, v12, v15, s0
                                        ; implicit-def: $vgpr12
	v_cmp_ge_i32_e64 s1, v14, v5
	v_cmp_lt_i32_e64 s2, v13, v4
	s_or_b32 s1, s1, s4
	s_and_b32 s1, s2, s1
	s_xor_b32 s2, s1, -1
	s_and_saveexec_b32 s4, s2
	s_xor_b32 s2, exec_lo, s4
; %bb.45:
	v_add_nc_u32_e32 v12, v0, v14
	ds_read_u8 v12, v12 offset:1
; %bb.46:
	s_or_saveexec_b32 s2, s2
	v_mov_b32_e32 v15, v11
	s_xor_b32 exec_lo, exec_lo, s2
	s_cbranch_execz .LBB112_48
; %bb.47:
	s_waitcnt lgkmcnt(0)
	v_add_nc_u32_e32 v12, v0, v13
	ds_read_u8 v15, v12 offset:1
	v_mov_b32_e32 v12, v10
.LBB112_48:
	s_or_b32 exec_lo, exec_lo, s2
	v_add_nc_u32_e32 v16, 1, v14
	v_add_nc_u32_e32 v17, 1, v13
	v_cndmask_b32_e64 v10, v10, v11, s1
	v_cndmask_b32_e64 v8, v8, v9, s0
	v_cndmask_b32_e32 v7, v6, v7, vcc_lo
	v_cndmask_b32_e64 v11, v16, v14, s1
	v_cndmask_b32_e64 v9, v13, v17, s1
	s_waitcnt lgkmcnt(0)
	v_cmp_lt_u16_sdwa s1, v15, v12 src0_sel:BYTE_0 src1_sel:BYTE_0
	v_sub_nc_u32_e64 v6, v2, 32 clamp
	v_cmp_ge_i32_e32 vcc_lo, v11, v5
	v_cmp_lt_i32_e64 s0, v9, v4
	v_min_u32_e32 v4, 32, v2
	; wave barrier
	s_or_b32 s1, vcc_lo, s1
	s_and_b32 vcc_lo, s0, s1
	s_mov_b32 s0, exec_lo
	v_cndmask_b32_e32 v5, v12, v15, vcc_lo
	ds_write_b8 v3, v7
	ds_write_b8 v3, v8 offset:1
	ds_write_b8 v3, v10 offset:2
	;; [unrolled: 1-line block ×3, first 2 shown]
	; wave barrier
	v_cmpx_lt_u32_e64 v6, v4
	s_cbranch_execz .LBB112_52
; %bb.49:
	s_mov_b32 s1, 0
	.p2align	6
.LBB112_50:                             ; =>This Inner Loop Header: Depth=1
	v_sub_nc_u32_e32 v5, v4, v6
	v_lshrrev_b32_e32 v5, 1, v5
	v_add_nc_u32_e32 v5, v5, v6
	v_add_nc_u32_e32 v7, v0, v5
	v_xad_u32 v8, v5, -1, v3
	v_add_nc_u32_e32 v9, 1, v5
	ds_read_u8 v7, v7
	ds_read_u8 v8, v8 offset:32
	s_waitcnt lgkmcnt(0)
	v_cmp_lt_u16_e32 vcc_lo, v8, v7
	v_cndmask_b32_e32 v4, v4, v5, vcc_lo
	v_cndmask_b32_e32 v6, v9, v6, vcc_lo
	v_cmp_ge_i32_e32 vcc_lo, v6, v4
	s_or_b32 s1, vcc_lo, s1
	s_andn2_b32 exec_lo, exec_lo, s1
	s_cbranch_execnz .LBB112_50
; %bb.51:
	s_or_b32 exec_lo, exec_lo, s1
.LBB112_52:
	s_or_b32 exec_lo, exec_lo, s0
	v_sub_nc_u32_e32 v4, v2, v6
	v_add_nc_u32_e32 v5, v0, v6
	v_cmp_lt_i32_e32 vcc_lo, 31, v6
	v_add_nc_u32_e32 v8, v0, v4
	v_add_nc_u32_e32 v7, 32, v4
                                        ; implicit-def: $vgpr4
	ds_read_u8 v2, v5
	ds_read_u8 v3, v8 offset:32
	v_cmp_gt_i32_e64 s0, 64, v7
	s_waitcnt lgkmcnt(0)
	v_cmp_lt_u16_sdwa s1, v3, v2 src0_sel:BYTE_0 src1_sel:BYTE_0
	s_or_b32 s1, vcc_lo, s1
	s_and_b32 s0, s0, s1
	s_xor_b32 s1, s0, -1
	s_and_saveexec_b32 s2, s1
	s_xor_b32 s1, exec_lo, s2
; %bb.53:
	ds_read_u8 v4, v5 offset:1
                                        ; implicit-def: $vgpr8
; %bb.54:
	s_or_saveexec_b32 s1, s1
	v_mov_b32_e32 v5, v3
	s_xor_b32 exec_lo, exec_lo, s1
	s_cbranch_execz .LBB112_56
; %bb.55:
	ds_read_u8 v5, v8 offset:33
	s_waitcnt lgkmcnt(1)
	v_mov_b32_e32 v4, v2
.LBB112_56:
	s_or_b32 exec_lo, exec_lo, s1
	v_add_nc_u32_e32 v8, 1, v6
	v_add_nc_u32_e32 v10, 1, v7
	s_waitcnt lgkmcnt(0)
	v_cmp_lt_u16_sdwa s2, v5, v4 src0_sel:BYTE_0 src1_sel:BYTE_0
	v_cndmask_b32_e64 v9, v8, v6, s0
	v_cndmask_b32_e64 v8, v7, v10, s0
                                        ; implicit-def: $vgpr7
	v_cmp_lt_i32_e32 vcc_lo, 31, v9
	v_cmp_gt_i32_e64 s1, 64, v8
	s_or_b32 s2, vcc_lo, s2
	s_and_b32 vcc_lo, s1, s2
	s_xor_b32 s1, vcc_lo, -1
	s_and_saveexec_b32 s2, s1
	s_xor_b32 s1, exec_lo, s2
; %bb.57:
	v_add_nc_u32_e32 v6, v0, v9
	ds_read_u8 v7, v6 offset:1
; %bb.58:
	s_or_saveexec_b32 s1, s1
	v_mov_b32_e32 v6, v5
	s_xor_b32 exec_lo, exec_lo, s1
	s_cbranch_execz .LBB112_60
; %bb.59:
	v_add_nc_u32_e32 v6, v0, v8
	s_waitcnt lgkmcnt(0)
	v_mov_b32_e32 v7, v4
	ds_read_u8 v6, v6 offset:1
.LBB112_60:
	s_or_b32 exec_lo, exec_lo, s1
	v_add_nc_u32_e32 v10, 1, v9
	v_add_nc_u32_e32 v11, 1, v8
	s_waitcnt lgkmcnt(0)
	v_cmp_ge_u16_sdwa s4, v6, v7 src0_sel:BYTE_0 src1_sel:BYTE_0
                                        ; implicit-def: $vgpr12
	v_cndmask_b32_e32 v10, v10, v9, vcc_lo
	v_cndmask_b32_e32 v8, v8, v11, vcc_lo
                                        ; implicit-def: $vgpr9
	v_cmp_gt_i32_e64 s1, 32, v10
	v_cmp_lt_i32_e64 s2, 63, v8
	s_and_b32 s1, s1, s4
	s_or_b32 s1, s2, s1
	s_and_saveexec_b32 s2, s1
	s_xor_b32 s1, exec_lo, s2
; %bb.61:
	v_add_nc_u32_e32 v0, v0, v10
	v_add_nc_u32_e32 v12, 1, v10
                                        ; implicit-def: $vgpr10
	ds_read_u8 v9, v0 offset:1
                                        ; implicit-def: $vgpr0
; %bb.62:
	s_or_saveexec_b32 s1, s1
	v_mov_b32_e32 v11, v7
	s_xor_b32 exec_lo, exec_lo, s1
	s_cbranch_execz .LBB112_64
; %bb.63:
	v_add_nc_u32_e32 v0, v0, v8
	v_add_nc_u32_e32 v8, 1, v8
	v_mov_b32_e32 v11, v6
	v_mov_b32_e32 v12, v10
	s_waitcnt lgkmcnt(0)
	v_mov_b32_e32 v9, v7
	ds_read_u8 v0, v0 offset:1
	s_waitcnt lgkmcnt(0)
	v_mov_b32_e32 v6, v0
.LBB112_64:
	s_or_b32 exec_lo, exec_lo, s1
	v_cmp_lt_i32_e64 s1, 31, v12
	s_waitcnt lgkmcnt(0)
	v_cmp_lt_u16_sdwa s4, v6, v9 src0_sel:BYTE_0 src1_sel:BYTE_0
	v_cmp_gt_i32_e64 s2, 64, v8
	v_cndmask_b32_sdwa v4, v4, v5, vcc_lo dst_sel:BYTE_1 dst_unused:UNUSED_PAD src0_sel:DWORD src1_sel:DWORD
	v_cndmask_b32_e64 v2, v2, v3, s0
	s_or_b32 s1, s1, s4
	s_and_b32 s1, s2, s1
	v_or_b32_sdwa v2, v2, v4 dst_sel:DWORD dst_unused:UNUSED_PAD src0_sel:BYTE_0 src1_sel:DWORD
	v_cndmask_b32_e64 v0, v9, v6, s1
	s_add_u32 s0, s10, s3
	s_addc_u32 s1, s11, 0
	v_lshlrev_b16 v0, 8, v0
	v_or_b32_sdwa v3, v11, v0 dst_sel:WORD_1 dst_unused:UNUSED_PAD src0_sel:BYTE_0 src1_sel:DWORD
	v_add_co_u32 v0, s0, s0, v1
	v_add_co_ci_u32_e64 v1, null, s1, 0, s0
	v_or_b32_sdwa v2, v2, v3 dst_sel:DWORD dst_unused:UNUSED_PAD src0_sel:WORD_0 src1_sel:DWORD
	global_store_dword v[0:1], v2, off
	s_endpgm
	.section	.rodata,"a",@progbits
	.p2align	6, 0x0
	.amdhsa_kernel _Z9sort_keysILj256ELj16ELj4EhN10test_utils4lessEEvPKT2_PS2_T3_
		.amdhsa_group_segment_fixed_size 1040
		.amdhsa_private_segment_fixed_size 0
		.amdhsa_kernarg_size 20
		.amdhsa_user_sgpr_count 6
		.amdhsa_user_sgpr_private_segment_buffer 1
		.amdhsa_user_sgpr_dispatch_ptr 0
		.amdhsa_user_sgpr_queue_ptr 0
		.amdhsa_user_sgpr_kernarg_segment_ptr 1
		.amdhsa_user_sgpr_dispatch_id 0
		.amdhsa_user_sgpr_flat_scratch_init 0
		.amdhsa_user_sgpr_private_segment_size 0
		.amdhsa_wavefront_size32 1
		.amdhsa_uses_dynamic_stack 0
		.amdhsa_system_sgpr_private_segment_wavefront_offset 0
		.amdhsa_system_sgpr_workgroup_id_x 1
		.amdhsa_system_sgpr_workgroup_id_y 0
		.amdhsa_system_sgpr_workgroup_id_z 0
		.amdhsa_system_sgpr_workgroup_info 0
		.amdhsa_system_vgpr_workitem_id 0
		.amdhsa_next_free_vgpr 19
		.amdhsa_next_free_sgpr 12
		.amdhsa_reserve_vcc 1
		.amdhsa_reserve_flat_scratch 0
		.amdhsa_float_round_mode_32 0
		.amdhsa_float_round_mode_16_64 0
		.amdhsa_float_denorm_mode_32 3
		.amdhsa_float_denorm_mode_16_64 3
		.amdhsa_dx10_clamp 1
		.amdhsa_ieee_mode 1
		.amdhsa_fp16_overflow 0
		.amdhsa_workgroup_processor_mode 1
		.amdhsa_memory_ordered 1
		.amdhsa_forward_progress 1
		.amdhsa_shared_vgpr_count 0
		.amdhsa_exception_fp_ieee_invalid_op 0
		.amdhsa_exception_fp_denorm_src 0
		.amdhsa_exception_fp_ieee_div_zero 0
		.amdhsa_exception_fp_ieee_overflow 0
		.amdhsa_exception_fp_ieee_underflow 0
		.amdhsa_exception_fp_ieee_inexact 0
		.amdhsa_exception_int_div_zero 0
	.end_amdhsa_kernel
	.section	.text._Z9sort_keysILj256ELj16ELj4EhN10test_utils4lessEEvPKT2_PS2_T3_,"axG",@progbits,_Z9sort_keysILj256ELj16ELj4EhN10test_utils4lessEEvPKT2_PS2_T3_,comdat
.Lfunc_end112:
	.size	_Z9sort_keysILj256ELj16ELj4EhN10test_utils4lessEEvPKT2_PS2_T3_, .Lfunc_end112-_Z9sort_keysILj256ELj16ELj4EhN10test_utils4lessEEvPKT2_PS2_T3_
                                        ; -- End function
	.set _Z9sort_keysILj256ELj16ELj4EhN10test_utils4lessEEvPKT2_PS2_T3_.num_vgpr, 19
	.set _Z9sort_keysILj256ELj16ELj4EhN10test_utils4lessEEvPKT2_PS2_T3_.num_agpr, 0
	.set _Z9sort_keysILj256ELj16ELj4EhN10test_utils4lessEEvPKT2_PS2_T3_.numbered_sgpr, 12
	.set _Z9sort_keysILj256ELj16ELj4EhN10test_utils4lessEEvPKT2_PS2_T3_.num_named_barrier, 0
	.set _Z9sort_keysILj256ELj16ELj4EhN10test_utils4lessEEvPKT2_PS2_T3_.private_seg_size, 0
	.set _Z9sort_keysILj256ELj16ELj4EhN10test_utils4lessEEvPKT2_PS2_T3_.uses_vcc, 1
	.set _Z9sort_keysILj256ELj16ELj4EhN10test_utils4lessEEvPKT2_PS2_T3_.uses_flat_scratch, 0
	.set _Z9sort_keysILj256ELj16ELj4EhN10test_utils4lessEEvPKT2_PS2_T3_.has_dyn_sized_stack, 0
	.set _Z9sort_keysILj256ELj16ELj4EhN10test_utils4lessEEvPKT2_PS2_T3_.has_recursion, 0
	.set _Z9sort_keysILj256ELj16ELj4EhN10test_utils4lessEEvPKT2_PS2_T3_.has_indirect_call, 0
	.section	.AMDGPU.csdata,"",@progbits
; Kernel info:
; codeLenInByte = 3020
; TotalNumSgprs: 14
; NumVgprs: 19
; ScratchSize: 0
; MemoryBound: 0
; FloatMode: 240
; IeeeMode: 1
; LDSByteSize: 1040 bytes/workgroup (compile time only)
; SGPRBlocks: 0
; VGPRBlocks: 2
; NumSGPRsForWavesPerEU: 14
; NumVGPRsForWavesPerEU: 19
; Occupancy: 16
; WaveLimiterHint : 0
; COMPUTE_PGM_RSRC2:SCRATCH_EN: 0
; COMPUTE_PGM_RSRC2:USER_SGPR: 6
; COMPUTE_PGM_RSRC2:TRAP_HANDLER: 0
; COMPUTE_PGM_RSRC2:TGID_X_EN: 1
; COMPUTE_PGM_RSRC2:TGID_Y_EN: 0
; COMPUTE_PGM_RSRC2:TGID_Z_EN: 0
; COMPUTE_PGM_RSRC2:TIDIG_COMP_CNT: 0
	.section	.text._Z10sort_pairsILj256ELj16ELj4EhN10test_utils4lessEEvPKT2_PS2_T3_,"axG",@progbits,_Z10sort_pairsILj256ELj16ELj4EhN10test_utils4lessEEvPKT2_PS2_T3_,comdat
	.protected	_Z10sort_pairsILj256ELj16ELj4EhN10test_utils4lessEEvPKT2_PS2_T3_ ; -- Begin function _Z10sort_pairsILj256ELj16ELj4EhN10test_utils4lessEEvPKT2_PS2_T3_
	.globl	_Z10sort_pairsILj256ELj16ELj4EhN10test_utils4lessEEvPKT2_PS2_T3_
	.p2align	8
	.type	_Z10sort_pairsILj256ELj16ELj4EhN10test_utils4lessEEvPKT2_PS2_T3_,@function
_Z10sort_pairsILj256ELj16ELj4EhN10test_utils4lessEEvPKT2_PS2_T3_: ; @_Z10sort_pairsILj256ELj16ELj4EhN10test_utils4lessEEvPKT2_PS2_T3_
; %bb.0:
	s_load_dwordx4 s[8:11], s[4:5], 0x0
	s_lshl_b32 s12, s6, 10
	v_lshlrev_b32_e32 v1, 2, v0
	v_mov_b32_e32 v8, 0xffffff00
	v_lshrrev_b32_e32 v0, 4, v0
	v_mov_b32_e32 v13, 0
	s_mov_b32 s6, 0
	s_mov_b32 s7, exec_lo
	s_waitcnt lgkmcnt(0)
	s_add_u32 s0, s8, s12
	s_addc_u32 s1, s9, 0
	global_load_dword v5, v1, s[0:1]
	; wave barrier
	s_waitcnt vmcnt(0)
	v_lshrrev_b32_e32 v6, 8, v5
	v_perm_b32 v2, v5, v5, 0x7060405
	v_cmp_lt_u16_sdwa vcc_lo, v6, v5 src0_sel:BYTE_0 src1_sel:BYTE_0
	v_cndmask_b32_e32 v2, v5, v2, vcc_lo
	v_lshrrev_b32_e32 v3, 16, v2
	v_lshrrev_b32_e32 v7, 24, v2
	v_perm_b32 v4, 0, v3, 0xc0c0001
	v_and_b32_e32 v3, 0xff, v3
	v_lshlrev_b32_e32 v4, 16, v4
	v_cmp_lt_u16_e64 s0, v7, v3
	v_min_u16 v9, v7, v3
	v_and_or_b32 v4, 0xffff, v2, v4
	v_lshlrev_b16 v3, 8, v9
	v_cndmask_b32_e64 v2, v2, v4, s0
	v_and_b32_sdwa v4, v2, v8 dst_sel:DWORD dst_unused:UNUSED_PAD src0_sel:WORD_1 src1_sel:DWORD
	v_lshrrev_b32_e32 v7, 8, v2
	v_or_b32_sdwa v3, v2, v3 dst_sel:DWORD dst_unused:UNUSED_PAD src0_sel:BYTE_0 src1_sel:DWORD
	v_or_b32_sdwa v4, v2, v4 dst_sel:WORD_1 dst_unused:UNUSED_PAD src0_sel:BYTE_1 src1_sel:DWORD
	v_and_b32_e32 v7, 0xff, v7
	v_or_b32_sdwa v3, v3, v4 dst_sel:DWORD dst_unused:UNUSED_PAD src0_sel:WORD_0 src1_sel:DWORD
	v_cmp_lt_u16_e64 s1, v9, v7
	v_cndmask_b32_e64 v2, v2, v3, s1
	v_min_u16 v3, v9, v7
	v_mbcnt_lo_u32_b32 v7, -1, 0
	v_lshlrev_b16 v4, 8, v2
	v_cmp_lt_u16_sdwa s3, v3, v2 src0_sel:DWORD src1_sel:BYTE_0
	v_or_b32_e32 v4, v3, v4
	v_and_b32_e32 v4, 0xffff, v4
	v_and_or_b32 v4, 0xffff0000, v2, v4
	v_cndmask_b32_e64 v2, v2, v4, s3
	v_lshrrev_b32_e32 v3, 16, v2
	v_lshrrev_b32_e32 v9, 24, v2
	v_perm_b32 v4, 0, v3, 0xc0c0001
	v_and_b32_e32 v3, 0xff, v3
	v_lshlrev_b32_e32 v4, 16, v4
	v_cmp_lt_u16_e64 s4, v9, v3
	v_min_u16 v11, v9, v3
	v_and_or_b32 v10, 0xffff, v2, v4
	v_lshlrev_b32_e32 v4, 2, v7
	v_cndmask_b32_e64 v9, v2, v10, s4
	v_and_b32_e32 v10, 56, v4
	v_lshlrev_b16 v2, 8, v11
	v_and_b32_e32 v12, 4, v4
	v_and_b32_sdwa v3, v9, v8 dst_sel:DWORD dst_unused:UNUSED_PAD src0_sel:WORD_1 src1_sel:DWORD
	v_or_b32_e32 v7, 4, v10
	v_or_b32_sdwa v2, v9, v2 dst_sel:DWORD dst_unused:UNUSED_PAD src0_sel:BYTE_0 src1_sel:DWORD
	v_lshrrev_b32_e32 v15, 8, v9
	v_or_b32_sdwa v8, v9, v3 dst_sel:WORD_1 dst_unused:UNUSED_PAD src0_sel:BYTE_1 src1_sel:DWORD
	v_and_b32_e32 v3, 60, v4
	v_sub_nc_u32_e32 v14, v7, v10
	v_cmp_lt_u16_sdwa s2, v11, v15 src0_sel:DWORD src1_sel:BYTE_0
	v_or_b32_sdwa v16, v2, v8 dst_sel:DWORD dst_unused:UNUSED_PAD src0_sel:WORD_0 src1_sel:DWORD
	v_mad_u32_u24 v2, 0x41, v0, v3
	v_min_i32_e32 v8, v12, v14
	v_mul_u32_u24_e32 v0, 0x41, v0
	v_cndmask_b32_e64 v9, v9, v16, s2
	ds_write_b32 v2, v9
	; wave barrier
	v_cmpx_lt_i32_e32 0, v8
	s_cbranch_execz .LBB113_4
; %bb.1:
	v_add_nc_u32_e32 v9, v0, v10
	v_mov_b32_e32 v13, 0
	v_add_nc_u32_e32 v11, v9, v12
	.p2align	6
.LBB113_2:                              ; =>This Inner Loop Header: Depth=1
	v_sub_nc_u32_e32 v14, v8, v13
	v_lshrrev_b32_e32 v14, 1, v14
	v_add_nc_u32_e32 v14, v14, v13
	v_add_nc_u32_e32 v15, v9, v14
	v_xad_u32 v16, v14, -1, v11
	v_add_nc_u32_e32 v17, 1, v14
	ds_read_u8 v15, v15
	ds_read_u8 v16, v16 offset:4
	s_waitcnt lgkmcnt(0)
	v_cmp_lt_u16_e64 s5, v16, v15
	v_cndmask_b32_e64 v8, v8, v14, s5
	v_cndmask_b32_e64 v13, v17, v13, s5
	v_cmp_ge_i32_e64 s5, v13, v8
	s_or_b32 s6, s5, s6
	s_andn2_b32 exec_lo, exec_lo, s6
	s_cbranch_execnz .LBB113_2
; %bb.3:
	s_or_b32 exec_lo, exec_lo, s6
.LBB113_4:
	s_or_b32 exec_lo, exec_lo, s7
	v_mov_b32_e32 v8, 24
	v_add_nc_u32_e32 v11, v13, v10
	v_cmp_lt_i32_e64 s5, 3, v13
	v_lshrrev_b32_e32 v18, 16, v5
	v_lshrrev_b32_sdwa v17, v8, v5 dst_sel:BYTE_1 dst_unused:UNUSED_PAD src0_sel:DWORD src1_sel:DWORD
	v_add_nc_u32_e32 v8, v10, v12
	v_add_nc_u32_e32 v16, v0, v11
	;; [unrolled: 1-line block ×4, first 2 shown]
	v_sub_nc_u32_e32 v8, v8, v13
	v_sub_nc_u32_e32 v15, v12, v13
                                        ; implicit-def: $vgpr12
	v_add_nc_u32_e32 v14, v0, v8
	ds_read_u8 v8, v16
	ds_read_u8 v9, v14 offset:4
	v_cmp_gt_i32_e64 s6, v10, v15
	s_waitcnt lgkmcnt(0)
	v_cmp_lt_u16_sdwa s7, v9, v8 src0_sel:BYTE_0 src1_sel:BYTE_0
	s_or_b32 s5, s5, s7
	s_and_b32 s5, s6, s5
	s_xor_b32 s6, s5, -1
	s_and_saveexec_b32 s7, s6
	s_xor_b32 s6, exec_lo, s7
; %bb.5:
	ds_read_u8 v12, v16 offset:1
                                        ; implicit-def: $vgpr14
; %bb.6:
	s_or_saveexec_b32 s6, s6
	v_mov_b32_e32 v13, v9
	s_xor_b32 exec_lo, exec_lo, s6
	s_cbranch_execz .LBB113_8
; %bb.7:
	ds_read_u8 v13, v14 offset:5
	s_waitcnt lgkmcnt(1)
	v_mov_b32_e32 v12, v8
.LBB113_8:
	s_or_b32 exec_lo, exec_lo, s6
	v_add_nc_u32_e32 v14, 1, v11
	v_add_nc_u32_e32 v16, 1, v15
	s_waitcnt lgkmcnt(0)
	v_cmp_lt_u16_sdwa s8, v13, v12 src0_sel:BYTE_0 src1_sel:BYTE_0
	v_cndmask_b32_e64 v19, v14, v11, s5
	v_cndmask_b32_e64 v20, v15, v16, s5
                                        ; implicit-def: $vgpr14
	v_cmp_ge_i32_e64 s6, v19, v7
	v_cmp_lt_i32_e64 s7, v20, v10
	s_or_b32 s6, s6, s8
	s_and_b32 s6, s7, s6
	s_xor_b32 s7, s6, -1
	s_and_saveexec_b32 s8, s7
	s_xor_b32 s7, exec_lo, s8
; %bb.9:
	v_add_nc_u32_e32 v14, v0, v19
	ds_read_u8 v14, v14 offset:1
; %bb.10:
	s_or_saveexec_b32 s7, s7
	v_mov_b32_e32 v16, v13
	s_xor_b32 exec_lo, exec_lo, s7
	s_cbranch_execz .LBB113_12
; %bb.11:
	s_waitcnt lgkmcnt(0)
	v_add_nc_u32_e32 v14, v0, v20
	ds_read_u8 v16, v14 offset:1
	v_mov_b32_e32 v14, v12
.LBB113_12:
	s_or_b32 exec_lo, exec_lo, s7
	v_add_nc_u32_e32 v21, 1, v19
	v_add_nc_u32_e32 v22, 1, v20
	s_waitcnt lgkmcnt(0)
	v_cmp_lt_u16_sdwa s9, v16, v14 src0_sel:BYTE_0 src1_sel:BYTE_0
	v_cndmask_b32_e64 v24, v21, v19, s6
	v_cndmask_b32_e64 v23, v20, v22, s6
                                        ; implicit-def: $vgpr21
	v_cmp_ge_i32_e64 s7, v24, v7
	v_cmp_lt_i32_e64 s8, v23, v10
	s_or_b32 s7, s7, s9
	s_and_b32 s7, s8, s7
	s_xor_b32 s8, s7, -1
	s_and_saveexec_b32 s9, s8
	s_xor_b32 s8, exec_lo, s9
; %bb.13:
	v_add_nc_u32_e32 v21, v0, v24
	ds_read_u8 v21, v21 offset:1
; %bb.14:
	s_or_saveexec_b32 s8, s8
	v_mov_b32_e32 v22, v16
	s_xor_b32 exec_lo, exec_lo, s8
	s_cbranch_execz .LBB113_16
; %bb.15:
	s_waitcnt lgkmcnt(0)
	v_add_nc_u32_e32 v21, v0, v23
	ds_read_u8 v22, v21 offset:1
	v_mov_b32_e32 v21, v14
.LBB113_16:
	s_or_b32 exec_lo, exec_lo, s8
	v_add_nc_u16 v6, v6, 1
	v_add_nc_u16 v5, v5, 1
	;; [unrolled: 1-line block ×3, first 2 shown]
	v_cndmask_b32_e64 v11, v11, v15, s5
	v_cndmask_b32_e64 v19, v19, v20, s6
	v_lshlrev_b16 v25, 8, v6
	v_lshlrev_b16 v26, 8, v5
	v_or_b32_sdwa v17, v17, v18 dst_sel:DWORD dst_unused:UNUSED_PAD src0_sel:DWORD src1_sel:BYTE_0
	; wave barrier
	v_or_b32_sdwa v5, v5, v25 dst_sel:DWORD dst_unused:UNUSED_PAD src0_sel:BYTE_0 src1_sel:DWORD
	v_or_b32_sdwa v6, v6, v26 dst_sel:DWORD dst_unused:UNUSED_PAD src0_sel:BYTE_0 src1_sel:DWORD
	v_add_nc_u16 v17, 0x100, v17
	v_cndmask_b32_e64 v25, v24, v23, s7
	v_and_b32_e32 v15, 48, v4
	v_and_b32_e32 v5, 0xffff, v5
	;; [unrolled: 1-line block ×3, first 2 shown]
	v_lshlrev_b32_e32 v18, 16, v17
	v_perm_b32 v17, 0, v17, 0xc0c0001
	v_cndmask_b32_e64 v16, v14, v16, s7
	v_cndmask_b32_e64 v9, v8, v9, s5
	v_cndmask_b32_e32 v5, v5, v6, vcc_lo
	v_cndmask_b32_e64 v12, v12, v13, s6
	v_lshlrev_b32_e32 v6, 16, v17
	v_add_nc_u32_e32 v17, 1, v24
	v_or_b32_e32 v5, v5, v18
	v_add_nc_u32_e32 v18, 1, v23
	v_cndmask_b32_e64 v17, v17, v24, s7
	v_and_or_b32 v6, 0xffff, v5, v6
	v_cndmask_b32_e64 v18, v23, v18, s7
	v_cmp_ge_i32_e32 vcc_lo, v17, v7
	v_cndmask_b32_e64 v5, v5, v6, s0
	v_cmp_lt_i32_e64 s0, v18, v10
	v_perm_b32 v6, v5, v5, 0x7050604
	v_cndmask_b32_e64 v5, v5, v6, s1
	s_waitcnt lgkmcnt(0)
	v_cmp_lt_u16_sdwa s1, v22, v21 src0_sel:BYTE_0 src1_sel:BYTE_0
	v_perm_b32 v6, 0, v5, 0xc0c0001
	s_or_b32 s1, vcc_lo, s1
	s_and_b32 vcc_lo, s0, s1
	s_mov_b32 s0, exec_lo
	v_and_or_b32 v6, 0xffff0000, v5, v6
	v_cndmask_b32_e32 v7, v17, v18, vcc_lo
	v_add_nc_u32_e32 v17, v0, v25
	v_cndmask_b32_e32 v20, v21, v22, vcc_lo
	v_cndmask_b32_e64 v5, v5, v6, s3
	v_add_nc_u32_e32 v18, v0, v7
	v_lshrrev_b32_e32 v6, 16, v5
	v_perm_b32 v6, 0, v6, 0xc0c0001
	v_lshlrev_b32_e32 v6, 16, v6
	v_and_or_b32 v6, 0xffff, v5, v6
	v_cndmask_b32_e64 v5, v5, v6, s4
	v_perm_b32 v6, v5, v5, 0x7050604
	v_cndmask_b32_e64 v5, v5, v6, s2
	v_add_nc_u32_e32 v6, v0, v11
	v_add_nc_u32_e32 v11, v0, v19
	ds_write_b32 v2, v5
	; wave barrier
	ds_read_u8 v10, v6
	ds_read_u8 v6, v11
	;; [unrolled: 1-line block ×4, first 2 shown]
	v_or_b32_e32 v11, 8, v15
	v_and_b32_e32 v17, 12, v4
	; wave barrier
	ds_write_b8 v2, v9
	ds_write_b8 v2, v12 offset:1
	ds_write_b8 v2, v16 offset:2
	;; [unrolled: 1-line block ×3, first 2 shown]
	v_sub_nc_u32_e32 v18, v11, v15
	v_sub_nc_u32_e64 v14, v17, 8 clamp
	; wave barrier
	v_min_i32_e32 v8, v17, v18
	v_cmpx_lt_i32_e64 v14, v8
	s_cbranch_execz .LBB113_20
; %bb.17:
	v_add_nc_u32_e32 v9, v0, v15
	s_mov_b32 s1, 0
	v_add_nc_u32_e32 v12, v9, v17
	.p2align	6
.LBB113_18:                             ; =>This Inner Loop Header: Depth=1
	v_sub_nc_u32_e32 v13, v8, v14
	v_lshrrev_b32_e32 v13, 1, v13
	v_add_nc_u32_e32 v13, v13, v14
	v_add_nc_u32_e32 v16, v9, v13
	v_xad_u32 v18, v13, -1, v12
	v_add_nc_u32_e32 v19, 1, v13
	ds_read_u8 v16, v16
	ds_read_u8 v18, v18 offset:8
	s_waitcnt lgkmcnt(0)
	v_cmp_lt_u16_e32 vcc_lo, v18, v16
	v_cndmask_b32_e32 v8, v8, v13, vcc_lo
	v_cndmask_b32_e32 v14, v19, v14, vcc_lo
	v_cmp_ge_i32_e32 vcc_lo, v14, v8
	s_or_b32 s1, vcc_lo, s1
	s_andn2_b32 exec_lo, exec_lo, s1
	s_cbranch_execnz .LBB113_18
; %bb.19:
	s_or_b32 exec_lo, exec_lo, s1
.LBB113_20:
	s_or_b32 exec_lo, exec_lo, s0
	v_add_nc_u32_e32 v8, v15, v17
	v_add_nc_u32_e32 v9, v14, v15
	;; [unrolled: 1-line block ×3, first 2 shown]
	v_cmp_lt_i32_e32 vcc_lo, 7, v14
	v_sub_nc_u32_e32 v8, v8, v14
	v_add_nc_u32_e32 v19, v0, v9
	v_sub_nc_u32_e32 v16, v16, v14
                                        ; implicit-def: $vgpr14
	v_add_nc_u32_e32 v18, v0, v8
	v_add_nc_u32_e32 v8, 16, v15
	ds_read_u8 v12, v19
	ds_read_u8 v13, v18 offset:8
	v_cmp_gt_i32_e64 s0, v8, v16
	s_waitcnt lgkmcnt(0)
	v_cmp_lt_u16_sdwa s1, v13, v12 src0_sel:BYTE_0 src1_sel:BYTE_0
	s_or_b32 s1, vcc_lo, s1
	s_and_b32 vcc_lo, s0, s1
	s_xor_b32 s0, vcc_lo, -1
	s_and_saveexec_b32 s1, s0
	s_xor_b32 s0, exec_lo, s1
; %bb.21:
	ds_read_u8 v14, v19 offset:1
                                        ; implicit-def: $vgpr18
; %bb.22:
	s_or_saveexec_b32 s0, s0
	v_mov_b32_e32 v15, v13
	s_xor_b32 exec_lo, exec_lo, s0
	s_cbranch_execz .LBB113_24
; %bb.23:
	ds_read_u8 v15, v18 offset:9
	s_waitcnt lgkmcnt(1)
	v_mov_b32_e32 v14, v12
.LBB113_24:
	s_or_b32 exec_lo, exec_lo, s0
	v_add_nc_u32_e32 v17, 1, v9
	v_add_nc_u32_e32 v18, 1, v16
	s_waitcnt lgkmcnt(0)
	v_cmp_lt_u16_sdwa s2, v15, v14 src0_sel:BYTE_0 src1_sel:BYTE_0
	v_cndmask_b32_e32 v19, v17, v9, vcc_lo
	v_cndmask_b32_e32 v20, v16, v18, vcc_lo
                                        ; implicit-def: $vgpr17
	v_cmp_ge_i32_e64 s0, v19, v11
	v_cmp_lt_i32_e64 s1, v20, v8
	s_or_b32 s0, s0, s2
	s_and_b32 s0, s1, s0
	s_xor_b32 s1, s0, -1
	s_and_saveexec_b32 s2, s1
	s_xor_b32 s1, exec_lo, s2
; %bb.25:
	v_add_nc_u32_e32 v17, v0, v19
	ds_read_u8 v17, v17 offset:1
; %bb.26:
	s_or_saveexec_b32 s1, s1
	v_mov_b32_e32 v18, v15
	s_xor_b32 exec_lo, exec_lo, s1
	s_cbranch_execz .LBB113_28
; %bb.27:
	s_waitcnt lgkmcnt(0)
	v_add_nc_u32_e32 v17, v0, v20
	ds_read_u8 v18, v17 offset:1
	v_mov_b32_e32 v17, v14
.LBB113_28:
	s_or_b32 exec_lo, exec_lo, s1
	v_add_nc_u32_e32 v21, 1, v19
	v_add_nc_u32_e32 v22, 1, v20
	s_waitcnt lgkmcnt(0)
	v_cmp_lt_u16_sdwa s3, v18, v17 src0_sel:BYTE_0 src1_sel:BYTE_0
	v_cndmask_b32_e64 v23, v21, v19, s0
	v_cndmask_b32_e64 v22, v20, v22, s0
                                        ; implicit-def: $vgpr21
	v_cmp_ge_i32_e64 s1, v23, v11
	v_cmp_lt_i32_e64 s2, v22, v8
	s_or_b32 s1, s1, s3
	s_and_b32 s1, s2, s1
	s_xor_b32 s2, s1, -1
	s_and_saveexec_b32 s3, s2
	s_xor_b32 s2, exec_lo, s3
; %bb.29:
	v_add_nc_u32_e32 v21, v0, v23
	ds_read_u8 v21, v21 offset:1
; %bb.30:
	s_or_saveexec_b32 s2, s2
	v_mov_b32_e32 v24, v18
	s_xor_b32 exec_lo, exec_lo, s2
	s_cbranch_execz .LBB113_32
; %bb.31:
	s_waitcnt lgkmcnt(0)
	v_add_nc_u32_e32 v21, v0, v22
	ds_read_u8 v24, v21 offset:1
	v_mov_b32_e32 v21, v17
.LBB113_32:
	s_or_b32 exec_lo, exec_lo, s2
	v_add_nc_u32_e32 v25, 1, v23
	v_add_nc_u32_e32 v26, 1, v22
	v_cndmask_b32_e32 v9, v9, v16, vcc_lo
	v_cndmask_b32_e64 v19, v19, v20, s0
	s_waitcnt lgkmcnt(0)
	v_cmp_lt_u16_sdwa s4, v24, v21 src0_sel:BYTE_0 src1_sel:BYTE_0
	v_cndmask_b32_e64 v16, v25, v23, s1
	v_cndmask_b32_e64 v20, v22, v26, s1
	;; [unrolled: 1-line block ×3, first 2 shown]
	; wave barrier
	v_cmp_ge_i32_e64 s2, v16, v11
	v_cmp_lt_i32_e64 s3, v20, v8
	ds_write_b8 v2, v10
	ds_write_b8 v2, v6 offset:1
	ds_write_b8 v2, v7 offset:2
	;; [unrolled: 1-line block ×3, first 2 shown]
	s_or_b32 s2, s2, s4
	v_add_nc_u32_e32 v6, v0, v9
	s_and_b32 s2, s3, s2
	v_add_nc_u32_e32 v8, v0, v19
	v_cndmask_b32_e64 v5, v16, v20, s2
	v_add_nc_u32_e32 v9, v0, v27
	; wave barrier
	v_and_b32_e32 v16, 32, v4
	v_add_nc_u32_e32 v5, v0, v5
	v_and_b32_e32 v4, 28, v4
	ds_read_u8 v7, v6
	ds_read_u8 v8, v8
	;; [unrolled: 1-line block ×4, first 2 shown]
	v_cndmask_b32_e32 v13, v12, v13, vcc_lo
	v_or_b32_e32 v9, 16, v16
	v_cndmask_b32_e64 v14, v14, v15, s0
	v_sub_nc_u32_e64 v12, v4, 16 clamp
	v_cndmask_b32_e64 v17, v17, v18, s1
	v_cndmask_b32_e64 v11, v21, v24, s2
	v_sub_nc_u32_e32 v10, v9, v16
	s_mov_b32 s0, exec_lo
	; wave barrier
	ds_write_b8 v2, v13
	ds_write_b8 v2, v14 offset:1
	ds_write_b8 v2, v17 offset:2
	;; [unrolled: 1-line block ×3, first 2 shown]
	v_min_i32_e32 v10, v4, v10
	; wave barrier
	v_cmpx_lt_i32_e64 v12, v10
	s_cbranch_execz .LBB113_36
; %bb.33:
	v_add_nc_u32_e32 v11, v0, v16
	s_mov_b32 s1, 0
	v_add_nc_u32_e32 v13, v11, v4
	.p2align	6
.LBB113_34:                             ; =>This Inner Loop Header: Depth=1
	v_sub_nc_u32_e32 v14, v10, v12
	v_lshrrev_b32_e32 v14, 1, v14
	v_add_nc_u32_e32 v14, v14, v12
	v_add_nc_u32_e32 v15, v11, v14
	v_xad_u32 v17, v14, -1, v13
	v_add_nc_u32_e32 v18, 1, v14
	ds_read_u8 v15, v15
	ds_read_u8 v17, v17 offset:16
	s_waitcnt lgkmcnt(0)
	v_cmp_lt_u16_e32 vcc_lo, v17, v15
	v_cndmask_b32_e32 v10, v10, v14, vcc_lo
	v_cndmask_b32_e32 v12, v18, v12, vcc_lo
	v_cmp_ge_i32_e32 vcc_lo, v12, v10
	s_or_b32 s1, vcc_lo, s1
	s_andn2_b32 exec_lo, exec_lo, s1
	s_cbranch_execnz .LBB113_34
; %bb.35:
	s_or_b32 exec_lo, exec_lo, s1
.LBB113_36:
	s_or_b32 exec_lo, exec_lo, s0
	v_add_nc_u32_e32 v10, v16, v4
	v_add_nc_u32_e32 v14, v12, v16
	;; [unrolled: 1-line block ×4, first 2 shown]
	v_cmp_lt_i32_e32 vcc_lo, 15, v12
	v_sub_nc_u32_e32 v10, v10, v12
	v_add_nc_u32_e32 v13, v0, v14
	v_sub_nc_u32_e32 v15, v15, v12
                                        ; implicit-def: $vgpr12
	v_add_nc_u32_e32 v17, v0, v10
	ds_read_u8 v10, v13
	ds_read_u8 v11, v17 offset:16
	v_cmp_gt_i32_e64 s0, v4, v15
	s_waitcnt lgkmcnt(0)
	v_cmp_lt_u16_sdwa s1, v11, v10 src0_sel:BYTE_0 src1_sel:BYTE_0
	s_or_b32 s1, vcc_lo, s1
	s_and_b32 vcc_lo, s0, s1
	s_xor_b32 s0, vcc_lo, -1
	s_and_saveexec_b32 s1, s0
	s_xor_b32 s0, exec_lo, s1
; %bb.37:
	ds_read_u8 v12, v13 offset:1
                                        ; implicit-def: $vgpr17
; %bb.38:
	s_or_saveexec_b32 s0, s0
	v_mov_b32_e32 v13, v11
	s_xor_b32 exec_lo, exec_lo, s0
	s_cbranch_execz .LBB113_40
; %bb.39:
	ds_read_u8 v13, v17 offset:17
	s_waitcnt lgkmcnt(1)
	v_mov_b32_e32 v12, v10
.LBB113_40:
	s_or_b32 exec_lo, exec_lo, s0
	v_add_nc_u32_e32 v16, 1, v14
	v_add_nc_u32_e32 v17, 1, v15
	s_waitcnt lgkmcnt(0)
	v_cmp_lt_u16_sdwa s2, v13, v12 src0_sel:BYTE_0 src1_sel:BYTE_0
	v_cndmask_b32_e32 v18, v16, v14, vcc_lo
	v_cndmask_b32_e32 v19, v15, v17, vcc_lo
                                        ; implicit-def: $vgpr16
	v_cmp_ge_i32_e64 s0, v18, v9
	v_cmp_lt_i32_e64 s1, v19, v4
	s_or_b32 s0, s0, s2
	s_and_b32 s0, s1, s0
	s_xor_b32 s1, s0, -1
	s_and_saveexec_b32 s2, s1
	s_xor_b32 s1, exec_lo, s2
; %bb.41:
	v_add_nc_u32_e32 v16, v0, v18
	ds_read_u8 v16, v16 offset:1
; %bb.42:
	s_or_saveexec_b32 s1, s1
	v_mov_b32_e32 v17, v13
	s_xor_b32 exec_lo, exec_lo, s1
	s_cbranch_execz .LBB113_44
; %bb.43:
	s_waitcnt lgkmcnt(0)
	v_add_nc_u32_e32 v16, v0, v19
	ds_read_u8 v17, v16 offset:1
	v_mov_b32_e32 v16, v12
.LBB113_44:
	s_or_b32 exec_lo, exec_lo, s1
	v_add_nc_u32_e32 v20, 1, v18
	v_add_nc_u32_e32 v21, 1, v19
	s_waitcnt lgkmcnt(0)
	v_cmp_lt_u16_sdwa s3, v17, v16 src0_sel:BYTE_0 src1_sel:BYTE_0
	v_cndmask_b32_e64 v22, v20, v18, s0
	v_cndmask_b32_e64 v21, v19, v21, s0
                                        ; implicit-def: $vgpr20
	v_cmp_ge_i32_e64 s1, v22, v9
	v_cmp_lt_i32_e64 s2, v21, v4
	s_or_b32 s1, s1, s3
	s_and_b32 s1, s2, s1
	s_xor_b32 s2, s1, -1
	s_and_saveexec_b32 s3, s2
	s_xor_b32 s2, exec_lo, s3
; %bb.45:
	v_add_nc_u32_e32 v20, v0, v22
	ds_read_u8 v20, v20 offset:1
; %bb.46:
	s_or_saveexec_b32 s2, s2
	v_mov_b32_e32 v23, v17
	s_xor_b32 exec_lo, exec_lo, s2
	s_cbranch_execz .LBB113_48
; %bb.47:
	s_waitcnt lgkmcnt(0)
	v_add_nc_u32_e32 v20, v0, v21
	ds_read_u8 v23, v20 offset:1
	v_mov_b32_e32 v20, v16
.LBB113_48:
	s_or_b32 exec_lo, exec_lo, s2
	v_add_nc_u32_e32 v24, 1, v22
	v_add_nc_u32_e32 v25, 1, v21
	v_cndmask_b32_e32 v14, v14, v15, vcc_lo
	v_cndmask_b32_e64 v18, v18, v19, s0
	s_waitcnt lgkmcnt(0)
	v_cmp_lt_u16_sdwa s4, v23, v20 src0_sel:BYTE_0 src1_sel:BYTE_0
	v_cndmask_b32_e64 v15, v24, v22, s1
	v_cndmask_b32_e64 v19, v21, v25, s1
	;; [unrolled: 1-line block ×3, first 2 shown]
	v_add_nc_u32_e32 v21, v0, v3
	v_cmp_ge_i32_e64 s2, v15, v9
	v_cmp_lt_i32_e64 s3, v19, v4
	; wave barrier
	ds_write_b8 v21, v7
	ds_write_b8 v21, v8 offset:1
	ds_write_b8 v21, v5 offset:3
	s_or_b32 s2, s2, s4
	v_add_nc_u32_e32 v5, v0, v14
	s_and_b32 s2, s3, s2
	ds_write_b8 v21, v6 offset:2
	v_cndmask_b32_e64 v4, v15, v19, s2
	v_add_nc_u32_e32 v6, v0, v18
	v_add_nc_u32_e32 v7, v0, v26
	; wave barrier
	v_add_nc_u32_e32 v8, v0, v4
	v_cndmask_b32_e32 v10, v10, v11, vcc_lo
	ds_read_u8 v4, v5
	ds_read_u8 v5, v6
	;; [unrolled: 1-line block ×4, first 2 shown]
	v_sub_nc_u32_e64 v8, v3, 32 clamp
	v_min_u32_e32 v9, 32, v3
	v_cndmask_b32_e64 v12, v12, v13, s0
	v_cndmask_b32_e64 v14, v16, v17, s1
	v_cndmask_b32_e64 v20, v20, v23, s2
	s_mov_b32 s0, exec_lo
	; wave barrier
	ds_write_b8 v21, v10
	ds_write_b8 v21, v12 offset:1
	ds_write_b8 v21, v14 offset:2
	;; [unrolled: 1-line block ×3, first 2 shown]
	; wave barrier
	v_cmpx_lt_u32_e64 v8, v9
	s_cbranch_execz .LBB113_52
; %bb.49:
	s_mov_b32 s1, 0
	.p2align	6
.LBB113_50:                             ; =>This Inner Loop Header: Depth=1
	v_sub_nc_u32_e32 v10, v9, v8
	v_lshrrev_b32_e32 v10, 1, v10
	v_add_nc_u32_e32 v10, v10, v8
	v_add_nc_u32_e32 v11, v0, v10
	v_xad_u32 v12, v10, -1, v2
	v_add_nc_u32_e32 v13, 1, v10
	ds_read_u8 v11, v11
	ds_read_u8 v12, v12 offset:32
	s_waitcnt lgkmcnt(0)
	v_cmp_lt_u16_e32 vcc_lo, v12, v11
	v_cndmask_b32_e32 v9, v9, v10, vcc_lo
	v_cndmask_b32_e32 v8, v13, v8, vcc_lo
	v_cmp_ge_i32_e32 vcc_lo, v8, v9
	s_or_b32 s1, vcc_lo, s1
	s_andn2_b32 exec_lo, exec_lo, s1
	s_cbranch_execnz .LBB113_50
; %bb.51:
	s_or_b32 exec_lo, exec_lo, s1
.LBB113_52:
	s_or_b32 exec_lo, exec_lo, s0
	v_sub_nc_u32_e32 v10, v3, v8
	v_add_nc_u32_e32 v11, v0, v8
	v_cmp_lt_i32_e32 vcc_lo, 31, v8
	v_add_nc_u32_e32 v13, v0, v10
	v_add_nc_u32_e32 v12, 32, v10
                                        ; implicit-def: $vgpr10
	ds_read_u8 v3, v11
	ds_read_u8 v9, v13 offset:32
	v_cmp_gt_i32_e64 s0, 64, v12
	s_waitcnt lgkmcnt(0)
	v_cmp_lt_u16_sdwa s1, v9, v3 src0_sel:BYTE_0 src1_sel:BYTE_0
	s_or_b32 s1, vcc_lo, s1
	s_and_b32 vcc_lo, s0, s1
	s_xor_b32 s0, vcc_lo, -1
	s_and_saveexec_b32 s1, s0
	s_xor_b32 s0, exec_lo, s1
; %bb.53:
	ds_read_u8 v10, v11 offset:1
                                        ; implicit-def: $vgpr13
; %bb.54:
	s_or_saveexec_b32 s0, s0
	v_mov_b32_e32 v11, v9
	s_xor_b32 exec_lo, exec_lo, s0
	s_cbranch_execz .LBB113_56
; %bb.55:
	ds_read_u8 v11, v13 offset:33
	s_waitcnt lgkmcnt(1)
	v_mov_b32_e32 v10, v3
.LBB113_56:
	s_or_b32 exec_lo, exec_lo, s0
	v_add_nc_u32_e32 v13, 1, v8
	v_add_nc_u32_e32 v14, 1, v12
	s_waitcnt lgkmcnt(0)
	v_cmp_lt_u16_sdwa s2, v11, v10 src0_sel:BYTE_0 src1_sel:BYTE_0
                                        ; implicit-def: $vgpr16
	v_cndmask_b32_e32 v13, v13, v8, vcc_lo
	v_cndmask_b32_e32 v14, v12, v14, vcc_lo
	v_cmp_lt_i32_e64 s0, 31, v13
	v_cmp_gt_i32_e64 s1, 64, v14
	s_or_b32 s0, s0, s2
	s_and_b32 s0, s1, s0
	s_xor_b32 s1, s0, -1
	s_and_saveexec_b32 s2, s1
	s_xor_b32 s1, exec_lo, s2
; %bb.57:
	v_add_nc_u32_e32 v15, v0, v13
	ds_read_u8 v16, v15 offset:1
; %bb.58:
	s_or_saveexec_b32 s1, s1
	v_mov_b32_e32 v15, v11
	s_xor_b32 exec_lo, exec_lo, s1
	s_cbranch_execz .LBB113_60
; %bb.59:
	v_add_nc_u32_e32 v15, v0, v14
	s_waitcnt lgkmcnt(0)
	v_mov_b32_e32 v16, v10
	ds_read_u8 v15, v15 offset:1
.LBB113_60:
	s_or_b32 exec_lo, exec_lo, s1
	v_add_nc_u32_e32 v17, 1, v13
	v_add_nc_u32_e32 v18, 1, v14
	s_waitcnt lgkmcnt(0)
	v_cmp_ge_u16_sdwa s3, v15, v16 src0_sel:BYTE_0 src1_sel:BYTE_0
                                        ; implicit-def: $vgpr21
                                        ; implicit-def: $vgpr20
	v_cndmask_b32_e64 v22, v17, v13, s0
	v_cndmask_b32_e64 v18, v14, v18, s0
	v_cmp_gt_i32_e64 s1, 32, v22
	v_cmp_lt_i32_e64 s2, 63, v18
	s_and_b32 s1, s1, s3
	s_or_b32 s1, s2, s1
	s_and_saveexec_b32 s2, s1
	s_xor_b32 s1, exec_lo, s2
; %bb.61:
	v_add_nc_u32_e32 v17, v0, v22
	v_add_nc_u32_e32 v20, 1, v22
	ds_read_u8 v21, v17 offset:1
; %bb.62:
	s_or_saveexec_b32 s1, s1
	v_mov_b32_e32 v17, v16
	v_mov_b32_e32 v19, v22
	s_xor_b32 exec_lo, exec_lo, s1
	s_cbranch_execz .LBB113_64
; %bb.63:
	v_add_nc_u32_e32 v17, v0, v18
	s_waitcnt lgkmcnt(0)
	v_add_nc_u32_e32 v21, 1, v18
	v_mov_b32_e32 v19, v18
	v_mov_b32_e32 v20, v22
	ds_read_u8 v23, v17 offset:1
	v_mov_b32_e32 v17, v15
	v_mov_b32_e32 v18, v21
	;; [unrolled: 1-line block ×3, first 2 shown]
	s_waitcnt lgkmcnt(0)
	v_mov_b32_e32 v15, v23
.LBB113_64:
	s_or_b32 exec_lo, exec_lo, s1
	v_cmp_lt_i32_e64 s1, 31, v20
	s_waitcnt lgkmcnt(0)
	v_cmp_lt_u16_sdwa s3, v15, v21 src0_sel:BYTE_0 src1_sel:BYTE_0
	v_cmp_gt_i32_e64 s2, 64, v18
	v_cndmask_b32_e64 v13, v13, v14, s0
	v_cndmask_b32_e32 v8, v8, v12, vcc_lo
	s_or_b32 s1, s1, s3
	; wave barrier
	s_and_b32 s1, s2, s1
	ds_write_b8 v2, v4
	ds_write_b8 v2, v5 offset:1
	ds_write_b8 v2, v6 offset:2
	;; [unrolled: 1-line block ×3, first 2 shown]
	v_cndmask_b32_e64 v14, v20, v18, s1
	v_add_nc_u32_e32 v2, v0, v13
	v_add_nc_u32_e32 v5, v0, v8
	; wave barrier
	v_add_nc_u32_e32 v4, v0, v14
	v_add_nc_u32_e32 v0, v0, v19
	v_cndmask_b32_e64 v12, v21, v15, s1
	ds_read_u8 v2, v2
	ds_read_u8 v4, v4
	;; [unrolled: 1-line block ×4, first 2 shown]
	v_cndmask_b32_e64 v6, v10, v11, s0
	v_cndmask_b32_e32 v3, v3, v9, vcc_lo
	s_add_u32 s0, s10, s12
	s_addc_u32 s1, s11, 0
	s_waitcnt lgkmcnt(3)
	v_add_nc_u16 v2, v2, v6
	s_waitcnt lgkmcnt(2)
	v_add_nc_u16 v4, v4, v12
	;; [unrolled: 2-line block ×4, first 2 shown]
	v_lshlrev_b16 v2, 8, v2
	v_lshlrev_b16 v4, 8, v4
	v_or_b32_sdwa v2, v3, v2 dst_sel:DWORD dst_unused:UNUSED_PAD src0_sel:BYTE_0 src1_sel:DWORD
	v_or_b32_sdwa v3, v0, v4 dst_sel:WORD_1 dst_unused:UNUSED_PAD src0_sel:BYTE_0 src1_sel:DWORD
	v_add_co_u32 v0, s0, s0, v1
	v_add_co_ci_u32_e64 v1, null, s1, 0, s0
	v_or_b32_sdwa v2, v2, v3 dst_sel:DWORD dst_unused:UNUSED_PAD src0_sel:WORD_0 src1_sel:DWORD
	global_store_dword v[0:1], v2, off
	s_endpgm
	.section	.rodata,"a",@progbits
	.p2align	6, 0x0
	.amdhsa_kernel _Z10sort_pairsILj256ELj16ELj4EhN10test_utils4lessEEvPKT2_PS2_T3_
		.amdhsa_group_segment_fixed_size 1040
		.amdhsa_private_segment_fixed_size 0
		.amdhsa_kernarg_size 20
		.amdhsa_user_sgpr_count 6
		.amdhsa_user_sgpr_private_segment_buffer 1
		.amdhsa_user_sgpr_dispatch_ptr 0
		.amdhsa_user_sgpr_queue_ptr 0
		.amdhsa_user_sgpr_kernarg_segment_ptr 1
		.amdhsa_user_sgpr_dispatch_id 0
		.amdhsa_user_sgpr_flat_scratch_init 0
		.amdhsa_user_sgpr_private_segment_size 0
		.amdhsa_wavefront_size32 1
		.amdhsa_uses_dynamic_stack 0
		.amdhsa_system_sgpr_private_segment_wavefront_offset 0
		.amdhsa_system_sgpr_workgroup_id_x 1
		.amdhsa_system_sgpr_workgroup_id_y 0
		.amdhsa_system_sgpr_workgroup_id_z 0
		.amdhsa_system_sgpr_workgroup_info 0
		.amdhsa_system_vgpr_workitem_id 0
		.amdhsa_next_free_vgpr 28
		.amdhsa_next_free_sgpr 13
		.amdhsa_reserve_vcc 1
		.amdhsa_reserve_flat_scratch 0
		.amdhsa_float_round_mode_32 0
		.amdhsa_float_round_mode_16_64 0
		.amdhsa_float_denorm_mode_32 3
		.amdhsa_float_denorm_mode_16_64 3
		.amdhsa_dx10_clamp 1
		.amdhsa_ieee_mode 1
		.amdhsa_fp16_overflow 0
		.amdhsa_workgroup_processor_mode 1
		.amdhsa_memory_ordered 1
		.amdhsa_forward_progress 1
		.amdhsa_shared_vgpr_count 0
		.amdhsa_exception_fp_ieee_invalid_op 0
		.amdhsa_exception_fp_denorm_src 0
		.amdhsa_exception_fp_ieee_div_zero 0
		.amdhsa_exception_fp_ieee_overflow 0
		.amdhsa_exception_fp_ieee_underflow 0
		.amdhsa_exception_fp_ieee_inexact 0
		.amdhsa_exception_int_div_zero 0
	.end_amdhsa_kernel
	.section	.text._Z10sort_pairsILj256ELj16ELj4EhN10test_utils4lessEEvPKT2_PS2_T3_,"axG",@progbits,_Z10sort_pairsILj256ELj16ELj4EhN10test_utils4lessEEvPKT2_PS2_T3_,comdat
.Lfunc_end113:
	.size	_Z10sort_pairsILj256ELj16ELj4EhN10test_utils4lessEEvPKT2_PS2_T3_, .Lfunc_end113-_Z10sort_pairsILj256ELj16ELj4EhN10test_utils4lessEEvPKT2_PS2_T3_
                                        ; -- End function
	.set _Z10sort_pairsILj256ELj16ELj4EhN10test_utils4lessEEvPKT2_PS2_T3_.num_vgpr, 28
	.set _Z10sort_pairsILj256ELj16ELj4EhN10test_utils4lessEEvPKT2_PS2_T3_.num_agpr, 0
	.set _Z10sort_pairsILj256ELj16ELj4EhN10test_utils4lessEEvPKT2_PS2_T3_.numbered_sgpr, 13
	.set _Z10sort_pairsILj256ELj16ELj4EhN10test_utils4lessEEvPKT2_PS2_T3_.num_named_barrier, 0
	.set _Z10sort_pairsILj256ELj16ELj4EhN10test_utils4lessEEvPKT2_PS2_T3_.private_seg_size, 0
	.set _Z10sort_pairsILj256ELj16ELj4EhN10test_utils4lessEEvPKT2_PS2_T3_.uses_vcc, 1
	.set _Z10sort_pairsILj256ELj16ELj4EhN10test_utils4lessEEvPKT2_PS2_T3_.uses_flat_scratch, 0
	.set _Z10sort_pairsILj256ELj16ELj4EhN10test_utils4lessEEvPKT2_PS2_T3_.has_dyn_sized_stack, 0
	.set _Z10sort_pairsILj256ELj16ELj4EhN10test_utils4lessEEvPKT2_PS2_T3_.has_recursion, 0
	.set _Z10sort_pairsILj256ELj16ELj4EhN10test_utils4lessEEvPKT2_PS2_T3_.has_indirect_call, 0
	.section	.AMDGPU.csdata,"",@progbits
; Kernel info:
; codeLenInByte = 3828
; TotalNumSgprs: 15
; NumVgprs: 28
; ScratchSize: 0
; MemoryBound: 0
; FloatMode: 240
; IeeeMode: 1
; LDSByteSize: 1040 bytes/workgroup (compile time only)
; SGPRBlocks: 0
; VGPRBlocks: 3
; NumSGPRsForWavesPerEU: 15
; NumVGPRsForWavesPerEU: 28
; Occupancy: 16
; WaveLimiterHint : 0
; COMPUTE_PGM_RSRC2:SCRATCH_EN: 0
; COMPUTE_PGM_RSRC2:USER_SGPR: 6
; COMPUTE_PGM_RSRC2:TRAP_HANDLER: 0
; COMPUTE_PGM_RSRC2:TGID_X_EN: 1
; COMPUTE_PGM_RSRC2:TGID_Y_EN: 0
; COMPUTE_PGM_RSRC2:TGID_Z_EN: 0
; COMPUTE_PGM_RSRC2:TIDIG_COMP_CNT: 0
	.section	.text._Z19sort_keys_segmentedILj256ELj16ELj4EhN10test_utils4lessEEvPKT2_PS2_PKjT3_,"axG",@progbits,_Z19sort_keys_segmentedILj256ELj16ELj4EhN10test_utils4lessEEvPKT2_PS2_PKjT3_,comdat
	.protected	_Z19sort_keys_segmentedILj256ELj16ELj4EhN10test_utils4lessEEvPKT2_PS2_PKjT3_ ; -- Begin function _Z19sort_keys_segmentedILj256ELj16ELj4EhN10test_utils4lessEEvPKT2_PS2_PKjT3_
	.globl	_Z19sort_keys_segmentedILj256ELj16ELj4EhN10test_utils4lessEEvPKT2_PS2_PKjT3_
	.p2align	8
	.type	_Z19sort_keys_segmentedILj256ELj16ELj4EhN10test_utils4lessEEvPKT2_PS2_PKjT3_,@function
_Z19sort_keys_segmentedILj256ELj16ELj4EhN10test_utils4lessEEvPKT2_PS2_PKjT3_: ; @_Z19sort_keys_segmentedILj256ELj16ELj4EhN10test_utils4lessEEvPKT2_PS2_PKjT3_
; %bb.0:
	s_clause 0x1
	s_load_dwordx2 s[0:1], s[4:5], 0x10
	s_load_dwordx4 s[8:11], s[4:5], 0x0
	v_lshrrev_b32_e32 v7, 4, v0
	v_mov_b32_e32 v1, 0
	v_mov_b32_e32 v8, 0
	;; [unrolled: 1-line block ×3, first 2 shown]
	v_lshl_or_b32 v0, s6, 4, v7
	v_lshlrev_b64 v[2:3], 2, v[0:1]
	v_lshlrev_b32_e32 v4, 6, v0
	s_waitcnt lgkmcnt(0)
	v_add_co_u32 v2, vcc_lo, s0, v2
	v_add_co_ci_u32_e64 v3, null, s1, v3, vcc_lo
	global_load_dword v5, v[2:3], off
	v_mbcnt_lo_u32_b32 v2, -1, 0
	v_lshlrev_b32_e32 v6, 2, v2
	v_add_co_u32 v2, s0, s8, v4
	v_add_co_ci_u32_e64 v3, null, s9, 0, s0
	v_and_b32_e32 v0, 60, v6
	v_add_co_u32 v2, vcc_lo, v2, v0
	v_add_co_ci_u32_e64 v3, null, 0, v3, vcc_lo
	s_waitcnt vmcnt(0)
	v_cmp_lt_u32_e32 vcc_lo, v0, v5
	s_and_saveexec_b32 s0, vcc_lo
	s_cbranch_execz .LBB114_2
; %bb.1:
	global_load_ubyte v8, v[2:3], off
	v_mov_b32_e32 v9, 0
.LBB114_2:
	s_or_b32 exec_lo, exec_lo, s0
	v_or_b32_e32 v10, 1, v0
	v_mov_b32_e32 v11, v1
	v_cmp_lt_u32_e64 s0, v10, v5
	s_and_saveexec_b32 s1, s0
	s_cbranch_execz .LBB114_4
; %bb.3:
	global_load_ubyte v11, v[2:3], off offset:1
.LBB114_4:
	s_or_b32 exec_lo, exec_lo, s1
	v_or_b32_e32 v12, 2, v0
	v_cmp_lt_u32_e64 s1, v12, v5
	s_and_saveexec_b32 s2, s1
	s_cbranch_execz .LBB114_6
; %bb.5:
	global_load_ubyte v1, v[2:3], off offset:2
.LBB114_6:
	s_or_b32 exec_lo, exec_lo, s2
	v_or_b32_e32 v13, 3, v0
	v_cmp_lt_u32_e64 s2, v13, v5
	s_and_saveexec_b32 s3, s2
	s_cbranch_execz .LBB114_8
; %bb.7:
	global_load_ubyte v9, v[2:3], off offset:3
.LBB114_8:
	s_or_b32 exec_lo, exec_lo, s3
	s_waitcnt vmcnt(0)
	v_perm_b32 v1, v1, v9, 0xc0c0004
	v_perm_b32 v2, v8, v11, 0xc0c0004
	v_or_b32_e32 v3, 0xffffff00, v8
	v_cmp_lt_i32_e64 s3, v10, v5
	v_cmp_lt_i32_e64 s4, v13, v5
	v_lshlrev_b32_e32 v1, 16, v1
	s_mov_b32 s5, exec_lo
	v_or_b32_e32 v2, v2, v1
	v_or_b32_sdwa v1, v3, v1 dst_sel:DWORD dst_unused:UNUSED_PAD src0_sel:WORD_0 src1_sel:DWORD
	v_mov_b32_e32 v3, 0xff
	v_cndmask_b32_e64 v1, v1, v2, s3
	v_cmp_lt_i32_e64 s3, v12, v5
	v_or_b32_sdwa v3, v1, v3 dst_sel:WORD_1 dst_unused:UNUSED_PAD src0_sel:WORD_1 src1_sel:DWORD
	v_and_or_b32 v1, 0xffff, v1, v3
	v_cndmask_b32_e64 v3, v1, v2, s3
	v_cmpx_ge_i32_e64 v13, v5
; %bb.9:
	v_mov_b32_e32 v1, 0xffffff00
	v_cmp_lt_i32_e64 s3, v0, v5
	s_andn2_b32 s4, s4, exec_lo
	v_or_b32_sdwa v1, v3, v1 dst_sel:WORD_1 dst_unused:UNUSED_PAD src0_sel:WORD_1 src1_sel:DWORD
	s_and_b32 s3, s3, exec_lo
	s_or_b32 s4, s4, s3
	v_and_or_b32 v3, 0xffff, v3, v1
; %bb.10:
	s_or_b32 exec_lo, exec_lo, s5
	s_and_saveexec_b32 s5, s4
	s_cbranch_execz .LBB114_14
; %bb.11:
	v_lshrrev_b32_e32 v1, 8, v3
	v_and_b32_e32 v2, 0xff, v3
	v_and_b32_e32 v8, 0xff, v1
	v_perm_b32 v1, v3, v3, 0x7060405
	v_cmp_lt_u16_e64 s3, v8, v2
	v_cndmask_b32_e64 v3, v3, v1, s3
	v_lshrrev_b32_e32 v1, 16, v3
	v_lshrrev_b32_e32 v10, 24, v3
	v_perm_b32 v9, 0, v1, 0xc0c0001
	v_and_b32_e32 v11, 0xff, v1
	v_mov_b32_e32 v1, 0xffffff00
	v_lshlrev_b32_e32 v9, 16, v9
	v_cmp_lt_u16_e64 s3, v10, v11
	v_min_u16 v12, v10, v11
	v_and_or_b32 v9, 0xffff, v3, v9
	v_cndmask_b32_e64 v3, v3, v9, s3
	v_min_u16 v9, v8, v2
	v_max_u16 v2, v8, v2
	v_lshlrev_b16 v8, 8, v12
	v_and_b32_sdwa v13, v3, v1 dst_sel:DWORD dst_unused:UNUSED_PAD src0_sel:WORD_1 src1_sel:DWORD
	v_lshlrev_b16 v14, 8, v9
	v_min_u16 v15, v12, v2
	v_or_b32_sdwa v8, v3, v8 dst_sel:DWORD dst_unused:UNUSED_PAD src0_sel:BYTE_0 src1_sel:DWORD
	v_cmp_lt_u16_e64 s3, v12, v2
	v_or_b32_sdwa v13, v2, v13 dst_sel:WORD_1 dst_unused:UNUSED_PAD src0_sel:DWORD src1_sel:DWORD
	v_or_b32_e32 v14, v15, v14
	v_or_b32_sdwa v8, v8, v13 dst_sel:DWORD dst_unused:UNUSED_PAD src0_sel:WORD_0 src1_sel:DWORD
	v_max_u16 v13, v12, v2
	v_and_b32_e32 v14, 0xffff, v14
	v_cndmask_b32_e64 v3, v3, v8, s3
	v_max_u16 v8, v10, v11
	v_lshlrev_b16 v10, 8, v13
	v_cmp_lt_u16_e64 s3, v12, v9
	v_and_or_b32 v11, 0xffff0000, v3, v14
	v_cmp_gt_u16_e64 s4, v2, v8
	v_or_b32_sdwa v10, v8, v10 dst_sel:WORD_1 dst_unused:UNUSED_PAD src0_sel:DWORD src1_sel:DWORD
	v_cndmask_b32_e64 v2, v15, v9, s3
	v_cndmask_b32_e64 v3, v3, v11, s3
	v_cndmask_b32_e64 v8, v13, v8, s4
	v_and_or_b32 v10, 0xffff, v3, v10
	v_cndmask_b32_e64 v3, v3, v10, s4
	s_mov_b32 s4, exec_lo
	v_cmpx_lt_u16_e64 v8, v2
; %bb.12:
	v_and_b32_sdwa v1, v3, v1 dst_sel:DWORD dst_unused:UNUSED_PAD src0_sel:WORD_1 src1_sel:DWORD
	v_or_b32_sdwa v1, v2, v1 dst_sel:WORD_1 dst_unused:UNUSED_PAD src0_sel:DWORD src1_sel:DWORD
	v_perm_b32 v2, v3, v8, 0xc0c0004
	v_or_b32_e32 v3, v2, v1
; %bb.13:
	s_or_b32 exec_lo, exec_lo, s4
.LBB114_14:
	s_or_b32 exec_lo, exec_lo, s5
	v_and_b32_e32 v1, 56, v6
	v_and_b32_e32 v10, 4, v6
	v_mad_u32_u24 v13, 0x41, v7, v0
	s_mov_b32 s5, 0
	s_mov_b32 s4, exec_lo
	v_min_i32_e32 v8, v5, v1
	v_min_i32_e32 v10, v5, v10
	; wave barrier
	ds_write_b32 v13, v3
	v_add_nc_u32_e32 v1, 4, v8
	; wave barrier
	v_min_i32_e32 v9, v5, v1
	v_add_nc_u32_e32 v1, 4, v9
	v_sub_nc_u32_e32 v12, v9, v8
	v_min_i32_e32 v2, v5, v1
	v_min_i32_e32 v12, v10, v12
	v_sub_nc_u32_e32 v1, v2, v9
	v_sub_nc_u32_e32 v11, v10, v1
	v_cmp_ge_i32_e64 s3, v10, v1
	v_mul_u32_u24_e32 v1, 0x41, v7
	v_cndmask_b32_e64 v11, 0, v11, s3
	v_cmpx_lt_i32_e64 v11, v12
	s_cbranch_execz .LBB114_18
; %bb.15:
	v_add_nc_u32_e32 v3, v1, v8
	v_add3_u32 v7, v1, v9, v10
	.p2align	6
.LBB114_16:                             ; =>This Inner Loop Header: Depth=1
	v_sub_nc_u32_e32 v13, v12, v11
	v_lshrrev_b32_e32 v13, 1, v13
	v_add_nc_u32_e32 v13, v13, v11
	v_add_nc_u32_e32 v14, v3, v13
	v_xad_u32 v15, v13, -1, v7
	v_add_nc_u32_e32 v16, 1, v13
	ds_read_u8 v14, v14
	ds_read_u8 v15, v15
	s_waitcnt lgkmcnt(0)
	v_cmp_lt_u16_e64 s3, v15, v14
	v_cndmask_b32_e64 v12, v12, v13, s3
	v_cndmask_b32_e64 v11, v16, v11, s3
	v_cmp_ge_i32_e64 s3, v11, v12
	s_or_b32 s5, s3, s5
	s_andn2_b32 exec_lo, exec_lo, s5
	s_cbranch_execnz .LBB114_16
; %bb.17:
	s_or_b32 exec_lo, exec_lo, s5
.LBB114_18:
	s_or_b32 exec_lo, exec_lo, s4
	v_add_nc_u32_e32 v7, v9, v10
	v_add_nc_u32_e32 v3, v11, v8
                                        ; implicit-def: $vgpr10
	v_sub_nc_u32_e32 v12, v7, v11
	v_add_nc_u32_e32 v11, v1, v3
	v_cmp_le_i32_e64 s3, v9, v3
	v_add_nc_u32_e32 v13, v1, v12
	v_cmp_gt_i32_e64 s4, v2, v12
	ds_read_u8 v7, v11
	ds_read_u8 v8, v13
	s_waitcnt lgkmcnt(0)
	v_cmp_lt_u16_sdwa s5, v8, v7 src0_sel:BYTE_0 src1_sel:BYTE_0
	s_or_b32 s3, s3, s5
	s_and_b32 s3, s4, s3
	s_xor_b32 s4, s3, -1
	s_and_saveexec_b32 s5, s4
	s_xor_b32 s4, exec_lo, s5
; %bb.19:
	ds_read_u8 v10, v11 offset:1
                                        ; implicit-def: $vgpr13
; %bb.20:
	s_or_saveexec_b32 s4, s4
	v_mov_b32_e32 v11, v8
	s_xor_b32 exec_lo, exec_lo, s4
	s_cbranch_execz .LBB114_22
; %bb.21:
	ds_read_u8 v11, v13 offset:1
	s_waitcnt lgkmcnt(1)
	v_mov_b32_e32 v10, v7
.LBB114_22:
	s_or_b32 exec_lo, exec_lo, s4
	v_add_nc_u32_e32 v13, 1, v3
	v_add_nc_u32_e32 v14, 1, v12
	s_waitcnt lgkmcnt(0)
	v_cmp_lt_u16_sdwa s6, v11, v10 src0_sel:BYTE_0 src1_sel:BYTE_0
	v_cndmask_b32_e64 v13, v13, v3, s3
	v_cndmask_b32_e64 v3, v12, v14, s3
                                        ; implicit-def: $vgpr12
	v_cmp_ge_i32_e64 s4, v13, v9
	v_cmp_lt_i32_e64 s5, v3, v2
	s_or_b32 s4, s4, s6
	s_and_b32 s4, s5, s4
	s_xor_b32 s5, s4, -1
	s_and_saveexec_b32 s6, s5
	s_xor_b32 s5, exec_lo, s6
; %bb.23:
	v_add_nc_u32_e32 v12, v1, v13
	ds_read_u8 v12, v12 offset:1
; %bb.24:
	s_or_saveexec_b32 s5, s5
	v_mov_b32_e32 v14, v11
	s_xor_b32 exec_lo, exec_lo, s5
	s_cbranch_execz .LBB114_26
; %bb.25:
	s_waitcnt lgkmcnt(0)
	v_add_nc_u32_e32 v12, v1, v3
	ds_read_u8 v14, v12 offset:1
	v_mov_b32_e32 v12, v10
.LBB114_26:
	s_or_b32 exec_lo, exec_lo, s5
	v_add_nc_u32_e32 v15, 1, v13
	v_add_nc_u32_e32 v16, 1, v3
	s_waitcnt lgkmcnt(0)
	v_cmp_lt_u16_sdwa s7, v14, v12 src0_sel:BYTE_0 src1_sel:BYTE_0
	v_cndmask_b32_e64 v17, v15, v13, s4
	v_cndmask_b32_e64 v15, v3, v16, s4
                                        ; implicit-def: $vgpr16
	v_cmp_ge_i32_e64 s5, v17, v9
	v_cmp_lt_i32_e64 s6, v15, v2
	s_or_b32 s5, s5, s7
	s_and_b32 s5, s6, s5
	s_xor_b32 s6, s5, -1
	s_and_saveexec_b32 s7, s6
	s_xor_b32 s6, exec_lo, s7
; %bb.27:
	v_add_nc_u32_e32 v3, v1, v17
	ds_read_u8 v16, v3 offset:1
; %bb.28:
	s_or_saveexec_b32 s6, s6
	v_mov_b32_e32 v18, v14
	s_xor_b32 exec_lo, exec_lo, s6
	s_cbranch_execz .LBB114_30
; %bb.29:
	v_add_nc_u32_e32 v3, v1, v15
	s_waitcnt lgkmcnt(0)
	v_mov_b32_e32 v16, v12
	ds_read_u8 v18, v3 offset:1
.LBB114_30:
	s_or_b32 exec_lo, exec_lo, s6
	v_and_b32_e32 v3, 48, v6
	v_add_nc_u32_e32 v19, 1, v17
	v_cndmask_b32_e64 v12, v12, v14, s5
	v_add_nc_u32_e32 v14, 1, v15
	v_cndmask_b32_e64 v11, v10, v11, s4
	v_min_i32_e32 v13, v5, v3
	v_cndmask_b32_e64 v10, v19, v17, s5
	v_cndmask_b32_e64 v21, v7, v8, s3
	;; [unrolled: 1-line block ×3, first 2 shown]
	v_and_b32_e32 v7, 12, v6
	v_add_nc_u32_e32 v3, 8, v13
	s_waitcnt lgkmcnt(0)
	v_cmp_lt_u16_sdwa s6, v18, v16 src0_sel:BYTE_0 src1_sel:BYTE_0
	v_cmp_ge_i32_e64 s3, v10, v9
	v_cmp_lt_i32_e64 s4, v14, v2
	v_min_i32_e32 v7, v5, v7
	v_min_i32_e32 v3, v5, v3
	v_add_nc_u32_e32 v2, v1, v0
	s_or_b32 s3, s3, s6
	s_mov_b32 s5, 0
	s_and_b32 s3, s4, s3
	v_add_nc_u32_e32 v20, 8, v3
	v_sub_nc_u32_e32 v14, v3, v13
	v_cndmask_b32_e64 v15, v16, v18, s3
	s_mov_b32 s4, exec_lo
	v_min_i32_e32 v8, v5, v20
	; wave barrier
	ds_write_b8 v2, v21
	ds_write_b8 v2, v11 offset:1
	ds_write_b8 v2, v12 offset:2
	;; [unrolled: 1-line block ×3, first 2 shown]
	; wave barrier
	v_sub_nc_u32_e32 v9, v8, v3
	v_sub_nc_u32_e32 v10, v7, v9
	v_cmp_ge_i32_e64 s3, v7, v9
	v_cndmask_b32_e64 v9, 0, v10, s3
	v_min_i32_e32 v10, v7, v14
	v_cmpx_lt_i32_e64 v9, v10
	s_cbranch_execz .LBB114_34
; %bb.31:
	v_add_nc_u32_e32 v11, v1, v13
	v_add3_u32 v12, v1, v3, v7
	.p2align	6
.LBB114_32:                             ; =>This Inner Loop Header: Depth=1
	v_sub_nc_u32_e32 v14, v10, v9
	v_lshrrev_b32_e32 v14, 1, v14
	v_add_nc_u32_e32 v14, v14, v9
	v_add_nc_u32_e32 v15, v11, v14
	v_xad_u32 v16, v14, -1, v12
	v_add_nc_u32_e32 v17, 1, v14
	ds_read_u8 v15, v15
	ds_read_u8 v16, v16
	s_waitcnt lgkmcnt(0)
	v_cmp_lt_u16_e64 s3, v16, v15
	v_cndmask_b32_e64 v10, v10, v14, s3
	v_cndmask_b32_e64 v9, v17, v9, s3
	v_cmp_ge_i32_e64 s3, v9, v10
	s_or_b32 s5, s3, s5
	s_andn2_b32 exec_lo, exec_lo, s5
	s_cbranch_execnz .LBB114_32
; %bb.33:
	s_or_b32 exec_lo, exec_lo, s5
.LBB114_34:
	s_or_b32 exec_lo, exec_lo, s4
	v_add_nc_u32_e32 v10, v3, v7
	v_add_nc_u32_e32 v7, v9, v13
	v_sub_nc_u32_e32 v13, v10, v9
	v_add_nc_u32_e32 v12, v1, v7
	v_cmp_le_i32_e64 s3, v3, v7
                                        ; implicit-def: $vgpr9
	v_add_nc_u32_e32 v14, v1, v13
	v_cmp_gt_i32_e64 s4, v8, v13
	ds_read_u8 v10, v12
	ds_read_u8 v11, v14
	s_waitcnt lgkmcnt(0)
	v_cmp_lt_u16_sdwa s5, v11, v10 src0_sel:BYTE_0 src1_sel:BYTE_0
	s_or_b32 s3, s3, s5
	s_and_b32 s3, s4, s3
	s_xor_b32 s4, s3, -1
	s_and_saveexec_b32 s5, s4
	s_xor_b32 s4, exec_lo, s5
; %bb.35:
	ds_read_u8 v9, v12 offset:1
                                        ; implicit-def: $vgpr14
; %bb.36:
	s_or_saveexec_b32 s4, s4
	v_mov_b32_e32 v12, v11
	s_xor_b32 exec_lo, exec_lo, s4
	s_cbranch_execz .LBB114_38
; %bb.37:
	ds_read_u8 v12, v14 offset:1
	s_waitcnt lgkmcnt(1)
	v_mov_b32_e32 v9, v10
.LBB114_38:
	s_or_b32 exec_lo, exec_lo, s4
	v_add_nc_u32_e32 v14, 1, v7
	v_add_nc_u32_e32 v15, 1, v13
	s_waitcnt lgkmcnt(0)
	v_cmp_lt_u16_sdwa s6, v12, v9 src0_sel:BYTE_0 src1_sel:BYTE_0
	v_cndmask_b32_e64 v14, v14, v7, s3
	v_cndmask_b32_e64 v7, v13, v15, s3
                                        ; implicit-def: $vgpr13
	v_cmp_ge_i32_e64 s4, v14, v3
	v_cmp_lt_i32_e64 s5, v7, v8
	s_or_b32 s4, s4, s6
	s_and_b32 s4, s5, s4
	s_xor_b32 s5, s4, -1
	s_and_saveexec_b32 s6, s5
	s_xor_b32 s5, exec_lo, s6
; %bb.39:
	v_add_nc_u32_e32 v13, v1, v14
	ds_read_u8 v13, v13 offset:1
; %bb.40:
	s_or_saveexec_b32 s5, s5
	v_mov_b32_e32 v15, v12
	s_xor_b32 exec_lo, exec_lo, s5
	s_cbranch_execz .LBB114_42
; %bb.41:
	s_waitcnt lgkmcnt(0)
	v_add_nc_u32_e32 v13, v1, v7
	ds_read_u8 v15, v13 offset:1
	v_mov_b32_e32 v13, v9
.LBB114_42:
	s_or_b32 exec_lo, exec_lo, s5
	v_add_nc_u32_e32 v16, 1, v14
	v_add_nc_u32_e32 v17, 1, v7
	s_waitcnt lgkmcnt(0)
	v_cmp_lt_u16_sdwa s7, v15, v13 src0_sel:BYTE_0 src1_sel:BYTE_0
	v_cndmask_b32_e64 v18, v16, v14, s4
	v_cndmask_b32_e64 v16, v7, v17, s4
                                        ; implicit-def: $vgpr17
	v_cmp_ge_i32_e64 s5, v18, v3
	v_cmp_lt_i32_e64 s6, v16, v8
	s_or_b32 s5, s5, s7
	s_and_b32 s5, s6, s5
	s_xor_b32 s6, s5, -1
	s_and_saveexec_b32 s7, s6
	s_xor_b32 s6, exec_lo, s7
; %bb.43:
	v_add_nc_u32_e32 v7, v1, v18
	ds_read_u8 v17, v7 offset:1
; %bb.44:
	s_or_saveexec_b32 s6, s6
	v_mov_b32_e32 v19, v15
	s_xor_b32 exec_lo, exec_lo, s6
	s_cbranch_execz .LBB114_46
; %bb.45:
	v_add_nc_u32_e32 v7, v1, v16
	s_waitcnt lgkmcnt(0)
	v_mov_b32_e32 v17, v13
	ds_read_u8 v19, v7 offset:1
.LBB114_46:
	s_or_b32 exec_lo, exec_lo, s6
	v_and_b32_e32 v7, 32, v6
	v_cndmask_b32_e64 v13, v13, v15, s5
	v_add_nc_u32_e32 v15, 1, v18
	v_add_nc_u32_e32 v21, 1, v16
	v_cndmask_b32_e64 v12, v9, v12, s4
	v_min_i32_e32 v14, v5, v7
	v_and_b32_e32 v6, 28, v6
	v_cndmask_b32_e64 v15, v15, v18, s5
	v_cndmask_b32_e64 v16, v16, v21, s5
	s_waitcnt lgkmcnt(0)
	v_cmp_lt_u16_sdwa s6, v19, v17 src0_sel:BYTE_0 src1_sel:BYTE_0
	v_add_nc_u32_e32 v7, 16, v14
	v_cndmask_b32_e64 v10, v10, v11, s3
	v_cmp_ge_i32_e64 s4, v15, v3
	v_cmp_lt_i32_e64 s3, v16, v8
	v_min_i32_e32 v6, v5, v6
	v_min_i32_e32 v7, v5, v7
	s_mov_b32 s5, 0
	s_or_b32 s4, s4, s6
	s_and_b32 s3, s3, s4
	v_add_nc_u32_e32 v20, 16, v7
	v_sub_nc_u32_e32 v11, v7, v14
	v_cndmask_b32_e64 v15, v17, v19, s3
	s_mov_b32 s4, exec_lo
	; wave barrier
	v_min_i32_e32 v9, v5, v20
	ds_write_b8 v2, v10
	ds_write_b8 v2, v12 offset:1
	ds_write_b8 v2, v13 offset:2
	;; [unrolled: 1-line block ×3, first 2 shown]
	; wave barrier
	v_sub_nc_u32_e32 v3, v9, v7
	v_sub_nc_u32_e32 v8, v6, v3
	v_cmp_ge_i32_e64 s3, v6, v3
	v_cndmask_b32_e64 v3, 0, v8, s3
	v_min_i32_e32 v8, v6, v11
	v_cmpx_lt_i32_e64 v3, v8
	s_cbranch_execz .LBB114_50
; %bb.47:
	v_add_nc_u32_e32 v10, v1, v14
	v_add3_u32 v11, v1, v7, v6
	.p2align	6
.LBB114_48:                             ; =>This Inner Loop Header: Depth=1
	v_sub_nc_u32_e32 v12, v8, v3
	v_lshrrev_b32_e32 v12, 1, v12
	v_add_nc_u32_e32 v12, v12, v3
	v_add_nc_u32_e32 v13, v10, v12
	v_xad_u32 v15, v12, -1, v11
	v_add_nc_u32_e32 v16, 1, v12
	ds_read_u8 v13, v13
	ds_read_u8 v15, v15
	s_waitcnt lgkmcnt(0)
	v_cmp_lt_u16_e64 s3, v15, v13
	v_cndmask_b32_e64 v8, v8, v12, s3
	v_cndmask_b32_e64 v3, v16, v3, s3
	v_cmp_ge_i32_e64 s3, v3, v8
	s_or_b32 s5, s3, s5
	s_andn2_b32 exec_lo, exec_lo, s5
	s_cbranch_execnz .LBB114_48
; %bb.49:
	s_or_b32 exec_lo, exec_lo, s5
.LBB114_50:
	s_or_b32 exec_lo, exec_lo, s4
	v_add_nc_u32_e32 v6, v7, v6
	v_add_nc_u32_e32 v12, v3, v14
	v_sub_nc_u32_e32 v3, v6, v3
	v_add_nc_u32_e32 v11, v1, v12
	v_cmp_le_i32_e64 s3, v7, v12
                                        ; implicit-def: $vgpr6
	v_add_nc_u32_e32 v13, v1, v3
	v_cmp_gt_i32_e64 s4, v9, v3
	ds_read_u8 v8, v11
	ds_read_u8 v10, v13
	s_waitcnt lgkmcnt(0)
	v_cmp_lt_u16_sdwa s5, v10, v8 src0_sel:BYTE_0 src1_sel:BYTE_0
	s_or_b32 s3, s3, s5
	s_and_b32 s3, s4, s3
	s_xor_b32 s4, s3, -1
	s_and_saveexec_b32 s5, s4
	s_xor_b32 s4, exec_lo, s5
; %bb.51:
	ds_read_u8 v6, v11 offset:1
                                        ; implicit-def: $vgpr13
; %bb.52:
	s_or_saveexec_b32 s4, s4
	v_mov_b32_e32 v11, v10
	s_xor_b32 exec_lo, exec_lo, s4
	s_cbranch_execz .LBB114_54
; %bb.53:
	ds_read_u8 v11, v13 offset:1
	s_waitcnt lgkmcnt(1)
	v_mov_b32_e32 v6, v8
.LBB114_54:
	s_or_b32 exec_lo, exec_lo, s4
	v_add_nc_u32_e32 v13, 1, v12
	v_add_nc_u32_e32 v14, 1, v3
	s_waitcnt lgkmcnt(0)
	v_cmp_lt_u16_sdwa s6, v11, v6 src0_sel:BYTE_0 src1_sel:BYTE_0
	v_cndmask_b32_e64 v13, v13, v12, s3
	v_cndmask_b32_e64 v3, v3, v14, s3
                                        ; implicit-def: $vgpr12
	v_cmp_ge_i32_e64 s4, v13, v7
	v_cmp_lt_i32_e64 s5, v3, v9
	s_or_b32 s4, s4, s6
	s_and_b32 s4, s5, s4
	s_xor_b32 s5, s4, -1
	s_and_saveexec_b32 s6, s5
	s_xor_b32 s5, exec_lo, s6
; %bb.55:
	v_add_nc_u32_e32 v12, v1, v13
	ds_read_u8 v12, v12 offset:1
; %bb.56:
	s_or_saveexec_b32 s5, s5
	v_mov_b32_e32 v14, v11
	s_xor_b32 exec_lo, exec_lo, s5
	s_cbranch_execz .LBB114_58
; %bb.57:
	s_waitcnt lgkmcnt(0)
	v_add_nc_u32_e32 v12, v1, v3
	ds_read_u8 v14, v12 offset:1
	v_mov_b32_e32 v12, v6
.LBB114_58:
	s_or_b32 exec_lo, exec_lo, s5
	v_add_nc_u32_e32 v15, 1, v13
	v_add_nc_u32_e32 v16, 1, v3
	s_waitcnt lgkmcnt(0)
	v_cmp_lt_u16_sdwa s7, v14, v12 src0_sel:BYTE_0 src1_sel:BYTE_0
	v_cndmask_b32_e64 v17, v15, v13, s4
	v_cndmask_b32_e64 v15, v3, v16, s4
                                        ; implicit-def: $vgpr16
	v_cmp_ge_i32_e64 s5, v17, v7
	v_cmp_lt_i32_e64 s6, v15, v9
	s_or_b32 s5, s5, s7
	s_and_b32 s5, s6, s5
	s_xor_b32 s6, s5, -1
	s_and_saveexec_b32 s7, s6
	s_xor_b32 s6, exec_lo, s7
; %bb.59:
	v_add_nc_u32_e32 v3, v1, v17
	ds_read_u8 v16, v3 offset:1
; %bb.60:
	s_or_saveexec_b32 s6, s6
	v_mov_b32_e32 v18, v14
	s_xor_b32 exec_lo, exec_lo, s6
	s_cbranch_execz .LBB114_62
; %bb.61:
	v_add_nc_u32_e32 v3, v1, v15
	s_waitcnt lgkmcnt(0)
	v_mov_b32_e32 v16, v12
	ds_read_u8 v18, v3 offset:1
.LBB114_62:
	s_or_b32 exec_lo, exec_lo, s6
	v_min_i32_e32 v13, 0, v5
	v_add_nc_u32_e32 v19, 1, v17
	v_cndmask_b32_e64 v12, v12, v14, s5
	v_add_nc_u32_e32 v14, 1, v15
	v_cndmask_b32_e64 v11, v6, v11, s4
	;; [unrolled: 2-line block ×3, first 2 shown]
	s_waitcnt lgkmcnt(0)
	v_cmp_lt_u16_sdwa s6, v18, v16 src0_sel:BYTE_0 src1_sel:BYTE_0
	v_cndmask_b32_e64 v14, v15, v14, s5
	v_cndmask_b32_e64 v10, v8, v10, s3
	v_min_i32_e32 v3, v5, v3
	v_cmp_ge_i32_e64 s4, v17, v7
	s_mov_b32 s5, 0
	v_cmp_lt_i32_e64 s3, v14, v9
	v_add_nc_u32_e32 v20, 32, v3
	s_or_b32 s4, s4, s6
	v_sub_nc_u32_e32 v9, v3, v13
	s_and_b32 s3, s3, s4
	s_mov_b32 s4, exec_lo
	v_min_i32_e32 v6, v5, v20
	v_min_i32_e32 v5, v5, v0
	v_cndmask_b32_e64 v14, v16, v18, s3
	; wave barrier
	ds_write_b8 v2, v10
	ds_write_b8 v2, v11 offset:1
	ds_write_b8 v2, v12 offset:2
	;; [unrolled: 1-line block ×3, first 2 shown]
	v_sub_nc_u32_e32 v7, v6, v3
	; wave barrier
	v_sub_nc_u32_e32 v8, v5, v7
	v_cmp_ge_i32_e64 s3, v5, v7
	v_cndmask_b32_e64 v7, 0, v8, s3
	v_min_i32_e32 v8, v5, v9
	v_cmpx_lt_i32_e64 v7, v8
	s_cbranch_execz .LBB114_66
; %bb.63:
	v_add_nc_u32_e32 v2, v1, v13
	v_add3_u32 v9, v1, v3, v5
	.p2align	6
.LBB114_64:                             ; =>This Inner Loop Header: Depth=1
	v_sub_nc_u32_e32 v10, v8, v7
	v_lshrrev_b32_e32 v10, 1, v10
	v_add_nc_u32_e32 v10, v10, v7
	v_add_nc_u32_e32 v11, v2, v10
	v_xad_u32 v12, v10, -1, v9
	v_add_nc_u32_e32 v14, 1, v10
	ds_read_u8 v11, v11
	ds_read_u8 v12, v12
	s_waitcnt lgkmcnt(0)
	v_cmp_lt_u16_e64 s3, v12, v11
	v_cndmask_b32_e64 v8, v8, v10, s3
	v_cndmask_b32_e64 v7, v14, v7, s3
	v_cmp_ge_i32_e64 s3, v7, v8
	s_or_b32 s5, s3, s5
	s_andn2_b32 exec_lo, exec_lo, s5
	s_cbranch_execnz .LBB114_64
; %bb.65:
	s_or_b32 exec_lo, exec_lo, s5
.LBB114_66:
	s_or_b32 exec_lo, exec_lo, s4
	v_add_nc_u32_e32 v2, v3, v5
	v_add_nc_u32_e32 v9, v7, v13
	v_sub_nc_u32_e32 v10, v2, v7
	v_add_nc_u32_e32 v8, v1, v9
	v_cmp_le_i32_e64 s3, v3, v9
                                        ; implicit-def: $vgpr7
	v_add_nc_u32_e32 v11, v1, v10
	v_cmp_gt_i32_e64 s4, v6, v10
	ds_read_u8 v2, v8
	ds_read_u8 v5, v11
	s_waitcnt lgkmcnt(0)
	v_cmp_lt_u16_sdwa s5, v5, v2 src0_sel:BYTE_0 src1_sel:BYTE_0
	s_or_b32 s3, s3, s5
	s_and_b32 s3, s4, s3
	s_xor_b32 s4, s3, -1
	s_and_saveexec_b32 s5, s4
	s_xor_b32 s4, exec_lo, s5
; %bb.67:
	ds_read_u8 v7, v8 offset:1
                                        ; implicit-def: $vgpr11
; %bb.68:
	s_or_saveexec_b32 s4, s4
	v_mov_b32_e32 v8, v5
	s_xor_b32 exec_lo, exec_lo, s4
	s_cbranch_execz .LBB114_70
; %bb.69:
	ds_read_u8 v8, v11 offset:1
	s_waitcnt lgkmcnt(1)
	v_mov_b32_e32 v7, v2
.LBB114_70:
	s_or_b32 exec_lo, exec_lo, s4
	v_add_nc_u32_e32 v11, 1, v9
	v_add_nc_u32_e32 v13, 1, v10
	s_waitcnt lgkmcnt(0)
	v_cmp_lt_u16_sdwa s6, v8, v7 src0_sel:BYTE_0 src1_sel:BYTE_0
	v_cndmask_b32_e64 v12, v11, v9, s3
	v_cndmask_b32_e64 v11, v10, v13, s3
                                        ; implicit-def: $vgpr9
	v_cmp_ge_i32_e64 s4, v12, v3
	v_cmp_lt_i32_e64 s5, v11, v6
	s_or_b32 s4, s4, s6
	s_and_b32 s4, s5, s4
	s_xor_b32 s5, s4, -1
	s_and_saveexec_b32 s6, s5
	s_xor_b32 s5, exec_lo, s6
; %bb.71:
	v_add_nc_u32_e32 v9, v1, v12
	ds_read_u8 v9, v9 offset:1
; %bb.72:
	s_or_saveexec_b32 s5, s5
	v_mov_b32_e32 v10, v8
	s_xor_b32 exec_lo, exec_lo, s5
	s_cbranch_execz .LBB114_74
; %bb.73:
	s_waitcnt lgkmcnt(0)
	v_add_nc_u32_e32 v9, v1, v11
	ds_read_u8 v10, v9 offset:1
	v_mov_b32_e32 v9, v7
.LBB114_74:
	s_or_b32 exec_lo, exec_lo, s5
	v_add_nc_u32_e32 v13, 1, v12
	v_add_nc_u32_e32 v14, 1, v11
	s_waitcnt lgkmcnt(0)
	v_cmp_lt_u16_sdwa s7, v10, v9 src0_sel:BYTE_0 src1_sel:BYTE_0
	v_cndmask_b32_e64 v15, v13, v12, s4
	v_cndmask_b32_e64 v11, v11, v14, s4
                                        ; implicit-def: $vgpr12
                                        ; implicit-def: $vgpr13
	v_cmp_ge_i32_e64 s5, v15, v3
	v_cmp_lt_i32_e64 s6, v11, v6
	s_or_b32 s5, s5, s7
	s_and_b32 s5, s6, s5
	s_xor_b32 s6, s5, -1
	s_and_saveexec_b32 s7, s6
	s_xor_b32 s6, exec_lo, s7
; %bb.75:
	v_add_nc_u32_e32 v1, v1, v15
	v_add_nc_u32_e32 v13, 1, v15
                                        ; implicit-def: $vgpr15
	ds_read_u8 v12, v1 offset:1
                                        ; implicit-def: $vgpr1
; %bb.76:
	s_or_saveexec_b32 s6, s6
	v_mov_b32_e32 v14, v10
	s_xor_b32 exec_lo, exec_lo, s6
	s_cbranch_execz .LBB114_78
; %bb.77:
	v_add_nc_u32_e32 v1, v1, v11
	v_add_nc_u32_e32 v11, 1, v11
	v_mov_b32_e32 v13, v15
	s_waitcnt lgkmcnt(0)
	v_mov_b32_e32 v12, v9
	ds_read_u8 v14, v1 offset:1
.LBB114_78:
	s_or_b32 exec_lo, exec_lo, s6
	v_add_co_u32 v1, s6, s10, v4
	v_add_co_ci_u32_e64 v4, null, s11, 0, s6
	v_add_co_u32 v0, s6, v1, v0
	v_add_co_ci_u32_e64 v1, null, 0, v4, s6
	s_and_saveexec_b32 s6, vcc_lo
	s_cbranch_execnz .LBB114_83
; %bb.79:
	s_or_b32 exec_lo, exec_lo, s6
	s_and_saveexec_b32 s3, s0
	s_cbranch_execnz .LBB114_84
.LBB114_80:
	s_or_b32 exec_lo, exec_lo, s3
	s_and_saveexec_b32 s0, s1
	s_cbranch_execnz .LBB114_85
.LBB114_81:
	s_or_b32 exec_lo, exec_lo, s0
	s_and_saveexec_b32 s0, s2
	s_cbranch_execnz .LBB114_86
.LBB114_82:
	s_endpgm
.LBB114_83:
	v_cndmask_b32_e64 v2, v2, v5, s3
	global_store_byte v[0:1], v2, off
	s_or_b32 exec_lo, exec_lo, s6
	s_and_saveexec_b32 s3, s0
	s_cbranch_execz .LBB114_80
.LBB114_84:
	v_cndmask_b32_e64 v2, v7, v8, s4
	global_store_byte v[0:1], v2, off offset:1
	s_or_b32 exec_lo, exec_lo, s3
	s_and_saveexec_b32 s0, s1
	s_cbranch_execz .LBB114_81
.LBB114_85:
	v_cndmask_b32_e64 v2, v9, v10, s5
	global_store_byte v[0:1], v2, off offset:2
	s_or_b32 exec_lo, exec_lo, s0
	s_and_saveexec_b32 s0, s2
	s_cbranch_execz .LBB114_82
.LBB114_86:
	v_cmp_ge_i32_e32 vcc_lo, v13, v3
	s_waitcnt lgkmcnt(0)
	v_cmp_lt_u16_sdwa s1, v14, v12 src0_sel:BYTE_0 src1_sel:BYTE_0
	v_cmp_lt_i32_e64 s0, v11, v6
	s_or_b32 s1, vcc_lo, s1
	s_and_b32 vcc_lo, s0, s1
	v_cndmask_b32_e32 v2, v12, v14, vcc_lo
	global_store_byte v[0:1], v2, off offset:3
	s_endpgm
	.section	.rodata,"a",@progbits
	.p2align	6, 0x0
	.amdhsa_kernel _Z19sort_keys_segmentedILj256ELj16ELj4EhN10test_utils4lessEEvPKT2_PS2_PKjT3_
		.amdhsa_group_segment_fixed_size 1040
		.amdhsa_private_segment_fixed_size 0
		.amdhsa_kernarg_size 28
		.amdhsa_user_sgpr_count 6
		.amdhsa_user_sgpr_private_segment_buffer 1
		.amdhsa_user_sgpr_dispatch_ptr 0
		.amdhsa_user_sgpr_queue_ptr 0
		.amdhsa_user_sgpr_kernarg_segment_ptr 1
		.amdhsa_user_sgpr_dispatch_id 0
		.amdhsa_user_sgpr_flat_scratch_init 0
		.amdhsa_user_sgpr_private_segment_size 0
		.amdhsa_wavefront_size32 1
		.amdhsa_uses_dynamic_stack 0
		.amdhsa_system_sgpr_private_segment_wavefront_offset 0
		.amdhsa_system_sgpr_workgroup_id_x 1
		.amdhsa_system_sgpr_workgroup_id_y 0
		.amdhsa_system_sgpr_workgroup_id_z 0
		.amdhsa_system_sgpr_workgroup_info 0
		.amdhsa_system_vgpr_workitem_id 0
		.amdhsa_next_free_vgpr 22
		.amdhsa_next_free_sgpr 12
		.amdhsa_reserve_vcc 1
		.amdhsa_reserve_flat_scratch 0
		.amdhsa_float_round_mode_32 0
		.amdhsa_float_round_mode_16_64 0
		.amdhsa_float_denorm_mode_32 3
		.amdhsa_float_denorm_mode_16_64 3
		.amdhsa_dx10_clamp 1
		.amdhsa_ieee_mode 1
		.amdhsa_fp16_overflow 0
		.amdhsa_workgroup_processor_mode 1
		.amdhsa_memory_ordered 1
		.amdhsa_forward_progress 1
		.amdhsa_shared_vgpr_count 0
		.amdhsa_exception_fp_ieee_invalid_op 0
		.amdhsa_exception_fp_denorm_src 0
		.amdhsa_exception_fp_ieee_div_zero 0
		.amdhsa_exception_fp_ieee_overflow 0
		.amdhsa_exception_fp_ieee_underflow 0
		.amdhsa_exception_fp_ieee_inexact 0
		.amdhsa_exception_int_div_zero 0
	.end_amdhsa_kernel
	.section	.text._Z19sort_keys_segmentedILj256ELj16ELj4EhN10test_utils4lessEEvPKT2_PS2_PKjT3_,"axG",@progbits,_Z19sort_keys_segmentedILj256ELj16ELj4EhN10test_utils4lessEEvPKT2_PS2_PKjT3_,comdat
.Lfunc_end114:
	.size	_Z19sort_keys_segmentedILj256ELj16ELj4EhN10test_utils4lessEEvPKT2_PS2_PKjT3_, .Lfunc_end114-_Z19sort_keys_segmentedILj256ELj16ELj4EhN10test_utils4lessEEvPKT2_PS2_PKjT3_
                                        ; -- End function
	.set _Z19sort_keys_segmentedILj256ELj16ELj4EhN10test_utils4lessEEvPKT2_PS2_PKjT3_.num_vgpr, 22
	.set _Z19sort_keys_segmentedILj256ELj16ELj4EhN10test_utils4lessEEvPKT2_PS2_PKjT3_.num_agpr, 0
	.set _Z19sort_keys_segmentedILj256ELj16ELj4EhN10test_utils4lessEEvPKT2_PS2_PKjT3_.numbered_sgpr, 12
	.set _Z19sort_keys_segmentedILj256ELj16ELj4EhN10test_utils4lessEEvPKT2_PS2_PKjT3_.num_named_barrier, 0
	.set _Z19sort_keys_segmentedILj256ELj16ELj4EhN10test_utils4lessEEvPKT2_PS2_PKjT3_.private_seg_size, 0
	.set _Z19sort_keys_segmentedILj256ELj16ELj4EhN10test_utils4lessEEvPKT2_PS2_PKjT3_.uses_vcc, 1
	.set _Z19sort_keys_segmentedILj256ELj16ELj4EhN10test_utils4lessEEvPKT2_PS2_PKjT3_.uses_flat_scratch, 0
	.set _Z19sort_keys_segmentedILj256ELj16ELj4EhN10test_utils4lessEEvPKT2_PS2_PKjT3_.has_dyn_sized_stack, 0
	.set _Z19sort_keys_segmentedILj256ELj16ELj4EhN10test_utils4lessEEvPKT2_PS2_PKjT3_.has_recursion, 0
	.set _Z19sort_keys_segmentedILj256ELj16ELj4EhN10test_utils4lessEEvPKT2_PS2_PKjT3_.has_indirect_call, 0
	.section	.AMDGPU.csdata,"",@progbits
; Kernel info:
; codeLenInByte = 3772
; TotalNumSgprs: 14
; NumVgprs: 22
; ScratchSize: 0
; MemoryBound: 0
; FloatMode: 240
; IeeeMode: 1
; LDSByteSize: 1040 bytes/workgroup (compile time only)
; SGPRBlocks: 0
; VGPRBlocks: 2
; NumSGPRsForWavesPerEU: 14
; NumVGPRsForWavesPerEU: 22
; Occupancy: 16
; WaveLimiterHint : 0
; COMPUTE_PGM_RSRC2:SCRATCH_EN: 0
; COMPUTE_PGM_RSRC2:USER_SGPR: 6
; COMPUTE_PGM_RSRC2:TRAP_HANDLER: 0
; COMPUTE_PGM_RSRC2:TGID_X_EN: 1
; COMPUTE_PGM_RSRC2:TGID_Y_EN: 0
; COMPUTE_PGM_RSRC2:TGID_Z_EN: 0
; COMPUTE_PGM_RSRC2:TIDIG_COMP_CNT: 0
	.section	.text._Z20sort_pairs_segmentedILj256ELj16ELj4EhN10test_utils4lessEEvPKT2_PS2_PKjT3_,"axG",@progbits,_Z20sort_pairs_segmentedILj256ELj16ELj4EhN10test_utils4lessEEvPKT2_PS2_PKjT3_,comdat
	.protected	_Z20sort_pairs_segmentedILj256ELj16ELj4EhN10test_utils4lessEEvPKT2_PS2_PKjT3_ ; -- Begin function _Z20sort_pairs_segmentedILj256ELj16ELj4EhN10test_utils4lessEEvPKT2_PS2_PKjT3_
	.globl	_Z20sort_pairs_segmentedILj256ELj16ELj4EhN10test_utils4lessEEvPKT2_PS2_PKjT3_
	.p2align	8
	.type	_Z20sort_pairs_segmentedILj256ELj16ELj4EhN10test_utils4lessEEvPKT2_PS2_PKjT3_,@function
_Z20sort_pairs_segmentedILj256ELj16ELj4EhN10test_utils4lessEEvPKT2_PS2_PKjT3_: ; @_Z20sort_pairs_segmentedILj256ELj16ELj4EhN10test_utils4lessEEvPKT2_PS2_PKjT3_
; %bb.0:
	s_clause 0x1
	s_load_dwordx2 s[0:1], s[4:5], 0x10
	s_load_dwordx4 s[8:11], s[4:5], 0x0
	v_lshrrev_b32_e32 v7, 4, v0
	v_mov_b32_e32 v1, 0
	v_mov_b32_e32 v9, 0
	;; [unrolled: 1-line block ×3, first 2 shown]
	v_lshl_or_b32 v0, s6, 4, v7
	v_lshlrev_b64 v[2:3], 2, v[0:1]
	v_lshlrev_b32_e32 v4, 6, v0
	s_waitcnt lgkmcnt(0)
	v_add_co_u32 v2, vcc_lo, s0, v2
	v_add_co_ci_u32_e64 v3, null, s1, v3, vcc_lo
	global_load_dword v5, v[2:3], off
	v_mbcnt_lo_u32_b32 v2, -1, 0
	v_lshlrev_b32_e32 v6, 2, v2
	v_add_co_u32 v2, s0, s8, v4
	v_add_co_ci_u32_e64 v3, null, s9, 0, s0
	v_and_b32_e32 v0, 60, v6
	v_add_co_u32 v2, vcc_lo, v2, v0
	v_add_co_ci_u32_e64 v3, null, 0, v3, vcc_lo
	s_waitcnt vmcnt(0)
	v_cmp_lt_u32_e64 s0, v0, v5
	s_and_saveexec_b32 s1, s0
	s_cbranch_execz .LBB115_2
; %bb.1:
	global_load_ubyte v9, v[2:3], off
	v_mov_b32_e32 v8, 0
.LBB115_2:
	s_or_b32 exec_lo, exec_lo, s1
	v_or_b32_e32 v10, 1, v0
	v_mov_b32_e32 v12, v1
	v_cmp_lt_u32_e64 s1, v10, v5
	s_and_saveexec_b32 s2, s1
	s_cbranch_execz .LBB115_4
; %bb.3:
	global_load_ubyte v12, v[2:3], off offset:1
.LBB115_4:
	s_or_b32 exec_lo, exec_lo, s2
	v_or_b32_e32 v11, 2, v0
	v_cmp_lt_u32_e64 s2, v11, v5
	s_and_saveexec_b32 s3, s2
	s_cbranch_execz .LBB115_6
; %bb.5:
	global_load_ubyte v1, v[2:3], off offset:2
.LBB115_6:
	s_or_b32 exec_lo, exec_lo, s3
	v_or_b32_e32 v13, 3, v0
	v_cmp_lt_u32_e64 s3, v13, v5
	s_and_saveexec_b32 s4, s3
	s_cbranch_execz .LBB115_8
; %bb.7:
	global_load_ubyte v8, v[2:3], off offset:3
.LBB115_8:
	s_or_b32 exec_lo, exec_lo, s4
	s_waitcnt vmcnt(0)
	v_add_nc_u16 v2, v9, 1
	v_mov_b32_e32 v3, 0xffff
	v_add_nc_u16 v14, v1, 1
	v_perm_b32 v1, v1, v8, 0xc0c0004
	v_cmp_lt_i32_e32 vcc_lo, v10, v5
	v_lshlrev_b16 v8, 8, v8
	v_and_b32_sdwa v2, v3, v2 dst_sel:DWORD dst_unused:UNUSED_PAD src0_sel:DWORD src1_sel:BYTE_0
	v_lshlrev_b16 v3, 8, v12
	v_lshlrev_b32_e32 v1, 16, v1
	v_cmp_lt_i32_e64 s5, v13, v5
	s_mov_b32 s4, exec_lo
	v_cndmask_b32_e64 v2, 0, v2, s0
	v_or_b32_e32 v3, v3, v2
	v_add_nc_u16 v3, 0x100, v3
	v_and_b32_e32 v3, 0xffff, v3
	v_cndmask_b32_e64 v2, v2, v3, s1
	v_perm_b32 v3, v9, v12, 0xc0c0004
	v_or_b32_e32 v9, 0xffffff00, v9
	v_perm_b32 v12, v14, v2, 0xc0c0304
	v_or_b32_e32 v3, v3, v1
	v_or_b32_sdwa v1, v9, v1 dst_sel:DWORD dst_unused:UNUSED_PAD src0_sel:WORD_0 src1_sel:DWORD
	v_mov_b32_e32 v9, 0xff
	v_lshl_or_b32 v12, v12, 16, v2
	v_cndmask_b32_e32 v1, v1, v3, vcc_lo
	v_cmp_lt_i32_e32 vcc_lo, v11, v5
	v_cndmask_b32_e64 v2, v2, v12, s2
	v_and_b32_sdwa v10, v2, v9 dst_sel:DWORD dst_unused:UNUSED_PAD src0_sel:WORD_1 src1_sel:DWORD
	v_or_b32_sdwa v9, v1, v9 dst_sel:WORD_1 dst_unused:UNUSED_PAD src0_sel:WORD_1 src1_sel:DWORD
	v_or_b32_e32 v8, v8, v10
	v_and_or_b32 v1, 0xffff, v1, v9
                                        ; implicit-def: $vgpr9
	v_add_nc_u16 v8, 0x100, v8
	v_cndmask_b32_e32 v1, v1, v3, vcc_lo
	v_lshlrev_b32_e32 v3, 16, v8
	v_lshrrev_b32_e32 v11, 24, v1
	v_lshrrev_b32_e32 v10, 16, v1
	;; [unrolled: 1-line block ×3, first 2 shown]
	v_and_or_b32 v3, 0xffff, v2, v3
	v_cmpx_ge_i32_e64 v13, v5
; %bb.9:
	v_mov_b32_e32 v9, 0xffffff00
	v_cmp_lt_i32_e32 vcc_lo, v0, v5
	v_mov_b32_e32 v11, 0xff
	s_andn2_b32 s5, s5, exec_lo
	v_or_b32_sdwa v9, v10, v9 dst_sel:WORD_1 dst_unused:UNUSED_PAD src0_sel:DWORD src1_sel:DWORD
	s_and_b32 s6, vcc_lo, exec_lo
	s_or_b32 s5, s5, s6
	v_and_or_b32 v9, 0xffff, v1, v9
; %bb.10:
	s_or_b32 exec_lo, exec_lo, s4
	v_cndmask_b32_e64 v3, v2, v3, s3
	s_and_saveexec_b32 s4, s5
	s_cbranch_execz .LBB115_14
; %bb.11:
	v_perm_b32 v2, v10, v11, 0xc0c0004
	v_perm_b32 v9, v8, v1, 0xc0c0004
	;; [unrolled: 1-line block ×4, first 2 shown]
	v_cmp_lt_u16_sdwa vcc_lo, v8, v1 src0_sel:BYTE_0 src1_sel:BYTE_0
	v_lshlrev_b32_e32 v2, 16, v2
	v_cndmask_b32_e32 v1, v3, v11, vcc_lo
	v_or_b32_e32 v9, v9, v2
	v_or_b32_e32 v2, v10, v2
	v_mov_b32_e32 v11, 0xffffff00
	v_lshrrev_b32_e32 v3, 16, v1
	v_cndmask_b32_e32 v2, v2, v9, vcc_lo
	v_perm_b32 v3, 0, v3, 0xc0c0001
	v_lshrrev_b32_e32 v8, 16, v2
	v_lshrrev_b32_e32 v10, 24, v2
	v_lshlrev_b32_e32 v3, 16, v3
	v_perm_b32 v9, 0, v8, 0xc0c0001
	v_and_b32_e32 v8, 0xff, v8
	v_and_or_b32 v3, 0xffff, v1, v3
	v_lshlrev_b32_e32 v9, 16, v9
	v_cmp_lt_u16_e32 vcc_lo, v10, v8
	v_and_or_b32 v9, 0xffff, v2, v9
	v_cndmask_b32_e32 v1, v1, v3, vcc_lo
	v_min_u16 v3, v10, v8
	v_cndmask_b32_e32 v2, v2, v9, vcc_lo
	v_lshlrev_b16 v8, 8, v3
	v_and_b32_sdwa v9, v2, v11 dst_sel:DWORD dst_unused:UNUSED_PAD src0_sel:WORD_1 src1_sel:DWORD
	v_lshrrev_b32_e32 v10, 8, v2
	v_or_b32_sdwa v8, v2, v8 dst_sel:DWORD dst_unused:UNUSED_PAD src0_sel:BYTE_0 src1_sel:DWORD
	v_perm_b32 v11, v1, v1, 0x7050604
	v_or_b32_sdwa v9, v2, v9 dst_sel:WORD_1 dst_unused:UNUSED_PAD src0_sel:BYTE_1 src1_sel:DWORD
	v_and_b32_e32 v10, 0xff, v10
	v_or_b32_sdwa v8, v8, v9 dst_sel:DWORD dst_unused:UNUSED_PAD src0_sel:WORD_0 src1_sel:DWORD
	v_cmp_lt_u16_e32 vcc_lo, v3, v10
	v_min_u16 v3, v3, v10
	v_cndmask_b32_e32 v2, v2, v8, vcc_lo
	v_cndmask_b32_e32 v1, v1, v11, vcc_lo
	v_lshlrev_b16 v8, 8, v2
	v_perm_b32 v9, 0, v1, 0xc0c0001
	v_cmp_lt_u16_sdwa vcc_lo, v3, v2 src0_sel:DWORD src1_sel:BYTE_0
	v_or_b32_e32 v8, v3, v8
	v_and_or_b32 v9, 0xffff0000, v1, v9
	v_and_b32_e32 v8, 0xffff, v8
	v_cndmask_b32_e32 v1, v1, v9, vcc_lo
	v_and_or_b32 v8, 0xffff0000, v2, v8
	v_lshrrev_b32_e32 v3, 16, v1
	v_cndmask_b32_e32 v2, v2, v8, vcc_lo
	v_perm_b32 v3, 0, v3, 0xc0c0001
	v_lshrrev_b32_e32 v8, 16, v2
	v_lshrrev_b32_e32 v10, 24, v2
	v_lshlrev_b32_e32 v3, 16, v3
	v_perm_b32 v9, 0, v8, 0xc0c0001
	v_and_b32_e32 v8, 0xff, v8
	v_and_or_b32 v3, 0xffff, v1, v3
	v_lshlrev_b32_e32 v9, 16, v9
	v_cmp_lt_u16_e32 vcc_lo, v10, v8
	v_and_or_b32 v9, 0xffff, v2, v9
	v_cndmask_b32_e32 v3, v1, v3, vcc_lo
	v_min_u16 v1, v10, v8
	v_cndmask_b32_e32 v9, v2, v9, vcc_lo
	v_lshrrev_b32_e32 v2, 8, v9
	v_cmp_lt_u16_sdwa s6, v1, v2 src0_sel:DWORD src1_sel:BYTE_0
	s_and_saveexec_b32 s5, s6
; %bb.12:
	v_perm_b32 v9, v9, v1, 0x7050004
	v_perm_b32 v3, v3, v3, 0x7050604
; %bb.13:
	s_or_b32 exec_lo, exec_lo, s5
.LBB115_14:
	s_or_b32 exec_lo, exec_lo, s4
	v_and_b32_e32 v1, 56, v6
	v_and_b32_e32 v11, 4, v6
	v_mad_u32_u24 v14, 0x41, v7, v0
	s_mov_b32 s5, 0
	s_mov_b32 s4, exec_lo
	v_min_i32_e32 v10, v5, v1
	v_min_i32_e32 v11, v5, v11
	; wave barrier
	ds_write_b32 v14, v9
	v_add_nc_u32_e32 v1, 4, v10
	; wave barrier
	v_min_i32_e32 v2, v5, v1
	v_add_nc_u32_e32 v1, 4, v2
	v_sub_nc_u32_e32 v13, v2, v10
	v_min_i32_e32 v8, v5, v1
	v_min_i32_e32 v13, v11, v13
	v_sub_nc_u32_e32 v1, v8, v2
	v_sub_nc_u32_e32 v12, v11, v1
	v_cmp_ge_i32_e32 vcc_lo, v11, v1
	v_mul_u32_u24_e32 v1, 0x41, v7
	v_cndmask_b32_e32 v12, 0, v12, vcc_lo
	v_cmpx_lt_i32_e64 v12, v13
	s_cbranch_execz .LBB115_18
; %bb.15:
	v_add_nc_u32_e32 v7, v1, v10
	v_add3_u32 v9, v1, v2, v11
	.p2align	6
.LBB115_16:                             ; =>This Inner Loop Header: Depth=1
	v_sub_nc_u32_e32 v14, v13, v12
	v_lshrrev_b32_e32 v14, 1, v14
	v_add_nc_u32_e32 v14, v14, v12
	v_add_nc_u32_e32 v15, v7, v14
	v_xad_u32 v16, v14, -1, v9
	v_add_nc_u32_e32 v17, 1, v14
	ds_read_u8 v15, v15
	ds_read_u8 v16, v16
	s_waitcnt lgkmcnt(0)
	v_cmp_lt_u16_e32 vcc_lo, v16, v15
	v_cndmask_b32_e32 v13, v13, v14, vcc_lo
	v_cndmask_b32_e32 v12, v17, v12, vcc_lo
	v_cmp_ge_i32_e32 vcc_lo, v12, v13
	s_or_b32 s5, vcc_lo, s5
	s_andn2_b32 exec_lo, exec_lo, s5
	s_cbranch_execnz .LBB115_16
; %bb.17:
	s_or_b32 exec_lo, exec_lo, s5
.LBB115_18:
	s_or_b32 exec_lo, exec_lo, s4
	v_add_nc_u32_e32 v9, v2, v11
	v_add_nc_u32_e32 v7, v12, v10
                                        ; implicit-def: $vgpr14
	v_sub_nc_u32_e32 v9, v9, v12
	v_add_nc_u32_e32 v11, v1, v7
	v_cmp_le_i32_e32 vcc_lo, v2, v7
	v_add_nc_u32_e32 v10, v1, v9
	v_cmp_gt_i32_e64 s4, v8, v9
	ds_read_u8 v12, v11
	ds_read_u8 v13, v10
	s_waitcnt lgkmcnt(0)
	v_cmp_lt_u16_sdwa s5, v13, v12 src0_sel:BYTE_0 src1_sel:BYTE_0
	s_or_b32 s5, vcc_lo, s5
	s_and_b32 vcc_lo, s4, s5
	s_xor_b32 s4, vcc_lo, -1
	s_and_saveexec_b32 s5, s4
	s_xor_b32 s4, exec_lo, s5
; %bb.19:
	ds_read_u8 v14, v11 offset:1
                                        ; implicit-def: $vgpr10
; %bb.20:
	s_or_saveexec_b32 s4, s4
	v_mov_b32_e32 v15, v13
	s_xor_b32 exec_lo, exec_lo, s4
	s_cbranch_execz .LBB115_22
; %bb.21:
	ds_read_u8 v15, v10 offset:1
	s_waitcnt lgkmcnt(1)
	v_mov_b32_e32 v14, v12
.LBB115_22:
	s_or_b32 exec_lo, exec_lo, s4
	v_add_nc_u32_e32 v10, 1, v7
	v_add_nc_u32_e32 v11, 1, v9
	s_waitcnt lgkmcnt(0)
	v_cmp_lt_u16_sdwa s6, v15, v14 src0_sel:BYTE_0 src1_sel:BYTE_0
                                        ; implicit-def: $vgpr16
	v_cndmask_b32_e32 v10, v10, v7, vcc_lo
	v_cndmask_b32_e32 v11, v9, v11, vcc_lo
	v_cmp_ge_i32_e64 s4, v10, v2
	v_cmp_lt_i32_e64 s5, v11, v8
	s_or_b32 s4, s4, s6
	s_and_b32 s4, s5, s4
	s_xor_b32 s5, s4, -1
	s_and_saveexec_b32 s6, s5
	s_xor_b32 s5, exec_lo, s6
; %bb.23:
	v_add_nc_u32_e32 v16, v1, v10
	ds_read_u8 v16, v16 offset:1
; %bb.24:
	s_or_saveexec_b32 s5, s5
	v_mov_b32_e32 v17, v15
	s_xor_b32 exec_lo, exec_lo, s5
	s_cbranch_execz .LBB115_26
; %bb.25:
	s_waitcnt lgkmcnt(0)
	v_add_nc_u32_e32 v16, v1, v11
	ds_read_u8 v17, v16 offset:1
	v_mov_b32_e32 v16, v14
.LBB115_26:
	s_or_b32 exec_lo, exec_lo, s5
	v_add_nc_u32_e32 v18, 1, v10
	v_add_nc_u32_e32 v19, 1, v11
	s_waitcnt lgkmcnt(0)
	v_cmp_lt_u16_sdwa s7, v17, v16 src0_sel:BYTE_0 src1_sel:BYTE_0
                                        ; implicit-def: $vgpr20
	v_cndmask_b32_e64 v18, v18, v10, s4
	v_cndmask_b32_e64 v19, v11, v19, s4
	v_cmp_ge_i32_e64 s5, v18, v2
	v_cmp_lt_i32_e64 s6, v19, v8
	s_or_b32 s5, s5, s7
	s_and_b32 s5, s6, s5
	s_xor_b32 s6, s5, -1
	s_and_saveexec_b32 s7, s6
	s_xor_b32 s6, exec_lo, s7
; %bb.27:
	v_add_nc_u32_e32 v20, v1, v18
	ds_read_u8 v20, v20 offset:1
; %bb.28:
	s_or_saveexec_b32 s6, s6
	v_mov_b32_e32 v21, v17
	s_xor_b32 exec_lo, exec_lo, s6
	s_cbranch_execz .LBB115_30
; %bb.29:
	s_waitcnt lgkmcnt(0)
	v_add_nc_u32_e32 v20, v1, v19
	ds_read_u8 v21, v20 offset:1
	v_mov_b32_e32 v20, v16
.LBB115_30:
	s_or_b32 exec_lo, exec_lo, s6
	v_add_nc_u32_e32 v22, 1, v18
	v_add_nc_u32_e32 v24, 1, v19
	v_and_b32_e32 v23, 48, v6
	v_cndmask_b32_e64 v10, v10, v11, s4
	v_cndmask_b32_e64 v25, v18, v19, s5
	v_cndmask_b32_e64 v11, v22, v18, s5
	v_cndmask_b32_e64 v19, v19, v24, s5
	v_min_i32_e32 v18, v5, v23
	s_waitcnt lgkmcnt(0)
	v_cmp_lt_u16_sdwa s8, v21, v20 src0_sel:BYTE_0 src1_sel:BYTE_0
	v_cndmask_b32_e32 v9, v7, v9, vcc_lo
	v_cmp_ge_i32_e64 s6, v11, v2
	v_cmp_lt_i32_e64 s7, v19, v8
	v_add_nc_u32_e32 v7, 8, v18
	v_add_nc_u32_e32 v2, v1, v0
	;; [unrolled: 1-line block ×3, first 2 shown]
	s_or_b32 s6, s6, s8
	v_add_nc_u32_e32 v10, v1, v10
	s_and_b32 s6, s7, s6
	v_min_i32_e32 v7, v5, v7
	v_cndmask_b32_e64 v8, v11, v19, s6
	v_and_b32_e32 v11, 12, v6
	; wave barrier
	v_cndmask_b32_e64 v20, v20, v21, s6
	ds_write_b32 v2, v3
	v_add_nc_u32_e32 v3, 8, v7
	v_add_nc_u32_e32 v21, v1, v25
	;; [unrolled: 1-line block ×3, first 2 shown]
	; wave barrier
	v_min_i32_e32 v19, v5, v11
	ds_read_u8 v8, v9
	ds_read_u8 v9, v10
	;; [unrolled: 1-line block ×4, first 2 shown]
	v_min_i32_e32 v3, v5, v3
	v_cndmask_b32_e64 v16, v16, v17, s5
	v_cndmask_b32_e64 v14, v14, v15, s4
	v_sub_nc_u32_e32 v17, v7, v18
	v_cndmask_b32_e32 v21, v12, v13, vcc_lo
	v_sub_nc_u32_e32 v23, v3, v7
	s_mov_b32 s5, 0
	s_mov_b32 s4, exec_lo
	v_min_i32_e32 v13, v19, v17
	v_sub_nc_u32_e32 v15, v19, v23
	v_cmp_ge_i32_e32 vcc_lo, v19, v23
	; wave barrier
	ds_write_b8 v2, v21
	ds_write_b8 v2, v14 offset:1
	ds_write_b8 v2, v16 offset:2
	;; [unrolled: 1-line block ×3, first 2 shown]
	; wave barrier
	v_cndmask_b32_e32 v12, 0, v15, vcc_lo
	v_cmpx_lt_i32_e64 v12, v13
	s_cbranch_execz .LBB115_34
; %bb.31:
	v_add_nc_u32_e32 v14, v1, v18
	v_add3_u32 v15, v1, v7, v19
	.p2align	6
.LBB115_32:                             ; =>This Inner Loop Header: Depth=1
	v_sub_nc_u32_e32 v16, v13, v12
	v_lshrrev_b32_e32 v16, 1, v16
	v_add_nc_u32_e32 v16, v16, v12
	v_add_nc_u32_e32 v17, v14, v16
	v_xad_u32 v20, v16, -1, v15
	v_add_nc_u32_e32 v21, 1, v16
	ds_read_u8 v17, v17
	ds_read_u8 v20, v20
	s_waitcnt lgkmcnt(0)
	v_cmp_lt_u16_e32 vcc_lo, v20, v17
	v_cndmask_b32_e32 v13, v13, v16, vcc_lo
	v_cndmask_b32_e32 v12, v21, v12, vcc_lo
	v_cmp_ge_i32_e32 vcc_lo, v12, v13
	s_or_b32 s5, vcc_lo, s5
	s_andn2_b32 exec_lo, exec_lo, s5
	s_cbranch_execnz .LBB115_32
; %bb.33:
	s_or_b32 exec_lo, exec_lo, s5
.LBB115_34:
	s_or_b32 exec_lo, exec_lo, s4
	v_add_nc_u32_e32 v13, v7, v19
	v_add_nc_u32_e32 v16, v12, v18
                                        ; implicit-def: $vgpr14
	v_sub_nc_u32_e32 v17, v13, v12
	v_add_nc_u32_e32 v15, v1, v16
	v_cmp_le_i32_e32 vcc_lo, v7, v16
	v_add_nc_u32_e32 v18, v1, v17
	v_cmp_gt_i32_e64 s4, v3, v17
	ds_read_u8 v12, v15
	ds_read_u8 v13, v18
	s_waitcnt lgkmcnt(0)
	v_cmp_lt_u16_sdwa s5, v13, v12 src0_sel:BYTE_0 src1_sel:BYTE_0
	s_or_b32 s5, vcc_lo, s5
	s_and_b32 vcc_lo, s4, s5
	s_xor_b32 s4, vcc_lo, -1
	s_and_saveexec_b32 s5, s4
	s_xor_b32 s4, exec_lo, s5
; %bb.35:
	ds_read_u8 v14, v15 offset:1
                                        ; implicit-def: $vgpr18
; %bb.36:
	s_or_saveexec_b32 s4, s4
	v_mov_b32_e32 v15, v13
	s_xor_b32 exec_lo, exec_lo, s4
	s_cbranch_execz .LBB115_38
; %bb.37:
	ds_read_u8 v15, v18 offset:1
	s_waitcnt lgkmcnt(1)
	v_mov_b32_e32 v14, v12
.LBB115_38:
	s_or_b32 exec_lo, exec_lo, s4
	v_add_nc_u32_e32 v18, 1, v16
	v_add_nc_u32_e32 v19, 1, v17
	s_waitcnt lgkmcnt(0)
	v_cmp_lt_u16_sdwa s6, v15, v14 src0_sel:BYTE_0 src1_sel:BYTE_0
	v_cndmask_b32_e32 v20, v18, v16, vcc_lo
	v_cndmask_b32_e32 v21, v17, v19, vcc_lo
                                        ; implicit-def: $vgpr18
	v_cmp_ge_i32_e64 s4, v20, v7
	v_cmp_lt_i32_e64 s5, v21, v3
	s_or_b32 s4, s4, s6
	s_and_b32 s4, s5, s4
	s_xor_b32 s5, s4, -1
	s_and_saveexec_b32 s6, s5
	s_xor_b32 s5, exec_lo, s6
; %bb.39:
	v_add_nc_u32_e32 v18, v1, v20
	ds_read_u8 v18, v18 offset:1
; %bb.40:
	s_or_saveexec_b32 s5, s5
	v_mov_b32_e32 v19, v15
	s_xor_b32 exec_lo, exec_lo, s5
	s_cbranch_execz .LBB115_42
; %bb.41:
	s_waitcnt lgkmcnt(0)
	v_add_nc_u32_e32 v18, v1, v21
	ds_read_u8 v19, v18 offset:1
	v_mov_b32_e32 v18, v14
.LBB115_42:
	s_or_b32 exec_lo, exec_lo, s5
	v_add_nc_u32_e32 v22, 1, v20
	v_add_nc_u32_e32 v23, 1, v21
	s_waitcnt lgkmcnt(0)
	v_cmp_lt_u16_sdwa s7, v19, v18 src0_sel:BYTE_0 src1_sel:BYTE_0
	v_cndmask_b32_e64 v24, v22, v20, s4
	v_cndmask_b32_e64 v22, v21, v23, s4
                                        ; implicit-def: $vgpr23
	v_cmp_ge_i32_e64 s5, v24, v7
	v_cmp_lt_i32_e64 s6, v22, v3
	s_or_b32 s5, s5, s7
	s_and_b32 s5, s6, s5
	s_xor_b32 s6, s5, -1
	s_and_saveexec_b32 s7, s6
	s_xor_b32 s6, exec_lo, s7
; %bb.43:
	v_add_nc_u32_e32 v23, v1, v24
	ds_read_u8 v23, v23 offset:1
; %bb.44:
	s_or_saveexec_b32 s6, s6
	v_mov_b32_e32 v25, v19
	s_xor_b32 exec_lo, exec_lo, s6
	s_cbranch_execz .LBB115_46
; %bb.45:
	s_waitcnt lgkmcnt(0)
	v_add_nc_u32_e32 v23, v1, v22
	ds_read_u8 v25, v23 offset:1
	v_mov_b32_e32 v23, v18
.LBB115_46:
	s_or_b32 exec_lo, exec_lo, s6
	v_add_nc_u32_e32 v26, 1, v24
	v_and_b32_e32 v27, 32, v6
	v_add_nc_u32_e32 v28, 1, v22
	v_cndmask_b32_e64 v29, v24, v22, s5
	v_cndmask_b32_e64 v21, v20, v21, s4
	;; [unrolled: 1-line block ×3, first 2 shown]
	v_min_i32_e32 v20, v5, v27
	v_cndmask_b32_e64 v22, v22, v28, s5
	s_waitcnt lgkmcnt(0)
	v_cmp_lt_u16_sdwa s8, v25, v23 src0_sel:BYTE_0 src1_sel:BYTE_0
	v_cndmask_b32_e32 v16, v16, v17, vcc_lo
	v_cmp_ge_i32_e64 s6, v24, v7
	v_add_nc_u32_e32 v7, 16, v20
	v_cmp_lt_i32_e64 s7, v22, v3
	; wave barrier
	s_or_b32 s6, s6, s8
	v_min_i32_e32 v3, v5, v7
	s_and_b32 s6, s7, s6
	ds_write_b8 v2, v8
	ds_write_b8 v2, v9 offset:1
	ds_write_b8 v2, v10 offset:2
	;; [unrolled: 1-line block ×3, first 2 shown]
	v_cndmask_b32_e64 v7, v24, v22, s6
	v_add_nc_u32_e32 v10, v1, v16
	v_add_nc_u32_e32 v8, 16, v3
	v_and_b32_e32 v6, 28, v6
	v_add_nc_u32_e32 v16, v1, v29
	; wave barrier
	v_min_i32_e32 v9, v5, v8
	v_add_nc_u32_e32 v8, v1, v21
	v_add_nc_u32_e32 v21, v1, v7
	v_min_i32_e32 v11, v5, v6
	ds_read_u8 v10, v10
	ds_read_u8 v7, v8
	;; [unrolled: 1-line block ×4, first 2 shown]
	v_sub_nc_u32_e32 v22, v9, v3
	v_cndmask_b32_e64 v16, v18, v19, s5
	v_cndmask_b32_e64 v14, v14, v15, s4
	v_sub_nc_u32_e32 v18, v3, v20
	v_cndmask_b32_e32 v19, v12, v13, vcc_lo
	v_sub_nc_u32_e32 v15, v11, v22
	v_cmp_ge_i32_e32 vcc_lo, v11, v22
	v_cndmask_b32_e64 v17, v23, v25, s6
	v_min_i32_e32 v13, v11, v18
	s_mov_b32 s5, 0
	s_mov_b32 s4, exec_lo
	v_cndmask_b32_e32 v12, 0, v15, vcc_lo
	; wave barrier
	ds_write_b8 v2, v19
	ds_write_b8 v2, v14 offset:1
	ds_write_b8 v2, v16 offset:2
	;; [unrolled: 1-line block ×3, first 2 shown]
	; wave barrier
	v_cmpx_lt_i32_e64 v12, v13
	s_cbranch_execz .LBB115_50
; %bb.47:
	v_add_nc_u32_e32 v14, v1, v20
	v_add3_u32 v15, v1, v3, v11
	.p2align	6
.LBB115_48:                             ; =>This Inner Loop Header: Depth=1
	v_sub_nc_u32_e32 v16, v13, v12
	v_lshrrev_b32_e32 v16, 1, v16
	v_add_nc_u32_e32 v16, v16, v12
	v_add_nc_u32_e32 v17, v14, v16
	v_xad_u32 v18, v16, -1, v15
	v_add_nc_u32_e32 v19, 1, v16
	ds_read_u8 v17, v17
	ds_read_u8 v18, v18
	s_waitcnt lgkmcnt(0)
	v_cmp_lt_u16_e32 vcc_lo, v18, v17
	v_cndmask_b32_e32 v13, v13, v16, vcc_lo
	v_cndmask_b32_e32 v12, v19, v12, vcc_lo
	v_cmp_ge_i32_e32 vcc_lo, v12, v13
	s_or_b32 s5, vcc_lo, s5
	s_andn2_b32 exec_lo, exec_lo, s5
	s_cbranch_execnz .LBB115_48
; %bb.49:
	s_or_b32 exec_lo, exec_lo, s5
.LBB115_50:
	s_or_b32 exec_lo, exec_lo, s4
	v_add_nc_u32_e32 v11, v3, v11
	v_add_nc_u32_e32 v16, v12, v20
                                        ; implicit-def: $vgpr13
	v_sub_nc_u32_e32 v17, v11, v12
	v_add_nc_u32_e32 v14, v1, v16
	v_cmp_le_i32_e32 vcc_lo, v3, v16
	v_add_nc_u32_e32 v15, v1, v17
	v_cmp_gt_i32_e64 s4, v9, v17
	ds_read_u8 v11, v14
	ds_read_u8 v12, v15
	s_waitcnt lgkmcnt(0)
	v_cmp_lt_u16_sdwa s5, v12, v11 src0_sel:BYTE_0 src1_sel:BYTE_0
	s_or_b32 s5, vcc_lo, s5
	s_and_b32 vcc_lo, s4, s5
	s_xor_b32 s4, vcc_lo, -1
	s_and_saveexec_b32 s5, s4
	s_xor_b32 s4, exec_lo, s5
; %bb.51:
	ds_read_u8 v13, v14 offset:1
                                        ; implicit-def: $vgpr15
; %bb.52:
	s_or_saveexec_b32 s4, s4
	v_mov_b32_e32 v14, v12
	s_xor_b32 exec_lo, exec_lo, s4
	s_cbranch_execz .LBB115_54
; %bb.53:
	ds_read_u8 v14, v15 offset:1
	s_waitcnt lgkmcnt(1)
	v_mov_b32_e32 v13, v11
.LBB115_54:
	s_or_b32 exec_lo, exec_lo, s4
	v_add_nc_u32_e32 v15, 1, v16
	v_add_nc_u32_e32 v18, 1, v17
	s_waitcnt lgkmcnt(0)
	v_cmp_lt_u16_sdwa s6, v14, v13 src0_sel:BYTE_0 src1_sel:BYTE_0
	v_cndmask_b32_e32 v19, v15, v16, vcc_lo
	v_cndmask_b32_e32 v20, v17, v18, vcc_lo
                                        ; implicit-def: $vgpr15
	v_cmp_ge_i32_e64 s4, v19, v3
	v_cmp_lt_i32_e64 s5, v20, v9
	s_or_b32 s4, s4, s6
	s_and_b32 s4, s5, s4
	s_xor_b32 s5, s4, -1
	s_and_saveexec_b32 s6, s5
	s_xor_b32 s5, exec_lo, s6
; %bb.55:
	v_add_nc_u32_e32 v15, v1, v19
	ds_read_u8 v15, v15 offset:1
; %bb.56:
	s_or_saveexec_b32 s5, s5
	v_mov_b32_e32 v18, v14
	s_xor_b32 exec_lo, exec_lo, s5
	s_cbranch_execz .LBB115_58
; %bb.57:
	s_waitcnt lgkmcnt(0)
	v_add_nc_u32_e32 v15, v1, v20
	ds_read_u8 v18, v15 offset:1
	v_mov_b32_e32 v15, v13
.LBB115_58:
	s_or_b32 exec_lo, exec_lo, s5
	v_add_nc_u32_e32 v21, 1, v19
	v_add_nc_u32_e32 v22, 1, v20
	s_waitcnt lgkmcnt(0)
	v_cmp_lt_u16_sdwa s7, v18, v15 src0_sel:BYTE_0 src1_sel:BYTE_0
	v_cndmask_b32_e64 v24, v21, v19, s4
	v_cndmask_b32_e64 v21, v20, v22, s4
                                        ; implicit-def: $vgpr22
	v_cmp_ge_i32_e64 s5, v24, v3
	v_cmp_lt_i32_e64 s6, v21, v9
	s_or_b32 s5, s5, s7
	s_and_b32 s5, s6, s5
	s_xor_b32 s6, s5, -1
	s_and_saveexec_b32 s7, s6
	s_xor_b32 s6, exec_lo, s7
; %bb.59:
	v_add_nc_u32_e32 v22, v1, v24
	ds_read_u8 v22, v22 offset:1
; %bb.60:
	s_or_saveexec_b32 s6, s6
	v_mov_b32_e32 v23, v18
	s_xor_b32 exec_lo, exec_lo, s6
	s_cbranch_execz .LBB115_62
; %bb.61:
	s_waitcnt lgkmcnt(0)
	v_add_nc_u32_e32 v22, v1, v21
	ds_read_u8 v23, v22 offset:1
	v_mov_b32_e32 v22, v15
.LBB115_62:
	s_or_b32 exec_lo, exec_lo, s6
	v_add_nc_u32_e32 v25, 1, v24
	v_add_nc_u32_e32 v26, 1, v21
	v_cndmask_b32_e64 v19, v19, v20, s4
	v_cndmask_b32_e32 v17, v16, v17, vcc_lo
	v_min_i32_e32 v16, 0, v5
	v_cndmask_b32_e64 v20, v25, v24, s5
	v_cndmask_b32_e64 v27, v24, v21, s5
	;; [unrolled: 1-line block ×3, first 2 shown]
	s_waitcnt lgkmcnt(0)
	v_cmp_lt_u16_sdwa s8, v23, v22 src0_sel:BYTE_0 src1_sel:BYTE_0
	v_cmp_ge_i32_e64 s6, v20, v3
	v_add_nc_u32_e32 v3, 32, v16
	v_cmp_lt_i32_e64 s7, v21, v9
	; wave barrier
	ds_write_b8 v2, v10
	s_or_b32 s6, s6, s8
	v_min_i32_e32 v9, v5, v3
	s_and_b32 s6, s7, s6
	ds_write_b8 v2, v7 offset:1
	ds_write_b8 v2, v8 offset:2
	v_cndmask_b32_e64 v10, v20, v21, s6
	ds_write_b8 v2, v6 offset:3
	v_add_nc_u32_e32 v3, 32, v9
	v_add_nc_u32_e32 v6, v1, v17
	;; [unrolled: 1-line block ×5, first 2 shown]
	; wave barrier
	v_min_i32_e32 v3, v5, v3
	v_min_i32_e32 v10, v5, v0
	ds_read_u8 v7, v6
	ds_read_u8 v8, v8
	;; [unrolled: 1-line block ×4, first 2 shown]
	v_cndmask_b32_e64 v15, v15, v18, s5
	v_cndmask_b32_e64 v13, v13, v14, s4
	v_sub_nc_u32_e32 v20, v3, v9
	v_sub_nc_u32_e32 v17, v9, v16
	v_cndmask_b32_e32 v18, v11, v12, vcc_lo
	v_cndmask_b32_e64 v22, v22, v23, s6
	s_mov_b32 s5, 0
	v_sub_nc_u32_e32 v14, v10, v20
	v_cmp_ge_i32_e32 vcc_lo, v10, v20
	v_min_i32_e32 v12, v10, v17
	s_mov_b32 s4, exec_lo
	; wave barrier
	v_cndmask_b32_e32 v11, 0, v14, vcc_lo
	ds_write_b8 v2, v18
	ds_write_b8 v2, v13 offset:1
	ds_write_b8 v2, v15 offset:2
	;; [unrolled: 1-line block ×3, first 2 shown]
	; wave barrier
	v_cmpx_lt_i32_e64 v11, v12
	s_cbranch_execz .LBB115_66
; %bb.63:
	v_add_nc_u32_e32 v13, v1, v16
	v_add3_u32 v14, v1, v9, v10
	.p2align	6
.LBB115_64:                             ; =>This Inner Loop Header: Depth=1
	v_sub_nc_u32_e32 v15, v12, v11
	v_lshrrev_b32_e32 v15, 1, v15
	v_add_nc_u32_e32 v15, v15, v11
	v_add_nc_u32_e32 v17, v13, v15
	v_xad_u32 v18, v15, -1, v14
	v_add_nc_u32_e32 v19, 1, v15
	ds_read_u8 v17, v17
	ds_read_u8 v18, v18
	s_waitcnt lgkmcnt(0)
	v_cmp_lt_u16_e32 vcc_lo, v18, v17
	v_cndmask_b32_e32 v12, v12, v15, vcc_lo
	v_cndmask_b32_e32 v11, v19, v11, vcc_lo
	v_cmp_ge_i32_e32 vcc_lo, v11, v12
	s_or_b32 s5, vcc_lo, s5
	s_andn2_b32 exec_lo, exec_lo, s5
	s_cbranch_execnz .LBB115_64
; %bb.65:
	s_or_b32 exec_lo, exec_lo, s5
.LBB115_66:
	s_or_b32 exec_lo, exec_lo, s4
	v_add_nc_u32_e32 v10, v9, v10
	v_add_nc_u32_e32 v14, v11, v16
                                        ; implicit-def: $vgpr12
	v_sub_nc_u32_e32 v15, v10, v11
	v_add_nc_u32_e32 v13, v1, v14
	v_cmp_le_i32_e32 vcc_lo, v9, v14
	v_add_nc_u32_e32 v16, v1, v15
	v_cmp_gt_i32_e64 s4, v3, v15
	ds_read_u8 v10, v13
	ds_read_u8 v11, v16
	s_waitcnt lgkmcnt(0)
	v_cmp_lt_u16_sdwa s5, v11, v10 src0_sel:BYTE_0 src1_sel:BYTE_0
	s_or_b32 s5, vcc_lo, s5
	s_and_b32 s4, s4, s5
	s_xor_b32 s5, s4, -1
	s_and_saveexec_b32 s6, s5
	s_xor_b32 s5, exec_lo, s6
; %bb.67:
	ds_read_u8 v12, v13 offset:1
                                        ; implicit-def: $vgpr16
; %bb.68:
	s_or_saveexec_b32 s5, s5
	v_mov_b32_e32 v13, v11
	s_xor_b32 exec_lo, exec_lo, s5
	s_cbranch_execz .LBB115_70
; %bb.69:
	ds_read_u8 v13, v16 offset:1
	s_waitcnt lgkmcnt(1)
	v_mov_b32_e32 v12, v10
.LBB115_70:
	s_or_b32 exec_lo, exec_lo, s5
	v_add_nc_u32_e32 v16, 1, v14
	v_add_nc_u32_e32 v17, 1, v15
	s_waitcnt lgkmcnt(0)
	v_cmp_lt_u16_sdwa s6, v13, v12 src0_sel:BYTE_0 src1_sel:BYTE_0
                                        ; implicit-def: $vgpr18
	v_cndmask_b32_e64 v16, v16, v14, s4
	v_cndmask_b32_e64 v17, v15, v17, s4
	v_cmp_ge_i32_e32 vcc_lo, v16, v9
	v_cmp_lt_i32_e64 s5, v17, v3
	s_or_b32 s6, vcc_lo, s6
	s_and_b32 vcc_lo, s5, s6
	s_xor_b32 s5, vcc_lo, -1
	s_and_saveexec_b32 s6, s5
	s_xor_b32 s5, exec_lo, s6
; %bb.71:
	v_add_nc_u32_e32 v18, v1, v16
	ds_read_u8 v18, v18 offset:1
; %bb.72:
	s_or_saveexec_b32 s5, s5
	v_mov_b32_e32 v19, v13
	s_xor_b32 exec_lo, exec_lo, s5
	s_cbranch_execz .LBB115_74
; %bb.73:
	s_waitcnt lgkmcnt(0)
	v_add_nc_u32_e32 v18, v1, v17
	ds_read_u8 v19, v18 offset:1
	v_mov_b32_e32 v18, v12
.LBB115_74:
	s_or_b32 exec_lo, exec_lo, s5
	v_add_nc_u32_e32 v20, 1, v16
	v_add_nc_u32_e32 v21, 1, v17
	s_waitcnt lgkmcnt(0)
	v_cmp_lt_u16_sdwa s7, v19, v18 src0_sel:BYTE_0 src1_sel:BYTE_0
                                        ; implicit-def: $vgpr22
	v_cndmask_b32_e32 v25, v20, v16, vcc_lo
	v_cndmask_b32_e32 v20, v17, v21, vcc_lo
                                        ; implicit-def: $vgpr21
	v_cmp_ge_i32_e64 s5, v25, v9
	v_cmp_lt_i32_e64 s6, v20, v3
	s_or_b32 s5, s5, s7
	s_and_b32 s5, s6, s5
	s_xor_b32 s6, s5, -1
	s_and_saveexec_b32 s7, s6
	s_xor_b32 s6, exec_lo, s7
; %bb.75:
	v_add_nc_u32_e32 v21, v1, v25
	ds_read_u8 v22, v21 offset:1
	v_add_nc_u32_e32 v21, 1, v25
; %bb.76:
	s_or_saveexec_b32 s6, s6
	v_mov_b32_e32 v23, v25
	v_mov_b32_e32 v24, v19
	s_xor_b32 exec_lo, exec_lo, s6
	s_cbranch_execz .LBB115_78
; %bb.77:
	v_add_nc_u32_e32 v21, v1, v20
	s_waitcnt lgkmcnt(0)
	v_add_nc_u32_e32 v22, 1, v20
	v_mov_b32_e32 v23, v20
	ds_read_u8 v24, v21 offset:1
	v_mov_b32_e32 v21, v25
	v_mov_b32_e32 v20, v22
	;; [unrolled: 1-line block ×3, first 2 shown]
.LBB115_78:
	s_or_b32 exec_lo, exec_lo, s6
	v_cndmask_b32_e64 v14, v14, v15, s4
	; wave barrier
	ds_write_b8 v2, v7
	ds_write_b8 v2, v8 offset:1
	ds_write_b8 v2, v5 offset:2
	;; [unrolled: 1-line block ×3, first 2 shown]
	v_add_nc_u32_e32 v7, v1, v14
	; wave barrier
	v_cmp_ge_i32_e64 s6, v21, v9
	s_waitcnt lgkmcnt(4)
	v_cmp_lt_u16_sdwa s8, v24, v22 src0_sel:BYTE_0 src1_sel:BYTE_0
	ds_read_u8 v2, v7
	v_cmp_lt_i32_e64 s7, v20, v3
	v_cndmask_b32_e32 v3, v16, v17, vcc_lo
	v_cndmask_b32_e64 v7, v10, v11, s4
	s_or_b32 s6, s6, s8
	v_cndmask_b32_e64 v8, v18, v19, s5
	s_and_b32 s6, s7, s6
	v_add_nc_u32_e32 v3, v1, v3
	v_cndmask_b32_e64 v5, v22, v24, s6
	v_cndmask_b32_e64 v6, v21, v20, s6
	v_add_nc_u32_e32 v9, v1, v23
	v_lshlrev_b16 v5, 8, v5
	v_add_nc_u32_e32 v1, v1, v6
	v_cndmask_b32_sdwa v6, v12, v13, vcc_lo dst_sel:BYTE_1 dst_unused:UNUSED_PAD src0_sel:DWORD src1_sel:DWORD
	ds_read_u8 v3, v3
	ds_read_u8 v9, v9
	;; [unrolled: 1-line block ×3, first 2 shown]
	v_or_b32_sdwa v5, v8, v5 dst_sel:WORD_1 dst_unused:UNUSED_PAD src0_sel:BYTE_0 src1_sel:DWORD
	s_waitcnt lgkmcnt(3)
	v_add_nc_u16 v2, v2, v7
	v_or_b32_sdwa v7, v7, v6 dst_sel:DWORD dst_unused:UNUSED_PAD src0_sel:BYTE_0 src1_sel:DWORD
	v_or_b32_sdwa v2, v2, v6 dst_sel:DWORD dst_unused:UNUSED_PAD src0_sel:BYTE_0 src1_sel:DWORD
	v_or_b32_sdwa v6, v7, v5 dst_sel:DWORD dst_unused:UNUSED_PAD src0_sel:WORD_0 src1_sel:DWORD
	v_or_b32_sdwa v2, v2, v5 dst_sel:DWORD dst_unused:UNUSED_PAD src0_sel:WORD_0 src1_sel:DWORD
	v_cndmask_b32_e64 v2, v6, v2, s0
	v_lshrrev_b32_e32 v5, 8, v2
	s_waitcnt lgkmcnt(2)
	v_add_nc_u16 v3, v5, v3
	v_mov_b32_e32 v5, 0xff
	v_lshlrev_b16 v3, 8, v3
	v_or_b32_sdwa v3, v2, v3 dst_sel:DWORD dst_unused:UNUSED_PAD src0_sel:BYTE_0 src1_sel:DWORD
	v_and_b32_e32 v3, 0xffff, v3
	v_and_or_b32 v3, 0xffff0000, v2, v3
	v_cndmask_b32_e64 v2, v2, v3, s1
	v_lshrrev_b32_e32 v3, 16, v2
	s_waitcnt lgkmcnt(1)
	v_add_nc_u16 v3, v3, v9
	v_perm_b32 v3, v3, v2, 0xc0c0304
	v_lshlrev_b32_e32 v3, 16, v3
	v_and_or_b32 v3, 0xffff, v2, v3
	v_cndmask_b32_e64 v2, v2, v3, s2
	v_lshrrev_b32_e32 v3, 24, v2
	s_waitcnt lgkmcnt(0)
	v_add_nc_u16 v1, v3, v1
	v_and_b32_sdwa v3, v2, v5 dst_sel:DWORD dst_unused:UNUSED_PAD src0_sel:WORD_1 src1_sel:DWORD
	v_lshlrev_b16 v1, 8, v1
	v_or_b32_sdwa v1, v3, v1 dst_sel:WORD_1 dst_unused:UNUSED_PAD src0_sel:DWORD src1_sel:DWORD
	v_add_co_u32 v3, s4, s10, v4
	v_add_co_ci_u32_e64 v4, null, s11, 0, s4
	v_and_or_b32 v1, 0xffff, v2, v1
	v_add_co_u32 v0, vcc_lo, v3, v0
	v_cndmask_b32_e64 v2, v2, v1, s3
	v_add_co_ci_u32_e64 v1, null, 0, v4, vcc_lo
	s_and_saveexec_b32 s4, s0
	s_cbranch_execnz .LBB115_83
; %bb.79:
	s_or_b32 exec_lo, exec_lo, s4
	s_and_saveexec_b32 s0, s1
	s_cbranch_execnz .LBB115_84
.LBB115_80:
	s_or_b32 exec_lo, exec_lo, s0
	s_and_saveexec_b32 s0, s2
	s_cbranch_execnz .LBB115_85
.LBB115_81:
	s_or_b32 exec_lo, exec_lo, s0
	s_and_saveexec_b32 s0, s3
	s_cbranch_execnz .LBB115_86
.LBB115_82:
	s_endpgm
.LBB115_83:
	global_store_byte v[0:1], v2, off
	s_or_b32 exec_lo, exec_lo, s4
	s_and_saveexec_b32 s0, s1
	s_cbranch_execz .LBB115_80
.LBB115_84:
	v_lshrrev_b32_e32 v3, 8, v2
	global_store_byte v[0:1], v3, off offset:1
	s_or_b32 exec_lo, exec_lo, s0
	s_and_saveexec_b32 s0, s2
	s_cbranch_execz .LBB115_81
.LBB115_85:
	global_store_byte_d16_hi v[0:1], v2, off offset:2
	s_or_b32 exec_lo, exec_lo, s0
	s_and_saveexec_b32 s0, s3
	s_cbranch_execz .LBB115_82
.LBB115_86:
	v_lshrrev_b32_e32 v2, 24, v2
	global_store_byte v[0:1], v2, off offset:3
	s_endpgm
	.section	.rodata,"a",@progbits
	.p2align	6, 0x0
	.amdhsa_kernel _Z20sort_pairs_segmentedILj256ELj16ELj4EhN10test_utils4lessEEvPKT2_PS2_PKjT3_
		.amdhsa_group_segment_fixed_size 1040
		.amdhsa_private_segment_fixed_size 0
		.amdhsa_kernarg_size 28
		.amdhsa_user_sgpr_count 6
		.amdhsa_user_sgpr_private_segment_buffer 1
		.amdhsa_user_sgpr_dispatch_ptr 0
		.amdhsa_user_sgpr_queue_ptr 0
		.amdhsa_user_sgpr_kernarg_segment_ptr 1
		.amdhsa_user_sgpr_dispatch_id 0
		.amdhsa_user_sgpr_flat_scratch_init 0
		.amdhsa_user_sgpr_private_segment_size 0
		.amdhsa_wavefront_size32 1
		.amdhsa_uses_dynamic_stack 0
		.amdhsa_system_sgpr_private_segment_wavefront_offset 0
		.amdhsa_system_sgpr_workgroup_id_x 1
		.amdhsa_system_sgpr_workgroup_id_y 0
		.amdhsa_system_sgpr_workgroup_id_z 0
		.amdhsa_system_sgpr_workgroup_info 0
		.amdhsa_system_vgpr_workitem_id 0
		.amdhsa_next_free_vgpr 30
		.amdhsa_next_free_sgpr 12
		.amdhsa_reserve_vcc 1
		.amdhsa_reserve_flat_scratch 0
		.amdhsa_float_round_mode_32 0
		.amdhsa_float_round_mode_16_64 0
		.amdhsa_float_denorm_mode_32 3
		.amdhsa_float_denorm_mode_16_64 3
		.amdhsa_dx10_clamp 1
		.amdhsa_ieee_mode 1
		.amdhsa_fp16_overflow 0
		.amdhsa_workgroup_processor_mode 1
		.amdhsa_memory_ordered 1
		.amdhsa_forward_progress 1
		.amdhsa_shared_vgpr_count 0
		.amdhsa_exception_fp_ieee_invalid_op 0
		.amdhsa_exception_fp_denorm_src 0
		.amdhsa_exception_fp_ieee_div_zero 0
		.amdhsa_exception_fp_ieee_overflow 0
		.amdhsa_exception_fp_ieee_underflow 0
		.amdhsa_exception_fp_ieee_inexact 0
		.amdhsa_exception_int_div_zero 0
	.end_amdhsa_kernel
	.section	.text._Z20sort_pairs_segmentedILj256ELj16ELj4EhN10test_utils4lessEEvPKT2_PS2_PKjT3_,"axG",@progbits,_Z20sort_pairs_segmentedILj256ELj16ELj4EhN10test_utils4lessEEvPKT2_PS2_PKjT3_,comdat
.Lfunc_end115:
	.size	_Z20sort_pairs_segmentedILj256ELj16ELj4EhN10test_utils4lessEEvPKT2_PS2_PKjT3_, .Lfunc_end115-_Z20sort_pairs_segmentedILj256ELj16ELj4EhN10test_utils4lessEEvPKT2_PS2_PKjT3_
                                        ; -- End function
	.set _Z20sort_pairs_segmentedILj256ELj16ELj4EhN10test_utils4lessEEvPKT2_PS2_PKjT3_.num_vgpr, 30
	.set _Z20sort_pairs_segmentedILj256ELj16ELj4EhN10test_utils4lessEEvPKT2_PS2_PKjT3_.num_agpr, 0
	.set _Z20sort_pairs_segmentedILj256ELj16ELj4EhN10test_utils4lessEEvPKT2_PS2_PKjT3_.numbered_sgpr, 12
	.set _Z20sort_pairs_segmentedILj256ELj16ELj4EhN10test_utils4lessEEvPKT2_PS2_PKjT3_.num_named_barrier, 0
	.set _Z20sort_pairs_segmentedILj256ELj16ELj4EhN10test_utils4lessEEvPKT2_PS2_PKjT3_.private_seg_size, 0
	.set _Z20sort_pairs_segmentedILj256ELj16ELj4EhN10test_utils4lessEEvPKT2_PS2_PKjT3_.uses_vcc, 1
	.set _Z20sort_pairs_segmentedILj256ELj16ELj4EhN10test_utils4lessEEvPKT2_PS2_PKjT3_.uses_flat_scratch, 0
	.set _Z20sort_pairs_segmentedILj256ELj16ELj4EhN10test_utils4lessEEvPKT2_PS2_PKjT3_.has_dyn_sized_stack, 0
	.set _Z20sort_pairs_segmentedILj256ELj16ELj4EhN10test_utils4lessEEvPKT2_PS2_PKjT3_.has_recursion, 0
	.set _Z20sort_pairs_segmentedILj256ELj16ELj4EhN10test_utils4lessEEvPKT2_PS2_PKjT3_.has_indirect_call, 0
	.section	.AMDGPU.csdata,"",@progbits
; Kernel info:
; codeLenInByte = 4628
; TotalNumSgprs: 14
; NumVgprs: 30
; ScratchSize: 0
; MemoryBound: 0
; FloatMode: 240
; IeeeMode: 1
; LDSByteSize: 1040 bytes/workgroup (compile time only)
; SGPRBlocks: 0
; VGPRBlocks: 3
; NumSGPRsForWavesPerEU: 14
; NumVGPRsForWavesPerEU: 30
; Occupancy: 16
; WaveLimiterHint : 0
; COMPUTE_PGM_RSRC2:SCRATCH_EN: 0
; COMPUTE_PGM_RSRC2:USER_SGPR: 6
; COMPUTE_PGM_RSRC2:TRAP_HANDLER: 0
; COMPUTE_PGM_RSRC2:TGID_X_EN: 1
; COMPUTE_PGM_RSRC2:TGID_Y_EN: 0
; COMPUTE_PGM_RSRC2:TGID_Z_EN: 0
; COMPUTE_PGM_RSRC2:TIDIG_COMP_CNT: 0
	.section	.text._Z9sort_keysILj256ELj16ELj8EhN10test_utils4lessEEvPKT2_PS2_T3_,"axG",@progbits,_Z9sort_keysILj256ELj16ELj8EhN10test_utils4lessEEvPKT2_PS2_T3_,comdat
	.protected	_Z9sort_keysILj256ELj16ELj8EhN10test_utils4lessEEvPKT2_PS2_T3_ ; -- Begin function _Z9sort_keysILj256ELj16ELj8EhN10test_utils4lessEEvPKT2_PS2_T3_
	.globl	_Z9sort_keysILj256ELj16ELj8EhN10test_utils4lessEEvPKT2_PS2_T3_
	.p2align	8
	.type	_Z9sort_keysILj256ELj16ELj8EhN10test_utils4lessEEvPKT2_PS2_T3_,@function
_Z9sort_keysILj256ELj16ELj8EhN10test_utils4lessEEvPKT2_PS2_T3_: ; @_Z9sort_keysILj256ELj16ELj8EhN10test_utils4lessEEvPKT2_PS2_T3_
; %bb.0:
	s_load_dwordx4 s[8:11], s[4:5], 0x0
	s_lshl_b32 s7, s6, 11
	v_lshlrev_b32_e32 v1, 3, v0
	v_mov_b32_e32 v8, 0xffffff00
	v_lshrrev_b32_e32 v0, 4, v0
	s_waitcnt lgkmcnt(0)
	s_add_u32 s0, s8, s7
	s_addc_u32 s1, s9, 0
	global_load_dwordx2 v[2:3], v1, s[0:1]
	; wave barrier
	s_waitcnt vmcnt(0)
	v_lshrrev_b32_e32 v4, 8, v2
	v_perm_b32 v5, 0, v2, 0xc0c0001
	v_and_b32_e32 v6, 0xff, v2
	v_lshrrev_b32_e32 v9, 8, v3
	v_and_b32_e32 v11, 0xff, v3
	v_and_b32_e32 v4, 0xff, v4
	v_and_or_b32 v5, 0xffff0000, v2, v5
	v_perm_b32 v12, v3, v3, 0x7060405
	v_and_b32_e32 v9, 0xff, v9
	v_cmp_lt_u16_e32 vcc_lo, v4, v6
	v_cndmask_b32_e32 v2, v2, v5, vcc_lo
	v_lshrrev_b32_e32 v5, 16, v2
	v_lshrrev_b32_e32 v10, 24, v2
	v_perm_b32 v7, 0, v5, 0xc0c0001
	v_and_b32_e32 v5, 0xff, v5
	v_lshlrev_b32_e32 v7, 16, v7
	v_cmp_lt_u16_e32 vcc_lo, v10, v5
	v_min_u16 v13, v10, v5
	v_max_u16 v5, v10, v5
	v_and_or_b32 v7, 0xffff, v2, v7
	v_lshlrev_b16 v14, 8, v13
	v_cndmask_b32_e32 v2, v2, v7, vcc_lo
	v_cmp_lt_u16_e32 vcc_lo, v9, v11
	v_mov_b32_e32 v7, 0xff
	v_and_b32_sdwa v15, v2, v8 dst_sel:DWORD dst_unused:UNUSED_PAD src0_sel:WORD_1 src1_sel:DWORD
	v_cndmask_b32_e32 v3, v3, v12, vcc_lo
	v_max_u16 v12, v4, v6
	v_or_b32_sdwa v14, v2, v14 dst_sel:DWORD dst_unused:UNUSED_PAD src0_sel:BYTE_0 src1_sel:DWORD
	v_min_u16 v4, v4, v6
	v_lshrrev_b32_e32 v16, 24, v3
	v_and_b32_sdwa v17, v3, v7 dst_sel:DWORD dst_unused:UNUSED_PAD src0_sel:WORD_1 src1_sel:DWORD
	v_perm_b32 v18, v3, v3, 0x6070504
	v_or_b32_sdwa v15, v12, v15 dst_sel:WORD_1 dst_unused:UNUSED_PAD src0_sel:DWORD src1_sel:DWORD
	v_min_u16 v20, v13, v12
	v_cmp_lt_u16_e32 vcc_lo, v16, v17
	v_or_b32_sdwa v14, v14, v15 dst_sel:DWORD dst_unused:UNUSED_PAD src0_sel:WORD_0 src1_sel:DWORD
	v_min_u16 v15, v9, v11
	v_max_u16 v9, v9, v11
	v_cndmask_b32_e32 v3, v3, v18, vcc_lo
	v_cmp_lt_u16_e32 vcc_lo, v13, v12
	v_lshlrev_b16 v11, 8, v4
	v_lshlrev_b16 v6, 8, v15
	v_min_u16 v18, v16, v17
	v_and_b32_e32 v10, 0xffffff00, v3
	v_cndmask_b32_e32 v2, v2, v14, vcc_lo
	v_cmp_lt_u16_e32 vcc_lo, v15, v5
	v_or_b32_e32 v11, v20, v11
	v_max_u16 v12, v13, v12
	v_or_b32_e32 v10, v5, v10
	v_and_b32_sdwa v14, v2, v7 dst_sel:DWORD dst_unused:UNUSED_PAD src0_sel:WORD_1 src1_sel:DWORD
	v_max_u16 v21, v15, v5
	v_min_u16 v5, v15, v5
	v_max_u16 v19, v18, v9
	v_and_b32_e32 v10, 0xffff, v10
	v_or_b32_sdwa v6, v14, v6 dst_sel:WORD_1 dst_unused:UNUSED_PAD src0_sel:DWORD src1_sel:DWORD
	v_lshlrev_b16 v14, 8, v18
	v_lshlrev_b16 v22, 8, v21
	v_cmp_lt_u16_e64 s0, v18, v9
	v_and_or_b32 v10, 0xffff0000, v3, v10
	v_and_or_b32 v6, 0xffff, v2, v6
	v_cndmask_b32_e32 v3, v3, v10, vcc_lo
	v_cndmask_b32_e32 v2, v2, v6, vcc_lo
	v_and_b32_e32 v10, 0xffff, v11
	v_lshlrev_b16 v6, 8, v12
	v_min_u16 v11, v18, v9
	v_and_b32_sdwa v15, v3, v8 dst_sel:DWORD dst_unused:UNUSED_PAD src0_sel:WORD_1 src1_sel:DWORD
	v_or_b32_sdwa v14, v3, v14 dst_sel:DWORD dst_unused:UNUSED_PAD src0_sel:BYTE_0 src1_sel:DWORD
	v_and_or_b32 v10, 0xffff0000, v2, v10
	v_cmp_lt_u16_e32 vcc_lo, v13, v4
	v_or_b32_sdwa v6, v5, v6 dst_sel:WORD_1 dst_unused:UNUSED_PAD src0_sel:DWORD src1_sel:DWORD
	v_or_b32_sdwa v15, v9, v15 dst_sel:WORD_1 dst_unused:UNUSED_PAD src0_sel:DWORD src1_sel:DWORD
	v_or_b32_e32 v22, v11, v22
	v_cndmask_b32_e32 v2, v2, v10, vcc_lo
	v_max_u16 v10, v16, v17
	v_or_b32_sdwa v13, v14, v15 dst_sel:DWORD dst_unused:UNUSED_PAD src0_sel:WORD_0 src1_sel:DWORD
	v_lshlrev_b16 v14, 8, v19
	v_and_b32_e32 v15, 0xffff, v22
	v_and_or_b32 v6, 0xffff, v2, v6
	v_cndmask_b32_e32 v16, v20, v4, vcc_lo
	v_cndmask_b32_e64 v3, v3, v13, s0
	v_cmp_lt_u16_e64 s0, v5, v12
	v_min_u16 v13, v5, v12
	v_max_u16 v5, v5, v12
	v_cndmask_b32_e32 v4, v4, v20, vcc_lo
	v_cndmask_b32_e64 v2, v2, v6, s0
	v_or_b32_sdwa v6, v10, v14 dst_sel:WORD_1 dst_unused:UNUSED_PAD src0_sel:DWORD src1_sel:DWORD
	v_and_or_b32 v14, 0xffff0000, v3, v15
	v_cmp_lt_u16_e64 s0, v11, v21
	v_lshlrev_b16 v15, 8, v13
	v_and_b32_sdwa v17, v2, v8 dst_sel:DWORD dst_unused:UNUSED_PAD src0_sel:WORD_1 src1_sel:DWORD
	v_cmp_lt_u16_e64 s1, v13, v16
	v_min_u16 v18, v13, v16
	v_cndmask_b32_e64 v3, v3, v14, s0
	v_cmp_gt_u16_e64 s0, v9, v10
	v_or_b32_sdwa v14, v2, v15 dst_sel:DWORD dst_unused:UNUSED_PAD src0_sel:BYTE_0 src1_sel:DWORD
	v_or_b32_sdwa v15, v16, v17 dst_sel:WORD_1 dst_unused:UNUSED_PAD src0_sel:DWORD src1_sel:DWORD
	v_lshlrev_b16 v20, 8, v4
	v_and_or_b32 v6, 0xffff, v3, v6
	v_or_b32_sdwa v14, v14, v15 dst_sel:DWORD dst_unused:UNUSED_PAD src0_sel:WORD_0 src1_sel:DWORD
	v_cndmask_b32_e64 v3, v3, v6, s0
	v_min_u16 v6, v11, v21
	v_max_u16 v11, v11, v21
	v_cndmask_b32_e64 v2, v2, v14, s1
	s_mov_b32 s1, exec_lo
	v_and_b32_e32 v9, 0xffffff00, v3
	v_lshlrev_b16 v12, 8, v6
	v_max_u16 v15, v6, v5
	v_and_b32_sdwa v14, v2, v7 dst_sel:DWORD dst_unused:UNUSED_PAD src0_sel:WORD_1 src1_sel:DWORD
	v_min_u16 v17, v6, v5
	v_or_b32_e32 v9, v5, v9
	v_cmp_lt_u16_e32 vcc_lo, v6, v5
	v_max_u16 v6, v13, v16
	v_or_b32_sdwa v12, v14, v12 dst_sel:WORD_1 dst_unused:UNUSED_PAD src0_sel:DWORD src1_sel:DWORD
	v_cndmask_b32_e64 v13, v19, v10, s0
	v_and_b32_e32 v9, 0xffff, v9
	v_lshlrev_b16 v14, 8, v15
	v_and_or_b32 v12, 0xffff, v2, v12
	v_lshlrev_b16 v16, 8, v13
	v_and_or_b32 v5, 0xffff0000, v3, v9
	v_or_b32_e32 v9, v18, v20
	v_min_u16 v21, v13, v11
	v_cndmask_b32_e32 v2, v2, v12, vcc_lo
	v_min_u16 v12, v17, v6
	v_cndmask_b32_e32 v3, v3, v5, vcc_lo
	v_and_b32_e32 v9, 0xffff, v9
	v_lshlrev_b16 v5, 8, v6
	v_cmp_lt_u16_e32 vcc_lo, v18, v4
	v_or_b32_e32 v14, v21, v14
	v_and_b32_sdwa v20, v3, v8 dst_sel:DWORD dst_unused:UNUSED_PAD src0_sel:WORD_1 src1_sel:DWORD
	v_and_or_b32 v9, 0xffff0000, v2, v9
	v_or_b32_sdwa v16, v3, v16 dst_sel:DWORD dst_unused:UNUSED_PAD src0_sel:BYTE_0 src1_sel:DWORD
	v_or_b32_sdwa v5, v17, v5 dst_sel:WORD_1 dst_unused:UNUSED_PAD src0_sel:DWORD src1_sel:DWORD
	v_and_b32_e32 v14, 0xffff, v14
	v_or_b32_sdwa v20, v11, v20 dst_sel:WORD_1 dst_unused:UNUSED_PAD src0_sel:DWORD src1_sel:DWORD
	v_cndmask_b32_e32 v2, v2, v9, vcc_lo
	v_cndmask_b32_e64 v9, v10, v19, s0
	v_cmp_lt_u16_e32 vcc_lo, v13, v11
	v_or_b32_sdwa v10, v16, v20 dst_sel:DWORD dst_unused:UNUSED_PAD src0_sel:WORD_0 src1_sel:DWORD
	v_max_u16 v16, v13, v11
	v_and_or_b32 v5, 0xffff, v2, v5
	v_lshlrev_b16 v13, 8, v12
	v_cndmask_b32_e32 v3, v3, v10, vcc_lo
	v_cmp_lt_u16_e32 vcc_lo, v17, v6
	v_lshlrev_b16 v10, 8, v16
	v_max_u16 v6, v17, v6
	v_min_u16 v19, v9, v16
	v_and_or_b32 v11, 0xffff0000, v3, v14
	v_cndmask_b32_e32 v2, v2, v5, vcc_lo
	v_cmp_lt_u16_e32 vcc_lo, v21, v15
	v_or_b32_sdwa v10, v9, v10 dst_sel:WORD_1 dst_unused:UNUSED_PAD src0_sel:DWORD src1_sel:DWORD
	v_max_u16 v5, v18, v4
	v_min_u16 v4, v18, v4
	v_and_b32_sdwa v14, v2, v8 dst_sel:DWORD dst_unused:UNUSED_PAD src0_sel:WORD_1 src1_sel:DWORD
	v_cndmask_b32_e32 v3, v3, v11, vcc_lo
	v_cmp_lt_u16_e32 vcc_lo, v9, v16
	v_or_b32_sdwa v11, v2, v13 dst_sel:DWORD dst_unused:UNUSED_PAD src0_sel:BYTE_0 src1_sel:DWORD
	v_max_u16 v9, v9, v16
	v_or_b32_sdwa v13, v5, v14 dst_sel:WORD_1 dst_unused:UNUSED_PAD src0_sel:DWORD src1_sel:DWORD
	v_and_or_b32 v10, 0xffff, v3, v10
	v_lshlrev_b16 v14, 8, v4
	v_or_b32_sdwa v11, v11, v13 dst_sel:DWORD dst_unused:UNUSED_PAD src0_sel:WORD_0 src1_sel:DWORD
	v_cndmask_b32_e32 v3, v3, v10, vcc_lo
	v_cmp_lt_u16_e32 vcc_lo, v12, v5
	v_min_u16 v10, v21, v15
	v_max_u16 v15, v21, v15
	v_and_b32_e32 v13, 0xffffff00, v3
	v_cndmask_b32_e32 v2, v2, v11, vcc_lo
	v_lshlrev_b16 v17, 8, v10
	v_cmp_lt_u16_e32 vcc_lo, v10, v6
	v_min_u16 v11, v12, v5
	v_or_b32_e32 v13, v6, v13
	v_and_b32_sdwa v18, v2, v7 dst_sel:DWORD dst_unused:UNUSED_PAD src0_sel:WORD_1 src1_sel:DWORD
	v_max_u16 v20, v10, v6
	v_min_u16 v6, v10, v6
	v_or_b32_e32 v14, v11, v14
	v_and_b32_e32 v13, 0xffff, v13
	v_or_b32_sdwa v17, v18, v17 dst_sel:WORD_1 dst_unused:UNUSED_PAD src0_sel:DWORD src1_sel:DWORD
	v_lshlrev_b16 v10, 8, v19
	v_max_u16 v5, v12, v5
	v_and_b32_e32 v14, 0xffff, v14
	v_and_or_b32 v13, 0xffff0000, v3, v13
	v_and_or_b32 v17, 0xffff, v2, v17
	v_lshlrev_b16 v22, 8, v20
	v_lshlrev_b16 v18, 8, v5
	v_cmp_lt_u16_e64 s0, v19, v15
	v_cndmask_b32_e32 v3, v3, v13, vcc_lo
	v_cndmask_b32_e32 v2, v2, v17, vcc_lo
	v_min_u16 v17, v19, v15
	v_cmp_lt_u16_e32 vcc_lo, v12, v4
	v_max_u16 v13, v19, v15
	v_and_b32_sdwa v21, v3, v8 dst_sel:DWORD dst_unused:UNUSED_PAD src0_sel:WORD_1 src1_sel:DWORD
	v_or_b32_sdwa v10, v3, v10 dst_sel:DWORD dst_unused:UNUSED_PAD src0_sel:BYTE_0 src1_sel:DWORD
	v_and_or_b32 v14, 0xffff0000, v2, v14
	v_or_b32_e32 v22, v17, v22
	v_or_b32_sdwa v18, v6, v18 dst_sel:WORD_1 dst_unused:UNUSED_PAD src0_sel:DWORD src1_sel:DWORD
	v_or_b32_sdwa v21, v15, v21 dst_sel:WORD_1 dst_unused:UNUSED_PAD src0_sel:DWORD src1_sel:DWORD
	v_lshlrev_b16 v12, 8, v13
	v_cndmask_b32_e32 v2, v2, v14, vcc_lo
	v_and_b32_e32 v14, 0xffff, v22
	v_cndmask_b32_e32 v4, v11, v4, vcc_lo
	v_or_b32_sdwa v10, v10, v21 dst_sel:DWORD dst_unused:UNUSED_PAD src0_sel:WORD_0 src1_sel:DWORD
	v_cmp_lt_u16_e32 vcc_lo, v17, v20
	v_and_or_b32 v16, 0xffff, v2, v18
	v_or_b32_sdwa v12, v9, v12 dst_sel:WORD_1 dst_unused:UNUSED_PAD src0_sel:DWORD src1_sel:DWORD
	v_cndmask_b32_e64 v3, v3, v10, s0
	v_cmp_lt_u16_e64 s0, v6, v5
	v_min_u16 v10, v6, v5
	v_and_or_b32 v14, 0xffff0000, v3, v14
	v_cndmask_b32_e64 v2, v2, v16, s0
	v_lshlrev_b16 v16, 8, v10
	v_cmp_lt_u16_e64 s0, v10, v4
	v_cndmask_b32_e32 v3, v3, v14, vcc_lo
	v_and_b32_sdwa v11, v2, v8 dst_sel:DWORD dst_unused:UNUSED_PAD src0_sel:WORD_1 src1_sel:DWORD
	v_cmp_gt_u16_e32 vcc_lo, v15, v9
	v_or_b32_sdwa v14, v2, v16 dst_sel:DWORD dst_unused:UNUSED_PAD src0_sel:BYTE_0 src1_sel:DWORD
	v_and_or_b32 v12, 0xffff, v3, v12
	v_or_b32_sdwa v11, v4, v11 dst_sel:WORD_1 dst_unused:UNUSED_PAD src0_sel:DWORD src1_sel:DWORD
	v_max_u16 v4, v6, v5
	v_cndmask_b32_e32 v10, v13, v9, vcc_lo
	v_cndmask_b32_e32 v3, v3, v12, vcc_lo
	v_or_b32_sdwa v11, v14, v11 dst_sel:DWORD dst_unused:UNUSED_PAD src0_sel:WORD_0 src1_sel:DWORD
	v_min_u16 v12, v17, v20
	v_max_u16 v14, v17, v20
	v_and_b32_e32 v5, 0xffffff00, v3
	v_cndmask_b32_e64 v2, v2, v11, s0
	v_lshlrev_b16 v6, 8, v12
	v_cmp_lt_u16_e64 s0, v12, v4
	v_cmp_lt_u16_e32 vcc_lo, v10, v14
	v_or_b32_e32 v5, v4, v5
	v_and_b32_sdwa v7, v2, v7 dst_sel:DWORD dst_unused:UNUSED_PAD src0_sel:WORD_1 src1_sel:DWORD
	v_mov_b32_e32 v11, 0
	v_and_b32_e32 v5, 0xffff, v5
	v_or_b32_sdwa v6, v7, v6 dst_sel:WORD_1 dst_unused:UNUSED_PAD src0_sel:DWORD src1_sel:DWORD
	v_mbcnt_lo_u32_b32 v7, -1, 0
	v_and_or_b32 v5, 0xffff0000, v3, v5
	v_and_or_b32 v6, 0xffff, v2, v6
	v_lshlrev_b32_e32 v4, 3, v7
	v_cndmask_b32_e64 v13, v3, v5, s0
	v_cndmask_b32_e64 v12, v2, v6, s0
	v_and_b32_e32 v7, 0x70, v4
	v_lshlrev_b16 v2, 8, v10
	v_and_b32_e32 v9, 8, v4
	v_and_b32_sdwa v3, v13, v8 dst_sel:DWORD dst_unused:UNUSED_PAD src0_sel:WORD_1 src1_sel:DWORD
	v_mov_b32_e32 v6, 0
	v_or_b32_e32 v5, 8, v7
	v_or_b32_sdwa v8, v13, v2 dst_sel:DWORD dst_unused:UNUSED_PAD src0_sel:BYTE_0 src1_sel:DWORD
	v_and_b32_e32 v2, 0x78, v4
	v_or_b32_sdwa v3, v14, v3 dst_sel:WORD_1 dst_unused:UNUSED_PAD src0_sel:DWORD src1_sel:DWORD
	s_mov_b32 s0, 0
	v_sub_nc_u32_e32 v15, v5, v7
	v_or_b32_sdwa v16, v8, v3 dst_sel:DWORD dst_unused:UNUSED_PAD src0_sel:WORD_0 src1_sel:DWORD
	v_mad_u32_u24 v3, 0x81, v0, v2
	v_min_i32_e32 v8, v9, v15
	v_mul_u32_u24_e32 v0, 0x81, v0
	v_cndmask_b32_e32 v13, v13, v16, vcc_lo
	ds_write_b64 v3, v[12:13]
	; wave barrier
	v_cmpx_lt_i32_e32 0, v8
	s_cbranch_execz .LBB116_4
; %bb.1:
	v_add_nc_u32_e32 v10, v0, v7
	v_add_nc_u32_e32 v11, v10, v9
	.p2align	6
.LBB116_2:                              ; =>This Inner Loop Header: Depth=1
	v_sub_nc_u32_e32 v12, v8, v6
	v_lshrrev_b32_e32 v12, 1, v12
	v_add_nc_u32_e32 v12, v12, v6
	v_add_nc_u32_e32 v13, v10, v12
	v_xad_u32 v14, v12, -1, v11
	v_add_nc_u32_e32 v15, 1, v12
	ds_read_u8 v13, v13
	ds_read_u8 v14, v14 offset:8
	s_waitcnt lgkmcnt(0)
	v_cmp_lt_u16_e32 vcc_lo, v14, v13
	v_cndmask_b32_e32 v8, v8, v12, vcc_lo
	v_cndmask_b32_e32 v6, v15, v6, vcc_lo
	v_cmp_ge_i32_e32 vcc_lo, v6, v8
	s_or_b32 s0, vcc_lo, s0
	s_andn2_b32 exec_lo, exec_lo, s0
	s_cbranch_execnz .LBB116_2
; %bb.3:
	s_or_b32 exec_lo, exec_lo, s0
	v_mov_b32_e32 v11, v6
.LBB116_4:
	s_or_b32 exec_lo, exec_lo, s1
	v_add_nc_u32_e32 v6, v7, v9
	v_add_nc_u32_e32 v10, v11, v7
	;; [unrolled: 1-line block ×4, first 2 shown]
	v_cmp_lt_i32_e32 vcc_lo, 7, v11
	v_sub_nc_u32_e32 v6, v6, v11
	v_add_nc_u32_e32 v14, v0, v10
	v_sub_nc_u32_e32 v12, v9, v11
                                        ; implicit-def: $vgpr9
	v_add_nc_u32_e32 v13, v0, v6
	ds_read_u8 v6, v14
	ds_read_u8 v8, v13 offset:8
	v_cmp_gt_i32_e64 s0, v7, v12
	s_waitcnt lgkmcnt(0)
	v_cmp_lt_u16_sdwa s1, v8, v6 src0_sel:BYTE_0 src1_sel:BYTE_0
	s_or_b32 s1, vcc_lo, s1
	s_and_b32 s0, s0, s1
	s_xor_b32 s1, s0, -1
	s_and_saveexec_b32 s2, s1
	s_xor_b32 s1, exec_lo, s2
; %bb.5:
	ds_read_u8 v9, v14 offset:1
                                        ; implicit-def: $vgpr13
; %bb.6:
	s_or_saveexec_b32 s1, s1
	v_mov_b32_e32 v11, v8
	s_xor_b32 exec_lo, exec_lo, s1
	s_cbranch_execz .LBB116_8
; %bb.7:
	ds_read_u8 v11, v13 offset:9
	s_waitcnt lgkmcnt(1)
	v_mov_b32_e32 v9, v6
.LBB116_8:
	s_or_b32 exec_lo, exec_lo, s1
	v_add_nc_u32_e32 v13, 1, v10
	v_add_nc_u32_e32 v15, 1, v12
	s_waitcnt lgkmcnt(0)
	v_cmp_lt_u16_sdwa s2, v11, v9 src0_sel:BYTE_0 src1_sel:BYTE_0
	v_cndmask_b32_e64 v14, v13, v10, s0
	v_cndmask_b32_e64 v13, v12, v15, s0
                                        ; implicit-def: $vgpr10
	v_cmp_ge_i32_e32 vcc_lo, v14, v5
	v_cmp_lt_i32_e64 s1, v13, v7
	s_or_b32 s2, vcc_lo, s2
	s_and_b32 s1, s1, s2
	s_xor_b32 s2, s1, -1
	s_and_saveexec_b32 s3, s2
	s_xor_b32 s2, exec_lo, s3
; %bb.9:
	v_add_nc_u32_e32 v10, v0, v14
	ds_read_u8 v10, v10 offset:1
; %bb.10:
	s_or_saveexec_b32 s2, s2
	v_mov_b32_e32 v12, v11
	s_xor_b32 exec_lo, exec_lo, s2
	s_cbranch_execz .LBB116_12
; %bb.11:
	s_waitcnt lgkmcnt(0)
	v_add_nc_u32_e32 v10, v0, v13
	ds_read_u8 v12, v10 offset:1
	v_mov_b32_e32 v10, v9
.LBB116_12:
	s_or_b32 exec_lo, exec_lo, s2
	v_add_nc_u32_e32 v15, 1, v14
	v_add_nc_u32_e32 v17, 1, v13
	s_waitcnt lgkmcnt(0)
	v_cmp_lt_u16_sdwa s3, v12, v10 src0_sel:BYTE_0 src1_sel:BYTE_0
	v_cndmask_b32_e64 v16, v15, v14, s1
	v_cndmask_b32_e64 v15, v13, v17, s1
                                        ; implicit-def: $vgpr13
	v_cmp_ge_i32_e32 vcc_lo, v16, v5
	v_cmp_lt_i32_e64 s2, v15, v7
	s_or_b32 s3, vcc_lo, s3
	s_and_b32 s2, s2, s3
	s_xor_b32 s3, s2, -1
	s_and_saveexec_b32 s4, s3
	s_xor_b32 s3, exec_lo, s4
; %bb.13:
	v_add_nc_u32_e32 v13, v0, v16
	ds_read_u8 v13, v13 offset:1
; %bb.14:
	s_or_saveexec_b32 s3, s3
	v_mov_b32_e32 v14, v12
	s_xor_b32 exec_lo, exec_lo, s3
	s_cbranch_execz .LBB116_16
; %bb.15:
	s_waitcnt lgkmcnt(0)
	v_add_nc_u32_e32 v13, v0, v15
	ds_read_u8 v14, v13 offset:1
	v_mov_b32_e32 v13, v10
.LBB116_16:
	s_or_b32 exec_lo, exec_lo, s3
	v_add_nc_u32_e32 v17, 1, v16
	v_add_nc_u32_e32 v19, 1, v15
	s_waitcnt lgkmcnt(0)
	v_cmp_lt_u16_sdwa s4, v14, v13 src0_sel:BYTE_0 src1_sel:BYTE_0
	v_cndmask_b32_e64 v18, v17, v16, s2
	v_cndmask_b32_e64 v17, v15, v19, s2
                                        ; implicit-def: $vgpr15
	v_cmp_ge_i32_e32 vcc_lo, v18, v5
	v_cmp_lt_i32_e64 s3, v17, v7
	s_or_b32 s4, vcc_lo, s4
	s_and_b32 s3, s3, s4
	s_xor_b32 s4, s3, -1
	s_and_saveexec_b32 s5, s4
	s_xor_b32 s4, exec_lo, s5
; %bb.17:
	v_add_nc_u32_e32 v15, v0, v18
	ds_read_u8 v15, v15 offset:1
; %bb.18:
	s_or_saveexec_b32 s4, s4
	v_mov_b32_e32 v16, v14
	s_xor_b32 exec_lo, exec_lo, s4
	s_cbranch_execz .LBB116_20
; %bb.19:
	s_waitcnt lgkmcnt(0)
	v_add_nc_u32_e32 v15, v0, v17
	ds_read_u8 v16, v15 offset:1
	v_mov_b32_e32 v15, v13
.LBB116_20:
	s_or_b32 exec_lo, exec_lo, s4
	v_add_nc_u32_e32 v19, 1, v18
	v_add_nc_u32_e32 v21, 1, v17
	s_waitcnt lgkmcnt(0)
	v_cmp_lt_u16_sdwa s5, v16, v15 src0_sel:BYTE_0 src1_sel:BYTE_0
	v_cndmask_b32_e64 v20, v19, v18, s3
	v_cndmask_b32_e64 v19, v17, v21, s3
                                        ; implicit-def: $vgpr17
	v_cmp_ge_i32_e32 vcc_lo, v20, v5
	v_cmp_lt_i32_e64 s4, v19, v7
	s_or_b32 s5, vcc_lo, s5
	s_and_b32 s4, s4, s5
	s_xor_b32 s5, s4, -1
	s_and_saveexec_b32 s6, s5
	s_xor_b32 s5, exec_lo, s6
; %bb.21:
	v_add_nc_u32_e32 v17, v0, v20
	ds_read_u8 v17, v17 offset:1
; %bb.22:
	s_or_saveexec_b32 s5, s5
	v_mov_b32_e32 v18, v16
	s_xor_b32 exec_lo, exec_lo, s5
	s_cbranch_execz .LBB116_24
; %bb.23:
	s_waitcnt lgkmcnt(0)
	v_add_nc_u32_e32 v17, v0, v19
	ds_read_u8 v18, v17 offset:1
	v_mov_b32_e32 v17, v15
.LBB116_24:
	s_or_b32 exec_lo, exec_lo, s5
	v_add_nc_u32_e32 v21, 1, v20
	v_add_nc_u32_e32 v23, 1, v19
	s_waitcnt lgkmcnt(0)
	v_cmp_lt_u16_sdwa s6, v18, v17 src0_sel:BYTE_0 src1_sel:BYTE_0
	v_cndmask_b32_e64 v22, v21, v20, s4
	v_cndmask_b32_e64 v20, v19, v23, s4
                                        ; implicit-def: $vgpr19
	v_cmp_ge_i32_e32 vcc_lo, v22, v5
	v_cmp_lt_i32_e64 s5, v20, v7
	s_or_b32 s6, vcc_lo, s6
	s_and_b32 vcc_lo, s5, s6
	s_xor_b32 s5, vcc_lo, -1
	s_and_saveexec_b32 s6, s5
	s_xor_b32 s5, exec_lo, s6
; %bb.25:
	v_add_nc_u32_e32 v19, v0, v22
	ds_read_u8 v19, v19 offset:1
; %bb.26:
	s_or_saveexec_b32 s5, s5
	v_mov_b32_e32 v21, v18
	s_xor_b32 exec_lo, exec_lo, s5
	s_cbranch_execz .LBB116_28
; %bb.27:
	s_waitcnt lgkmcnt(0)
	v_add_nc_u32_e32 v19, v0, v20
	ds_read_u8 v21, v19 offset:1
	v_mov_b32_e32 v19, v17
.LBB116_28:
	s_or_b32 exec_lo, exec_lo, s5
	v_add_nc_u32_e32 v23, 1, v22
	v_add_nc_u32_e32 v24, 1, v20
	s_waitcnt lgkmcnt(0)
	v_cmp_lt_u16_sdwa s8, v21, v19 src0_sel:BYTE_0 src1_sel:BYTE_0
	v_cndmask_b32_e32 v23, v23, v22, vcc_lo
	v_cndmask_b32_e32 v24, v20, v24, vcc_lo
                                        ; implicit-def: $vgpr20
	v_cmp_ge_i32_e64 s5, v23, v5
	v_cmp_lt_i32_e64 s6, v24, v7
	s_or_b32 s5, s5, s8
	s_and_b32 s5, s6, s5
	s_xor_b32 s6, s5, -1
	s_and_saveexec_b32 s8, s6
	s_xor_b32 s6, exec_lo, s8
; %bb.29:
	v_add_nc_u32_e32 v20, v0, v23
	ds_read_u8 v20, v20 offset:1
; %bb.30:
	s_or_saveexec_b32 s6, s6
	v_mov_b32_e32 v22, v21
	s_xor_b32 exec_lo, exec_lo, s6
	s_cbranch_execz .LBB116_32
; %bb.31:
	s_waitcnt lgkmcnt(0)
	v_add_nc_u32_e32 v20, v0, v24
	ds_read_u8 v22, v20 offset:1
	v_mov_b32_e32 v20, v19
.LBB116_32:
	s_or_b32 exec_lo, exec_lo, s6
	v_add_nc_u32_e32 v26, 1, v23
	v_add_nc_u32_e32 v25, 1, v24
	v_cndmask_b32_e64 v19, v19, v21, s5
	v_cndmask_b32_e64 v9, v9, v11, s1
	;; [unrolled: 1-line block ×5, first 2 shown]
	s_waitcnt lgkmcnt(0)
	v_cmp_lt_u16_sdwa s5, v22, v20 src0_sel:BYTE_0 src1_sel:BYTE_0
	v_cndmask_b32_sdwa v8, v17, v18, vcc_lo dst_sel:BYTE_1 dst_unused:UNUSED_PAD src0_sel:DWORD src1_sel:DWORD
	s_mov_b32 vcc_lo, s3
	v_cmp_ge_i32_e64 s1, v23, v5
	v_cmp_lt_i32_e64 s0, v21, v7
	v_cndmask_b32_sdwa v11, v13, v14, vcc_lo dst_sel:BYTE_1 dst_unused:UNUSED_PAD src0_sel:DWORD src1_sel:DWORD
	v_and_b32_e32 v7, 0x60, v4
	v_lshlrev_b16 v9, 8, v9
	s_or_b32 s1, s1, s5
	v_cndmask_b32_e64 v10, v10, v12, s2
	s_and_b32 vcc_lo, s0, s1
	v_cndmask_b32_e64 v12, v15, v16, s4
	v_cndmask_b32_e32 v13, v20, v22, vcc_lo
	v_or_b32_e32 v5, 16, v7
	v_or_b32_sdwa v14, v6, v9 dst_sel:DWORD dst_unused:UNUSED_PAD src0_sel:BYTE_0 src1_sel:DWORD
	v_or_b32_sdwa v11, v10, v11 dst_sel:WORD_1 dst_unused:UNUSED_PAD src0_sel:BYTE_0 src1_sel:DWORD
	v_and_b32_e32 v9, 24, v4
	v_lshlrev_b16 v6, 8, v13
	v_sub_nc_u32_e32 v13, v5, v7
	v_or_b32_sdwa v8, v12, v8 dst_sel:DWORD dst_unused:UNUSED_PAD src0_sel:BYTE_0 src1_sel:DWORD
	v_or_b32_sdwa v11, v14, v11 dst_sel:DWORD dst_unused:UNUSED_PAD src0_sel:WORD_0 src1_sel:DWORD
	v_sub_nc_u32_e64 v10, v9, 16 clamp
	v_or_b32_sdwa v12, v19, v6 dst_sel:WORD_1 dst_unused:UNUSED_PAD src0_sel:BYTE_0 src1_sel:DWORD
	v_min_i32_e32 v6, v9, v13
	s_mov_b32 s0, exec_lo
	; wave barrier
	v_or_b32_sdwa v12, v8, v12 dst_sel:DWORD dst_unused:UNUSED_PAD src0_sel:WORD_0 src1_sel:DWORD
	ds_write_b64 v3, v[11:12]
	; wave barrier
	v_cmpx_lt_i32_e64 v10, v6
	s_cbranch_execz .LBB116_36
; %bb.33:
	v_add_nc_u32_e32 v8, v0, v7
	s_mov_b32 s1, 0
	v_add_nc_u32_e32 v11, v8, v9
	.p2align	6
.LBB116_34:                             ; =>This Inner Loop Header: Depth=1
	v_sub_nc_u32_e32 v12, v6, v10
	v_lshrrev_b32_e32 v12, 1, v12
	v_add_nc_u32_e32 v12, v12, v10
	v_add_nc_u32_e32 v13, v8, v12
	v_xad_u32 v14, v12, -1, v11
	v_add_nc_u32_e32 v15, 1, v12
	ds_read_u8 v13, v13
	ds_read_u8 v14, v14 offset:16
	s_waitcnt lgkmcnt(0)
	v_cmp_lt_u16_e32 vcc_lo, v14, v13
	v_cndmask_b32_e32 v6, v6, v12, vcc_lo
	v_cndmask_b32_e32 v10, v15, v10, vcc_lo
	v_cmp_ge_i32_e32 vcc_lo, v10, v6
	s_or_b32 s1, vcc_lo, s1
	s_andn2_b32 exec_lo, exec_lo, s1
	s_cbranch_execnz .LBB116_34
; %bb.35:
	s_or_b32 exec_lo, exec_lo, s1
.LBB116_36:
	s_or_b32 exec_lo, exec_lo, s0
	v_add_nc_u32_e32 v6, v7, v9
	v_add_nc_u32_e32 v12, v10, v7
	;; [unrolled: 1-line block ×4, first 2 shown]
	v_cmp_lt_i32_e32 vcc_lo, 15, v10
	v_sub_nc_u32_e32 v6, v6, v10
	v_add_nc_u32_e32 v11, v0, v12
	v_sub_nc_u32_e32 v13, v9, v10
                                        ; implicit-def: $vgpr9
	v_add_nc_u32_e32 v14, v0, v6
	ds_read_u8 v6, v11
	ds_read_u8 v8, v14 offset:16
	v_cmp_gt_i32_e64 s0, v7, v13
	s_waitcnt lgkmcnt(0)
	v_cmp_lt_u16_sdwa s1, v8, v6 src0_sel:BYTE_0 src1_sel:BYTE_0
	s_or_b32 s1, vcc_lo, s1
	s_and_b32 s0, s0, s1
	s_xor_b32 s1, s0, -1
	s_and_saveexec_b32 s2, s1
	s_xor_b32 s1, exec_lo, s2
; %bb.37:
	ds_read_u8 v9, v11 offset:1
                                        ; implicit-def: $vgpr14
; %bb.38:
	s_or_saveexec_b32 s1, s1
	v_mov_b32_e32 v11, v8
	s_xor_b32 exec_lo, exec_lo, s1
	s_cbranch_execz .LBB116_40
; %bb.39:
	ds_read_u8 v11, v14 offset:17
	s_waitcnt lgkmcnt(1)
	v_mov_b32_e32 v9, v6
.LBB116_40:
	s_or_b32 exec_lo, exec_lo, s1
	v_add_nc_u32_e32 v10, 1, v12
	v_add_nc_u32_e32 v15, 1, v13
	s_waitcnt lgkmcnt(0)
	v_cmp_lt_u16_sdwa s2, v11, v9 src0_sel:BYTE_0 src1_sel:BYTE_0
	v_cndmask_b32_e64 v14, v10, v12, s0
	v_cndmask_b32_e64 v13, v13, v15, s0
                                        ; implicit-def: $vgpr10
	v_cmp_ge_i32_e32 vcc_lo, v14, v5
	v_cmp_lt_i32_e64 s1, v13, v7
	s_or_b32 s2, vcc_lo, s2
	s_and_b32 s1, s1, s2
	s_xor_b32 s2, s1, -1
	s_and_saveexec_b32 s3, s2
	s_xor_b32 s2, exec_lo, s3
; %bb.41:
	v_add_nc_u32_e32 v10, v0, v14
	ds_read_u8 v10, v10 offset:1
; %bb.42:
	s_or_saveexec_b32 s2, s2
	v_mov_b32_e32 v12, v11
	s_xor_b32 exec_lo, exec_lo, s2
	s_cbranch_execz .LBB116_44
; %bb.43:
	s_waitcnt lgkmcnt(0)
	v_add_nc_u32_e32 v10, v0, v13
	ds_read_u8 v12, v10 offset:1
	v_mov_b32_e32 v10, v9
.LBB116_44:
	s_or_b32 exec_lo, exec_lo, s2
	v_add_nc_u32_e32 v15, 1, v14
	v_add_nc_u32_e32 v17, 1, v13
	s_waitcnt lgkmcnt(0)
	v_cmp_lt_u16_sdwa s3, v12, v10 src0_sel:BYTE_0 src1_sel:BYTE_0
	v_cndmask_b32_e64 v16, v15, v14, s1
	v_cndmask_b32_e64 v15, v13, v17, s1
                                        ; implicit-def: $vgpr13
	v_cmp_ge_i32_e32 vcc_lo, v16, v5
	v_cmp_lt_i32_e64 s2, v15, v7
	s_or_b32 s3, vcc_lo, s3
	s_and_b32 s2, s2, s3
	s_xor_b32 s3, s2, -1
	s_and_saveexec_b32 s4, s3
	s_xor_b32 s3, exec_lo, s4
; %bb.45:
	v_add_nc_u32_e32 v13, v0, v16
	ds_read_u8 v13, v13 offset:1
; %bb.46:
	s_or_saveexec_b32 s3, s3
	v_mov_b32_e32 v14, v12
	s_xor_b32 exec_lo, exec_lo, s3
	s_cbranch_execz .LBB116_48
; %bb.47:
	s_waitcnt lgkmcnt(0)
	v_add_nc_u32_e32 v13, v0, v15
	ds_read_u8 v14, v13 offset:1
	v_mov_b32_e32 v13, v10
.LBB116_48:
	s_or_b32 exec_lo, exec_lo, s3
	v_add_nc_u32_e32 v17, 1, v16
	v_add_nc_u32_e32 v19, 1, v15
	s_waitcnt lgkmcnt(0)
	v_cmp_lt_u16_sdwa s4, v14, v13 src0_sel:BYTE_0 src1_sel:BYTE_0
	v_cndmask_b32_e64 v18, v17, v16, s2
	v_cndmask_b32_e64 v17, v15, v19, s2
                                        ; implicit-def: $vgpr15
	v_cmp_ge_i32_e32 vcc_lo, v18, v5
	v_cmp_lt_i32_e64 s3, v17, v7
	s_or_b32 s4, vcc_lo, s4
	s_and_b32 s3, s3, s4
	s_xor_b32 s4, s3, -1
	s_and_saveexec_b32 s5, s4
	s_xor_b32 s4, exec_lo, s5
; %bb.49:
	v_add_nc_u32_e32 v15, v0, v18
	ds_read_u8 v15, v15 offset:1
; %bb.50:
	s_or_saveexec_b32 s4, s4
	v_mov_b32_e32 v16, v14
	s_xor_b32 exec_lo, exec_lo, s4
	s_cbranch_execz .LBB116_52
; %bb.51:
	s_waitcnt lgkmcnt(0)
	v_add_nc_u32_e32 v15, v0, v17
	ds_read_u8 v16, v15 offset:1
	v_mov_b32_e32 v15, v13
.LBB116_52:
	s_or_b32 exec_lo, exec_lo, s4
	v_add_nc_u32_e32 v19, 1, v18
	v_add_nc_u32_e32 v21, 1, v17
	s_waitcnt lgkmcnt(0)
	v_cmp_lt_u16_sdwa s5, v16, v15 src0_sel:BYTE_0 src1_sel:BYTE_0
	v_cndmask_b32_e64 v20, v19, v18, s3
	v_cndmask_b32_e64 v19, v17, v21, s3
                                        ; implicit-def: $vgpr17
	v_cmp_ge_i32_e32 vcc_lo, v20, v5
	v_cmp_lt_i32_e64 s4, v19, v7
	s_or_b32 s5, vcc_lo, s5
	s_and_b32 s4, s4, s5
	s_xor_b32 s5, s4, -1
	s_and_saveexec_b32 s6, s5
	s_xor_b32 s5, exec_lo, s6
; %bb.53:
	v_add_nc_u32_e32 v17, v0, v20
	ds_read_u8 v17, v17 offset:1
; %bb.54:
	s_or_saveexec_b32 s5, s5
	v_mov_b32_e32 v18, v16
	s_xor_b32 exec_lo, exec_lo, s5
	s_cbranch_execz .LBB116_56
; %bb.55:
	s_waitcnt lgkmcnt(0)
	v_add_nc_u32_e32 v17, v0, v19
	ds_read_u8 v18, v17 offset:1
	v_mov_b32_e32 v17, v15
.LBB116_56:
	s_or_b32 exec_lo, exec_lo, s5
	v_add_nc_u32_e32 v21, 1, v20
	v_add_nc_u32_e32 v23, 1, v19
	s_waitcnt lgkmcnt(0)
	v_cmp_lt_u16_sdwa s6, v18, v17 src0_sel:BYTE_0 src1_sel:BYTE_0
	v_cndmask_b32_e64 v22, v21, v20, s4
	v_cndmask_b32_e64 v20, v19, v23, s4
                                        ; implicit-def: $vgpr19
	v_cmp_ge_i32_e32 vcc_lo, v22, v5
	v_cmp_lt_i32_e64 s5, v20, v7
	s_or_b32 s6, vcc_lo, s6
	s_and_b32 vcc_lo, s5, s6
	s_xor_b32 s5, vcc_lo, -1
	s_and_saveexec_b32 s6, s5
	s_xor_b32 s5, exec_lo, s6
; %bb.57:
	v_add_nc_u32_e32 v19, v0, v22
	ds_read_u8 v19, v19 offset:1
; %bb.58:
	s_or_saveexec_b32 s5, s5
	v_mov_b32_e32 v21, v18
	s_xor_b32 exec_lo, exec_lo, s5
	s_cbranch_execz .LBB116_60
; %bb.59:
	s_waitcnt lgkmcnt(0)
	v_add_nc_u32_e32 v19, v0, v20
	ds_read_u8 v21, v19 offset:1
	v_mov_b32_e32 v19, v17
.LBB116_60:
	s_or_b32 exec_lo, exec_lo, s5
	v_add_nc_u32_e32 v23, 1, v22
	v_add_nc_u32_e32 v24, 1, v20
	s_waitcnt lgkmcnt(0)
	v_cmp_lt_u16_sdwa s8, v21, v19 src0_sel:BYTE_0 src1_sel:BYTE_0
	v_cndmask_b32_e32 v23, v23, v22, vcc_lo
	v_cndmask_b32_e32 v24, v20, v24, vcc_lo
                                        ; implicit-def: $vgpr20
	v_cmp_ge_i32_e64 s5, v23, v5
	v_cmp_lt_i32_e64 s6, v24, v7
	s_or_b32 s5, s5, s8
	s_and_b32 s5, s6, s5
	s_xor_b32 s6, s5, -1
	s_and_saveexec_b32 s8, s6
	s_xor_b32 s6, exec_lo, s8
; %bb.61:
	v_add_nc_u32_e32 v20, v0, v23
	ds_read_u8 v20, v20 offset:1
; %bb.62:
	s_or_saveexec_b32 s6, s6
	v_mov_b32_e32 v22, v21
	s_xor_b32 exec_lo, exec_lo, s6
	s_cbranch_execz .LBB116_64
; %bb.63:
	s_waitcnt lgkmcnt(0)
	v_add_nc_u32_e32 v20, v0, v24
	ds_read_u8 v22, v20 offset:1
	v_mov_b32_e32 v20, v19
.LBB116_64:
	s_or_b32 exec_lo, exec_lo, s6
	v_add_nc_u32_e32 v26, 1, v23
	v_add_nc_u32_e32 v25, 1, v24
	v_cndmask_b32_e64 v19, v19, v21, s5
	v_cndmask_b32_e64 v9, v9, v11, s1
	;; [unrolled: 1-line block ×5, first 2 shown]
	s_waitcnt lgkmcnt(0)
	v_cmp_lt_u16_sdwa s5, v22, v20 src0_sel:BYTE_0 src1_sel:BYTE_0
	v_cndmask_b32_sdwa v11, v17, v18, vcc_lo dst_sel:BYTE_1 dst_unused:UNUSED_PAD src0_sel:DWORD src1_sel:DWORD
	s_mov_b32 vcc_lo, s3
	v_cmp_ge_i32_e64 s1, v23, v5
	v_cmp_lt_i32_e64 s0, v21, v7
	v_cndmask_b32_sdwa v8, v13, v14, vcc_lo dst_sel:BYTE_1 dst_unused:UNUSED_PAD src0_sel:DWORD src1_sel:DWORD
	v_and_b32_e32 v7, 64, v4
	v_lshlrev_b16 v9, 8, v9
	s_or_b32 s1, s1, s5
	v_cndmask_b32_e64 v10, v10, v12, s2
	s_and_b32 vcc_lo, s0, s1
	v_cndmask_b32_e64 v12, v15, v16, s4
	v_cndmask_b32_e32 v13, v20, v22, vcc_lo
	v_or_b32_e32 v5, 32, v7
	v_or_b32_sdwa v6, v6, v9 dst_sel:DWORD dst_unused:UNUSED_PAD src0_sel:BYTE_0 src1_sel:DWORD
	v_or_b32_sdwa v10, v10, v8 dst_sel:WORD_1 dst_unused:UNUSED_PAD src0_sel:BYTE_0 src1_sel:DWORD
	v_and_b32_e32 v8, 56, v4
	v_lshlrev_b16 v9, 8, v13
	v_sub_nc_u32_e32 v4, v5, v7
	v_or_b32_sdwa v11, v12, v11 dst_sel:DWORD dst_unused:UNUSED_PAD src0_sel:BYTE_0 src1_sel:DWORD
	v_or_b32_sdwa v10, v6, v10 dst_sel:DWORD dst_unused:UNUSED_PAD src0_sel:WORD_0 src1_sel:DWORD
	s_mov_b32 s0, exec_lo
	v_or_b32_sdwa v12, v19, v9 dst_sel:WORD_1 dst_unused:UNUSED_PAD src0_sel:BYTE_0 src1_sel:DWORD
	v_sub_nc_u32_e64 v9, v8, 32 clamp
	v_min_i32_e32 v4, v8, v4
	; wave barrier
	v_or_b32_sdwa v11, v11, v12 dst_sel:DWORD dst_unused:UNUSED_PAD src0_sel:WORD_0 src1_sel:DWORD
	ds_write_b64 v3, v[10:11]
	; wave barrier
	v_cmpx_lt_i32_e64 v9, v4
	s_cbranch_execz .LBB116_68
; %bb.65:
	v_add_nc_u32_e32 v6, v0, v7
	s_mov_b32 s1, 0
	v_add_nc_u32_e32 v10, v6, v8
	.p2align	6
.LBB116_66:                             ; =>This Inner Loop Header: Depth=1
	v_sub_nc_u32_e32 v11, v4, v9
	v_lshrrev_b32_e32 v11, 1, v11
	v_add_nc_u32_e32 v11, v11, v9
	v_add_nc_u32_e32 v12, v6, v11
	v_xad_u32 v13, v11, -1, v10
	v_add_nc_u32_e32 v14, 1, v11
	ds_read_u8 v12, v12
	ds_read_u8 v13, v13 offset:32
	s_waitcnt lgkmcnt(0)
	v_cmp_lt_u16_e32 vcc_lo, v13, v12
	v_cndmask_b32_e32 v4, v4, v11, vcc_lo
	v_cndmask_b32_e32 v9, v14, v9, vcc_lo
	v_cmp_ge_i32_e32 vcc_lo, v9, v4
	s_or_b32 s1, vcc_lo, s1
	s_andn2_b32 exec_lo, exec_lo, s1
	s_cbranch_execnz .LBB116_66
; %bb.67:
	s_or_b32 exec_lo, exec_lo, s1
.LBB116_68:
	s_or_b32 exec_lo, exec_lo, s0
	v_add_nc_u32_e32 v4, v7, v8
	v_add_nc_u32_e32 v10, v9, v7
	;; [unrolled: 1-line block ×4, first 2 shown]
	v_cmp_lt_i32_e32 vcc_lo, 31, v9
	v_sub_nc_u32_e32 v4, v4, v9
	v_add_nc_u32_e32 v13, v0, v10
	v_sub_nc_u32_e32 v11, v8, v9
                                        ; implicit-def: $vgpr8
	v_add_nc_u32_e32 v12, v0, v4
	ds_read_u8 v4, v13
	ds_read_u8 v6, v12 offset:32
	v_cmp_gt_i32_e64 s0, v7, v11
	s_waitcnt lgkmcnt(0)
	v_cmp_lt_u16_sdwa s1, v6, v4 src0_sel:BYTE_0 src1_sel:BYTE_0
	s_or_b32 s1, vcc_lo, s1
	s_and_b32 s0, s0, s1
	s_xor_b32 s1, s0, -1
	s_and_saveexec_b32 s2, s1
	s_xor_b32 s1, exec_lo, s2
; %bb.69:
	ds_read_u8 v8, v13 offset:1
                                        ; implicit-def: $vgpr12
; %bb.70:
	s_or_saveexec_b32 s1, s1
	v_mov_b32_e32 v9, v6
	s_xor_b32 exec_lo, exec_lo, s1
	s_cbranch_execz .LBB116_72
; %bb.71:
	ds_read_u8 v9, v12 offset:33
	s_waitcnt lgkmcnt(1)
	v_mov_b32_e32 v8, v4
.LBB116_72:
	s_or_b32 exec_lo, exec_lo, s1
	v_add_nc_u32_e32 v12, 1, v10
	v_add_nc_u32_e32 v14, 1, v11
	s_waitcnt lgkmcnt(0)
	v_cmp_lt_u16_sdwa s2, v9, v8 src0_sel:BYTE_0 src1_sel:BYTE_0
	v_cndmask_b32_e64 v13, v12, v10, s0
	v_cndmask_b32_e64 v12, v11, v14, s0
                                        ; implicit-def: $vgpr10
	v_cmp_ge_i32_e32 vcc_lo, v13, v5
	v_cmp_lt_i32_e64 s1, v12, v7
	s_or_b32 s2, vcc_lo, s2
	s_and_b32 s1, s1, s2
	s_xor_b32 s2, s1, -1
	s_and_saveexec_b32 s3, s2
	s_xor_b32 s2, exec_lo, s3
; %bb.73:
	v_add_nc_u32_e32 v10, v0, v13
	ds_read_u8 v10, v10 offset:1
; %bb.74:
	s_or_saveexec_b32 s2, s2
	v_mov_b32_e32 v11, v9
	s_xor_b32 exec_lo, exec_lo, s2
	s_cbranch_execz .LBB116_76
; %bb.75:
	s_waitcnt lgkmcnt(0)
	v_add_nc_u32_e32 v10, v0, v12
	ds_read_u8 v11, v10 offset:1
	v_mov_b32_e32 v10, v8
.LBB116_76:
	s_or_b32 exec_lo, exec_lo, s2
	v_add_nc_u32_e32 v14, 1, v13
	v_add_nc_u32_e32 v16, 1, v12
	s_waitcnt lgkmcnt(0)
	v_cmp_lt_u16_sdwa s3, v11, v10 src0_sel:BYTE_0 src1_sel:BYTE_0
	v_cndmask_b32_e64 v15, v14, v13, s1
	v_cndmask_b32_e64 v14, v12, v16, s1
                                        ; implicit-def: $vgpr12
	v_cmp_ge_i32_e32 vcc_lo, v15, v5
	v_cmp_lt_i32_e64 s2, v14, v7
	s_or_b32 s3, vcc_lo, s3
	s_and_b32 s2, s2, s3
	s_xor_b32 s3, s2, -1
	s_and_saveexec_b32 s4, s3
	s_xor_b32 s3, exec_lo, s4
; %bb.77:
	v_add_nc_u32_e32 v12, v0, v15
	ds_read_u8 v12, v12 offset:1
; %bb.78:
	s_or_saveexec_b32 s3, s3
	v_mov_b32_e32 v13, v11
	s_xor_b32 exec_lo, exec_lo, s3
	s_cbranch_execz .LBB116_80
; %bb.79:
	s_waitcnt lgkmcnt(0)
	v_add_nc_u32_e32 v12, v0, v14
	ds_read_u8 v13, v12 offset:1
	v_mov_b32_e32 v12, v10
.LBB116_80:
	s_or_b32 exec_lo, exec_lo, s3
	v_add_nc_u32_e32 v16, 1, v15
	v_add_nc_u32_e32 v18, 1, v14
	s_waitcnt lgkmcnt(0)
	v_cmp_lt_u16_sdwa s4, v13, v12 src0_sel:BYTE_0 src1_sel:BYTE_0
	v_cndmask_b32_e64 v17, v16, v15, s2
	v_cndmask_b32_e64 v16, v14, v18, s2
                                        ; implicit-def: $vgpr14
	v_cmp_ge_i32_e32 vcc_lo, v17, v5
	v_cmp_lt_i32_e64 s3, v16, v7
	s_or_b32 s4, vcc_lo, s4
	s_and_b32 s3, s3, s4
	s_xor_b32 s4, s3, -1
	s_and_saveexec_b32 s5, s4
	s_xor_b32 s4, exec_lo, s5
; %bb.81:
	v_add_nc_u32_e32 v14, v0, v17
	ds_read_u8 v14, v14 offset:1
; %bb.82:
	s_or_saveexec_b32 s4, s4
	v_mov_b32_e32 v15, v13
	s_xor_b32 exec_lo, exec_lo, s4
	s_cbranch_execz .LBB116_84
; %bb.83:
	s_waitcnt lgkmcnt(0)
	v_add_nc_u32_e32 v14, v0, v16
	ds_read_u8 v15, v14 offset:1
	v_mov_b32_e32 v14, v12
.LBB116_84:
	s_or_b32 exec_lo, exec_lo, s4
	v_add_nc_u32_e32 v18, 1, v17
	v_add_nc_u32_e32 v20, 1, v16
	s_waitcnt lgkmcnt(0)
	v_cmp_lt_u16_sdwa s5, v15, v14 src0_sel:BYTE_0 src1_sel:BYTE_0
	v_cndmask_b32_e64 v19, v18, v17, s3
	v_cndmask_b32_e64 v18, v16, v20, s3
                                        ; implicit-def: $vgpr16
	v_cmp_ge_i32_e32 vcc_lo, v19, v5
	v_cmp_lt_i32_e64 s4, v18, v7
	s_or_b32 s5, vcc_lo, s5
	s_and_b32 s4, s4, s5
	s_xor_b32 s5, s4, -1
	s_and_saveexec_b32 s6, s5
	s_xor_b32 s5, exec_lo, s6
; %bb.85:
	v_add_nc_u32_e32 v16, v0, v19
	ds_read_u8 v16, v16 offset:1
; %bb.86:
	s_or_saveexec_b32 s5, s5
	v_mov_b32_e32 v17, v15
	s_xor_b32 exec_lo, exec_lo, s5
	s_cbranch_execz .LBB116_88
; %bb.87:
	s_waitcnt lgkmcnt(0)
	v_add_nc_u32_e32 v16, v0, v18
	ds_read_u8 v17, v16 offset:1
	v_mov_b32_e32 v16, v14
.LBB116_88:
	s_or_b32 exec_lo, exec_lo, s5
	v_add_nc_u32_e32 v20, 1, v19
	v_add_nc_u32_e32 v22, 1, v18
	s_waitcnt lgkmcnt(0)
	v_cmp_lt_u16_sdwa s6, v17, v16 src0_sel:BYTE_0 src1_sel:BYTE_0
	v_cndmask_b32_e64 v21, v20, v19, s4
	v_cndmask_b32_e64 v20, v18, v22, s4
                                        ; implicit-def: $vgpr18
	v_cmp_ge_i32_e32 vcc_lo, v21, v5
	v_cmp_lt_i32_e64 s5, v20, v7
	s_or_b32 s6, vcc_lo, s6
	s_and_b32 vcc_lo, s5, s6
	s_xor_b32 s5, vcc_lo, -1
	s_and_saveexec_b32 s6, s5
	s_xor_b32 s5, exec_lo, s6
; %bb.89:
	v_add_nc_u32_e32 v18, v0, v21
	ds_read_u8 v18, v18 offset:1
; %bb.90:
	s_or_saveexec_b32 s5, s5
	v_mov_b32_e32 v19, v17
	s_xor_b32 exec_lo, exec_lo, s5
	s_cbranch_execz .LBB116_92
; %bb.91:
	s_waitcnt lgkmcnt(0)
	v_add_nc_u32_e32 v18, v0, v20
	ds_read_u8 v19, v18 offset:1
	v_mov_b32_e32 v18, v16
.LBB116_92:
	s_or_b32 exec_lo, exec_lo, s5
	v_add_nc_u32_e32 v22, 1, v21
	v_add_nc_u32_e32 v23, 1, v20
	s_waitcnt lgkmcnt(0)
	v_cmp_lt_u16_sdwa s8, v19, v18 src0_sel:BYTE_0 src1_sel:BYTE_0
	v_cndmask_b32_e32 v22, v22, v21, vcc_lo
	v_cndmask_b32_e32 v21, v20, v23, vcc_lo
                                        ; implicit-def: $vgpr20
	v_cmp_ge_i32_e64 s5, v22, v5
	v_cmp_lt_i32_e64 s6, v21, v7
	s_or_b32 s5, s5, s8
	s_and_b32 s5, s6, s5
	s_xor_b32 s6, s5, -1
	s_and_saveexec_b32 s8, s6
	s_xor_b32 s6, exec_lo, s8
; %bb.93:
	v_add_nc_u32_e32 v20, v0, v22
	ds_read_u8 v20, v20 offset:1
; %bb.94:
	s_or_saveexec_b32 s6, s6
	v_mov_b32_e32 v23, v19
	s_xor_b32 exec_lo, exec_lo, s6
	s_cbranch_execz .LBB116_96
; %bb.95:
	s_waitcnt lgkmcnt(0)
	v_add_nc_u32_e32 v20, v0, v21
	ds_read_u8 v23, v20 offset:1
	v_mov_b32_e32 v20, v18
.LBB116_96:
	s_or_b32 exec_lo, exec_lo, s6
	v_add_nc_u32_e32 v24, 1, v22
	v_add_nc_u32_e32 v25, 1, v21
	v_cndmask_b32_e64 v18, v18, v19, s5
	v_cndmask_b32_e64 v14, v14, v15, s4
	;; [unrolled: 1-line block ×5, first 2 shown]
	s_waitcnt lgkmcnt(0)
	v_cmp_lt_u16_sdwa s5, v23, v20 src0_sel:BYTE_0 src1_sel:BYTE_0
	v_cndmask_b32_sdwa v6, v16, v17, vcc_lo dst_sel:BYTE_1 dst_unused:UNUSED_PAD src0_sel:DWORD src1_sel:DWORD
	v_cmp_ge_i32_e64 s4, v22, v5
	v_cndmask_b32_e64 v5, v10, v11, s2
	v_cmp_lt_i32_e64 s2, v19, v7
	v_cndmask_b32_e64 v7, v8, v9, s1
	v_or_b32_sdwa v10, v14, v6 dst_sel:DWORD dst_unused:UNUSED_PAD src0_sel:BYTE_0 src1_sel:DWORD
	s_or_b32 s0, s4, s5
	v_sub_nc_u32_e64 v6, v2, 64 clamp
	s_and_b32 vcc_lo, s2, s0
	v_lshlrev_b16 v7, 8, v7
	v_cndmask_b32_e32 v8, v20, v23, vcc_lo
	s_mov_b32 vcc_lo, s3
	s_mov_b32 s0, exec_lo
	v_cndmask_b32_sdwa v9, v12, v13, vcc_lo dst_sel:BYTE_1 dst_unused:UNUSED_PAD src0_sel:DWORD src1_sel:DWORD
	v_or_b32_sdwa v7, v4, v7 dst_sel:DWORD dst_unused:UNUSED_PAD src0_sel:BYTE_0 src1_sel:DWORD
	v_lshlrev_b16 v8, 8, v8
	v_min_u32_e32 v4, 64, v2
	; wave barrier
	v_or_b32_sdwa v5, v5, v9 dst_sel:WORD_1 dst_unused:UNUSED_PAD src0_sel:BYTE_0 src1_sel:DWORD
	v_or_b32_sdwa v8, v18, v8 dst_sel:WORD_1 dst_unused:UNUSED_PAD src0_sel:BYTE_0 src1_sel:DWORD
	v_or_b32_sdwa v7, v7, v5 dst_sel:DWORD dst_unused:UNUSED_PAD src0_sel:WORD_0 src1_sel:DWORD
	v_or_b32_sdwa v8, v10, v8 dst_sel:DWORD dst_unused:UNUSED_PAD src0_sel:WORD_0 src1_sel:DWORD
	ds_write_b64 v3, v[7:8]
	; wave barrier
	v_cmpx_lt_u32_e64 v6, v4
	s_cbranch_execz .LBB116_100
; %bb.97:
	s_mov_b32 s1, 0
	.p2align	6
.LBB116_98:                             ; =>This Inner Loop Header: Depth=1
	v_sub_nc_u32_e32 v5, v4, v6
	v_lshrrev_b32_e32 v5, 1, v5
	v_add_nc_u32_e32 v5, v5, v6
	v_add_nc_u32_e32 v7, v0, v5
	v_xad_u32 v8, v5, -1, v3
	v_add_nc_u32_e32 v9, 1, v5
	ds_read_u8 v7, v7
	ds_read_u8 v8, v8 offset:64
	s_waitcnt lgkmcnt(0)
	v_cmp_lt_u16_e32 vcc_lo, v8, v7
	v_cndmask_b32_e32 v4, v4, v5, vcc_lo
	v_cndmask_b32_e32 v6, v9, v6, vcc_lo
	v_cmp_ge_i32_e32 vcc_lo, v6, v4
	s_or_b32 s1, vcc_lo, s1
	s_andn2_b32 exec_lo, exec_lo, s1
	s_cbranch_execnz .LBB116_98
; %bb.99:
	s_or_b32 exec_lo, exec_lo, s1
.LBB116_100:
	s_or_b32 exec_lo, exec_lo, s0
	v_sub_nc_u32_e32 v4, v2, v6
	v_add_nc_u32_e32 v5, v0, v6
	v_cmp_lt_i32_e32 vcc_lo, 63, v6
	v_add_nc_u32_e32 v8, v0, v4
	v_add_nc_u32_e32 v7, 64, v4
                                        ; implicit-def: $vgpr4
	ds_read_u8 v2, v5
	ds_read_u8 v3, v8 offset:64
	v_cmp_gt_i32_e64 s0, 0x80, v7
	s_waitcnt lgkmcnt(0)
	v_cmp_lt_u16_sdwa s1, v3, v2 src0_sel:BYTE_0 src1_sel:BYTE_0
	s_or_b32 s1, vcc_lo, s1
	s_and_b32 s0, s0, s1
	s_xor_b32 s1, s0, -1
	s_and_saveexec_b32 s2, s1
	s_xor_b32 s1, exec_lo, s2
; %bb.101:
	ds_read_u8 v4, v5 offset:1
                                        ; implicit-def: $vgpr8
; %bb.102:
	s_or_saveexec_b32 s1, s1
	v_mov_b32_e32 v5, v3
	s_xor_b32 exec_lo, exec_lo, s1
	s_cbranch_execz .LBB116_104
; %bb.103:
	ds_read_u8 v5, v8 offset:65
	s_waitcnt lgkmcnt(1)
	v_mov_b32_e32 v4, v2
.LBB116_104:
	s_or_b32 exec_lo, exec_lo, s1
	v_add_nc_u32_e32 v8, 1, v6
	v_add_nc_u32_e32 v10, 1, v7
	s_waitcnt lgkmcnt(0)
	v_cmp_lt_u16_sdwa s2, v5, v4 src0_sel:BYTE_0 src1_sel:BYTE_0
	v_cndmask_b32_e64 v9, v8, v6, s0
	v_cndmask_b32_e64 v8, v7, v10, s0
                                        ; implicit-def: $vgpr6
	v_cmp_lt_i32_e32 vcc_lo, 63, v9
	v_cmp_gt_i32_e64 s1, 0x80, v8
	s_or_b32 s2, vcc_lo, s2
	s_and_b32 s1, s1, s2
	s_xor_b32 s2, s1, -1
	s_and_saveexec_b32 s3, s2
	s_xor_b32 s2, exec_lo, s3
; %bb.105:
	v_add_nc_u32_e32 v6, v0, v9
	ds_read_u8 v6, v6 offset:1
; %bb.106:
	s_or_saveexec_b32 s2, s2
	v_mov_b32_e32 v7, v5
	s_xor_b32 exec_lo, exec_lo, s2
	s_cbranch_execz .LBB116_108
; %bb.107:
	s_waitcnt lgkmcnt(0)
	v_add_nc_u32_e32 v6, v0, v8
	ds_read_u8 v7, v6 offset:1
	v_mov_b32_e32 v6, v4
.LBB116_108:
	s_or_b32 exec_lo, exec_lo, s2
	v_add_nc_u32_e32 v10, 1, v9
	v_add_nc_u32_e32 v12, 1, v8
	s_waitcnt lgkmcnt(0)
	v_cmp_lt_u16_sdwa s3, v7, v6 src0_sel:BYTE_0 src1_sel:BYTE_0
	v_cndmask_b32_e64 v11, v10, v9, s1
	v_cndmask_b32_e64 v10, v8, v12, s1
                                        ; implicit-def: $vgpr8
	v_cmp_lt_i32_e32 vcc_lo, 63, v11
	v_cmp_gt_i32_e64 s2, 0x80, v10
	s_or_b32 s3, vcc_lo, s3
	s_and_b32 s2, s2, s3
	s_xor_b32 s3, s2, -1
	s_and_saveexec_b32 s4, s3
	s_xor_b32 s3, exec_lo, s4
; %bb.109:
	v_add_nc_u32_e32 v8, v0, v11
	ds_read_u8 v8, v8 offset:1
; %bb.110:
	s_or_saveexec_b32 s3, s3
	v_mov_b32_e32 v9, v7
	s_xor_b32 exec_lo, exec_lo, s3
	s_cbranch_execz .LBB116_112
; %bb.111:
	s_waitcnt lgkmcnt(0)
	v_add_nc_u32_e32 v8, v0, v10
	ds_read_u8 v9, v8 offset:1
	v_mov_b32_e32 v8, v6
.LBB116_112:
	s_or_b32 exec_lo, exec_lo, s3
	v_add_nc_u32_e32 v12, 1, v11
	v_add_nc_u32_e32 v14, 1, v10
	s_waitcnt lgkmcnt(0)
	v_cmp_lt_u16_sdwa s4, v9, v8 src0_sel:BYTE_0 src1_sel:BYTE_0
	v_cndmask_b32_e64 v13, v12, v11, s2
	v_cndmask_b32_e64 v12, v10, v14, s2
                                        ; implicit-def: $vgpr10
	v_cmp_lt_i32_e32 vcc_lo, 63, v13
	v_cmp_gt_i32_e64 s3, 0x80, v12
	s_or_b32 s4, vcc_lo, s4
	s_and_b32 s3, s3, s4
	s_xor_b32 s4, s3, -1
	s_and_saveexec_b32 s5, s4
	s_xor_b32 s4, exec_lo, s5
; %bb.113:
	v_add_nc_u32_e32 v10, v0, v13
	ds_read_u8 v10, v10 offset:1
; %bb.114:
	s_or_saveexec_b32 s4, s4
	v_mov_b32_e32 v11, v9
	s_xor_b32 exec_lo, exec_lo, s4
	s_cbranch_execz .LBB116_116
; %bb.115:
	s_waitcnt lgkmcnt(0)
	v_add_nc_u32_e32 v10, v0, v12
	ds_read_u8 v11, v10 offset:1
	v_mov_b32_e32 v10, v8
.LBB116_116:
	s_or_b32 exec_lo, exec_lo, s4
	v_add_nc_u32_e32 v14, 1, v13
	v_add_nc_u32_e32 v16, 1, v12
	s_waitcnt lgkmcnt(0)
	v_cmp_lt_u16_sdwa s5, v11, v10 src0_sel:BYTE_0 src1_sel:BYTE_0
	v_cndmask_b32_e64 v15, v14, v13, s3
	v_cndmask_b32_e64 v14, v12, v16, s3
                                        ; implicit-def: $vgpr12
	v_cmp_lt_i32_e32 vcc_lo, 63, v15
	v_cmp_gt_i32_e64 s4, 0x80, v14
	s_or_b32 s5, vcc_lo, s5
	s_and_b32 s4, s4, s5
	s_xor_b32 s5, s4, -1
	s_and_saveexec_b32 s6, s5
	s_xor_b32 s5, exec_lo, s6
; %bb.117:
	v_add_nc_u32_e32 v12, v0, v15
	ds_read_u8 v12, v12 offset:1
; %bb.118:
	s_or_saveexec_b32 s5, s5
	v_mov_b32_e32 v13, v11
	s_xor_b32 exec_lo, exec_lo, s5
	s_cbranch_execz .LBB116_120
; %bb.119:
	s_waitcnt lgkmcnt(0)
	v_add_nc_u32_e32 v12, v0, v14
	ds_read_u8 v13, v12 offset:1
	v_mov_b32_e32 v12, v10
.LBB116_120:
	s_or_b32 exec_lo, exec_lo, s5
	v_add_nc_u32_e32 v16, 1, v15
	v_add_nc_u32_e32 v18, 1, v14
	s_waitcnt lgkmcnt(0)
	v_cmp_lt_u16_sdwa s6, v13, v12 src0_sel:BYTE_0 src1_sel:BYTE_0
	v_cndmask_b32_e64 v17, v16, v15, s4
	v_cndmask_b32_e64 v16, v14, v18, s4
                                        ; implicit-def: $vgpr15
	v_cmp_lt_i32_e32 vcc_lo, 63, v17
	v_cmp_gt_i32_e64 s5, 0x80, v16
	s_or_b32 s6, vcc_lo, s6
	s_and_b32 vcc_lo, s5, s6
	s_xor_b32 s5, vcc_lo, -1
	s_and_saveexec_b32 s6, s5
	s_xor_b32 s5, exec_lo, s6
; %bb.121:
	v_add_nc_u32_e32 v14, v0, v17
	ds_read_u8 v15, v14 offset:1
; %bb.122:
	s_or_saveexec_b32 s5, s5
	v_mov_b32_e32 v14, v13
	s_xor_b32 exec_lo, exec_lo, s5
	s_cbranch_execz .LBB116_124
; %bb.123:
	v_add_nc_u32_e32 v14, v0, v16
	s_waitcnt lgkmcnt(0)
	v_mov_b32_e32 v15, v12
	ds_read_u8 v14, v14 offset:1
.LBB116_124:
	s_or_b32 exec_lo, exec_lo, s5
	v_add_nc_u32_e32 v18, 1, v17
	v_add_nc_u32_e32 v19, 1, v16
	s_waitcnt lgkmcnt(0)
	v_cmp_ge_u16_sdwa s8, v14, v15 src0_sel:BYTE_0 src1_sel:BYTE_0
	v_cndmask_b32_e32 v20, v18, v17, vcc_lo
	v_cndmask_b32_e32 v16, v16, v19, vcc_lo
                                        ; implicit-def: $vgpr18
                                        ; implicit-def: $vgpr19
	v_cmp_gt_i32_e64 s5, 64, v20
	v_cmp_lt_i32_e64 s6, 0x7f, v16
	s_and_b32 s5, s5, s8
	s_or_b32 s5, s6, s5
	s_and_saveexec_b32 s6, s5
	s_xor_b32 s5, exec_lo, s6
; %bb.125:
	v_add_nc_u32_e32 v0, v0, v20
	v_add_nc_u32_e32 v19, 1, v20
                                        ; implicit-def: $vgpr20
	ds_read_u8 v18, v0 offset:1
                                        ; implicit-def: $vgpr0
; %bb.126:
	s_or_saveexec_b32 s5, s5
	v_mov_b32_e32 v17, v15
	s_xor_b32 exec_lo, exec_lo, s5
	s_cbranch_execz .LBB116_128
; %bb.127:
	v_add_nc_u32_e32 v0, v0, v16
	v_add_nc_u32_e32 v16, 1, v16
	v_mov_b32_e32 v17, v14
	v_mov_b32_e32 v19, v20
	s_waitcnt lgkmcnt(0)
	v_mov_b32_e32 v18, v15
	ds_read_u8 v0, v0 offset:1
	s_waitcnt lgkmcnt(0)
	v_mov_b32_e32 v14, v0
.LBB116_128:
	s_or_b32 exec_lo, exec_lo, s5
	v_cmp_lt_i32_e64 s5, 63, v19
	s_waitcnt lgkmcnt(0)
	v_cmp_lt_u16_sdwa s6, v14, v18 src0_sel:BYTE_0 src1_sel:BYTE_0
	v_cndmask_b32_e64 v10, v10, v11, s4
	v_cmp_gt_i32_e64 s4, 0x80, v16
	v_cndmask_b32_sdwa v0, v12, v13, vcc_lo dst_sel:BYTE_1 dst_unused:UNUSED_PAD src0_sel:DWORD src1_sel:DWORD
	s_mov_b32 vcc_lo, s3
	s_or_b32 s5, s5, s6
	v_cndmask_b32_sdwa v8, v8, v9, vcc_lo dst_sel:BYTE_1 dst_unused:UNUSED_PAD src0_sel:DWORD src1_sel:DWORD
	s_and_b32 vcc_lo, s4, s5
	v_cndmask_b32_e64 v2, v2, v3, s0
	v_cndmask_b32_e32 v9, v18, v14, vcc_lo
	s_mov_b32 vcc_lo, s1
	v_cndmask_b32_e64 v3, v6, v7, s2
	v_cndmask_b32_sdwa v4, v4, v5, vcc_lo dst_sel:BYTE_1 dst_unused:UNUSED_PAD src0_sel:DWORD src1_sel:DWORD
	s_add_u32 s0, s10, s7
	v_lshlrev_b16 v5, 8, v9
	s_addc_u32 s1, s11, 0
	v_or_b32_sdwa v3, v3, v8 dst_sel:WORD_1 dst_unused:UNUSED_PAD src0_sel:BYTE_0 src1_sel:DWORD
	v_or_b32_sdwa v2, v2, v4 dst_sel:DWORD dst_unused:UNUSED_PAD src0_sel:BYTE_0 src1_sel:DWORD
	v_or_b32_sdwa v4, v10, v0 dst_sel:DWORD dst_unused:UNUSED_PAD src0_sel:BYTE_0 src1_sel:DWORD
	v_or_b32_sdwa v5, v17, v5 dst_sel:WORD_1 dst_unused:UNUSED_PAD src0_sel:BYTE_0 src1_sel:DWORD
	v_add_co_u32 v0, s0, s0, v1
	v_add_co_ci_u32_e64 v1, null, s1, 0, s0
	v_or_b32_sdwa v2, v2, v3 dst_sel:DWORD dst_unused:UNUSED_PAD src0_sel:WORD_0 src1_sel:DWORD
	v_or_b32_sdwa v3, v4, v5 dst_sel:DWORD dst_unused:UNUSED_PAD src0_sel:WORD_0 src1_sel:DWORD
	global_store_dwordx2 v[0:1], v[2:3], off
	s_endpgm
	.section	.rodata,"a",@progbits
	.p2align	6, 0x0
	.amdhsa_kernel _Z9sort_keysILj256ELj16ELj8EhN10test_utils4lessEEvPKT2_PS2_T3_
		.amdhsa_group_segment_fixed_size 2064
		.amdhsa_private_segment_fixed_size 0
		.amdhsa_kernarg_size 20
		.amdhsa_user_sgpr_count 6
		.amdhsa_user_sgpr_private_segment_buffer 1
		.amdhsa_user_sgpr_dispatch_ptr 0
		.amdhsa_user_sgpr_queue_ptr 0
		.amdhsa_user_sgpr_kernarg_segment_ptr 1
		.amdhsa_user_sgpr_dispatch_id 0
		.amdhsa_user_sgpr_flat_scratch_init 0
		.amdhsa_user_sgpr_private_segment_size 0
		.amdhsa_wavefront_size32 1
		.amdhsa_uses_dynamic_stack 0
		.amdhsa_system_sgpr_private_segment_wavefront_offset 0
		.amdhsa_system_sgpr_workgroup_id_x 1
		.amdhsa_system_sgpr_workgroup_id_y 0
		.amdhsa_system_sgpr_workgroup_id_z 0
		.amdhsa_system_sgpr_workgroup_info 0
		.amdhsa_system_vgpr_workitem_id 0
		.amdhsa_next_free_vgpr 27
		.amdhsa_next_free_sgpr 12
		.amdhsa_reserve_vcc 1
		.amdhsa_reserve_flat_scratch 0
		.amdhsa_float_round_mode_32 0
		.amdhsa_float_round_mode_16_64 0
		.amdhsa_float_denorm_mode_32 3
		.amdhsa_float_denorm_mode_16_64 3
		.amdhsa_dx10_clamp 1
		.amdhsa_ieee_mode 1
		.amdhsa_fp16_overflow 0
		.amdhsa_workgroup_processor_mode 1
		.amdhsa_memory_ordered 1
		.amdhsa_forward_progress 1
		.amdhsa_shared_vgpr_count 0
		.amdhsa_exception_fp_ieee_invalid_op 0
		.amdhsa_exception_fp_denorm_src 0
		.amdhsa_exception_fp_ieee_div_zero 0
		.amdhsa_exception_fp_ieee_overflow 0
		.amdhsa_exception_fp_ieee_underflow 0
		.amdhsa_exception_fp_ieee_inexact 0
		.amdhsa_exception_int_div_zero 0
	.end_amdhsa_kernel
	.section	.text._Z9sort_keysILj256ELj16ELj8EhN10test_utils4lessEEvPKT2_PS2_T3_,"axG",@progbits,_Z9sort_keysILj256ELj16ELj8EhN10test_utils4lessEEvPKT2_PS2_T3_,comdat
.Lfunc_end116:
	.size	_Z9sort_keysILj256ELj16ELj8EhN10test_utils4lessEEvPKT2_PS2_T3_, .Lfunc_end116-_Z9sort_keysILj256ELj16ELj8EhN10test_utils4lessEEvPKT2_PS2_T3_
                                        ; -- End function
	.set _Z9sort_keysILj256ELj16ELj8EhN10test_utils4lessEEvPKT2_PS2_T3_.num_vgpr, 27
	.set _Z9sort_keysILj256ELj16ELj8EhN10test_utils4lessEEvPKT2_PS2_T3_.num_agpr, 0
	.set _Z9sort_keysILj256ELj16ELj8EhN10test_utils4lessEEvPKT2_PS2_T3_.numbered_sgpr, 12
	.set _Z9sort_keysILj256ELj16ELj8EhN10test_utils4lessEEvPKT2_PS2_T3_.num_named_barrier, 0
	.set _Z9sort_keysILj256ELj16ELj8EhN10test_utils4lessEEvPKT2_PS2_T3_.private_seg_size, 0
	.set _Z9sort_keysILj256ELj16ELj8EhN10test_utils4lessEEvPKT2_PS2_T3_.uses_vcc, 1
	.set _Z9sort_keysILj256ELj16ELj8EhN10test_utils4lessEEvPKT2_PS2_T3_.uses_flat_scratch, 0
	.set _Z9sort_keysILj256ELj16ELj8EhN10test_utils4lessEEvPKT2_PS2_T3_.has_dyn_sized_stack, 0
	.set _Z9sort_keysILj256ELj16ELj8EhN10test_utils4lessEEvPKT2_PS2_T3_.has_recursion, 0
	.set _Z9sort_keysILj256ELj16ELj8EhN10test_utils4lessEEvPKT2_PS2_T3_.has_indirect_call, 0
	.section	.AMDGPU.csdata,"",@progbits
; Kernel info:
; codeLenInByte = 6792
; TotalNumSgprs: 14
; NumVgprs: 27
; ScratchSize: 0
; MemoryBound: 0
; FloatMode: 240
; IeeeMode: 1
; LDSByteSize: 2064 bytes/workgroup (compile time only)
; SGPRBlocks: 0
; VGPRBlocks: 3
; NumSGPRsForWavesPerEU: 14
; NumVGPRsForWavesPerEU: 27
; Occupancy: 16
; WaveLimiterHint : 0
; COMPUTE_PGM_RSRC2:SCRATCH_EN: 0
; COMPUTE_PGM_RSRC2:USER_SGPR: 6
; COMPUTE_PGM_RSRC2:TRAP_HANDLER: 0
; COMPUTE_PGM_RSRC2:TGID_X_EN: 1
; COMPUTE_PGM_RSRC2:TGID_Y_EN: 0
; COMPUTE_PGM_RSRC2:TGID_Z_EN: 0
; COMPUTE_PGM_RSRC2:TIDIG_COMP_CNT: 0
	.section	.text._Z10sort_pairsILj256ELj16ELj8EhN10test_utils4lessEEvPKT2_PS2_T3_,"axG",@progbits,_Z10sort_pairsILj256ELj16ELj8EhN10test_utils4lessEEvPKT2_PS2_T3_,comdat
	.protected	_Z10sort_pairsILj256ELj16ELj8EhN10test_utils4lessEEvPKT2_PS2_T3_ ; -- Begin function _Z10sort_pairsILj256ELj16ELj8EhN10test_utils4lessEEvPKT2_PS2_T3_
	.globl	_Z10sort_pairsILj256ELj16ELj8EhN10test_utils4lessEEvPKT2_PS2_T3_
	.p2align	8
	.type	_Z10sort_pairsILj256ELj16ELj8EhN10test_utils4lessEEvPKT2_PS2_T3_,@function
_Z10sort_pairsILj256ELj16ELj8EhN10test_utils4lessEEvPKT2_PS2_T3_: ; @_Z10sort_pairsILj256ELj16ELj8EhN10test_utils4lessEEvPKT2_PS2_T3_
; %bb.0:
	s_load_dwordx4 s[36:39], s[4:5], 0x0
	s_lshl_b32 s40, s6, 11
	v_lshlrev_b32_e32 v3, 3, v0
	v_mov_b32_e32 v14, 0xff
	v_lshrrev_b32_e32 v0, 4, v0
	v_mov_b32_e32 v17, 0
	s_mov_b32 s28, 0
	s_mov_b32 s29, exec_lo
	s_waitcnt lgkmcnt(0)
	s_add_u32 s0, s36, s40
	s_addc_u32 s1, s37, 0
	global_load_dwordx2 v[1:2], v3, s[0:1]
	; wave barrier
	s_waitcnt vmcnt(0)
	v_lshrrev_b32_e32 v4, 8, v1
	v_lshrrev_b32_e32 v10, 16, v1
	;; [unrolled: 1-line block ×4, first 2 shown]
	v_perm_b32 v13, v2, v2, 0x7060405
	v_lshlrev_b16 v5, 8, v4
	v_and_b32_e32 v8, 0xff, v4
	v_perm_b32 v4, 0, v1, 0xc0c0001
	v_lshlrev_b16 v6, 8, v12
	v_cmp_lt_u16_sdwa s3, v7, v2 src0_sel:BYTE_0 src1_sel:BYTE_0
	v_or_b32_sdwa v9, v1, v5 dst_sel:DWORD dst_unused:UNUSED_PAD src0_sel:BYTE_0 src1_sel:DWORD
	v_perm_b32 v5, 0, v10, 0xc0c0001
	v_or_b32_sdwa v11, v10, v6 dst_sel:DWORD dst_unused:UNUSED_PAD src0_sel:BYTE_0 src1_sel:DWORD
	v_cmp_lt_u16_sdwa s0, v8, v9 src0_sel:DWORD src1_sel:BYTE_0
	v_lshlrev_b32_e32 v5, 16, v5
	v_cmp_lt_u16_sdwa s5, v12, v11 src0_sel:DWORD src1_sel:BYTE_0
	v_cndmask_b32_e64 v4, v1, v4, s0
	v_bfi_b32 v1, 0xffff, v4, v1
	v_and_or_b32 v4, 0xffff, v4, v5
	v_cndmask_b32_e64 v5, v2, v13, s3
	v_cndmask_b32_e64 v1, v1, v4, s5
	v_and_b32_sdwa v4, v5, v14 dst_sel:DWORD dst_unused:UNUSED_PAD src0_sel:WORD_1 src1_sel:DWORD
	v_perm_b32 v10, v5, v5, 0x6070504
	v_and_b32_sdwa v12, v1, v14 dst_sel:DWORD dst_unused:UNUSED_PAD src0_sel:WORD_1 src1_sel:DWORD
	v_lshrrev_b32_e32 v13, 8, v1
	v_perm_b32 v15, v1, v1, 0x7050604
	v_cmp_lt_u16_sdwa s6, v5, v4 src0_sel:BYTE_3 src1_sel:DWORD
	v_cmp_lt_u16_sdwa s7, v12, v13 src0_sel:DWORD src1_sel:BYTE_0
	v_cndmask_b32_e64 v4, v5, v10, s6
	v_cndmask_b32_e64 v1, v1, v15, s7
	v_lshlrev_b16 v5, 8, v4
	v_and_b32_sdwa v10, v1, v14 dst_sel:DWORD dst_unused:UNUSED_PAD src0_sel:WORD_1 src1_sel:DWORD
	v_cmp_lt_u16_sdwa s4, v4, v1 src0_sel:BYTE_0 src1_sel:BYTE_3
	v_or_b32_sdwa v5, v10, v5 dst_sel:WORD_1 dst_unused:UNUSED_PAD src0_sel:DWORD src1_sel:DWORD
	v_and_or_b32 v5, 0xffff, v1, v5
	v_cndmask_b32_e64 v5, v1, v5, s4
	v_perm_b32 v1, v1, v4, 0x3020107
	v_perm_b32 v10, 0, v5, 0xc0c0001
	v_lshrrev_b32_e32 v12, 8, v5
	v_cndmask_b32_e64 v1, v4, v1, s4
	v_and_or_b32 v10, 0xffff0000, v5, v10
	v_cmp_lt_u16_sdwa s9, v12, v5 src0_sel:BYTE_0 src1_sel:BYTE_0
	v_lshrrev_b32_e32 v12, 8, v1
	v_perm_b32 v13, v1, v1, 0x7050604
	v_cndmask_b32_e64 v4, v5, v10, s9
	v_and_b32_sdwa v5, v1, v14 dst_sel:DWORD dst_unused:UNUSED_PAD src0_sel:WORD_1 src1_sel:DWORD
	v_lshrrev_b32_e32 v10, 16, v4
	v_cmp_lt_u16_sdwa s10, v5, v12 src0_sel:DWORD src1_sel:BYTE_0
	v_perm_b32 v15, 0, v10, 0xc0c0001
	v_cndmask_b32_e64 v1, v1, v13, s10
	v_cmp_lt_u16_sdwa s12, v4, v10 src0_sel:BYTE_3 src1_sel:BYTE_0
	v_lshlrev_b32_e32 v5, 16, v15
	v_lshrrev_b32_e32 v12, 8, v1
	v_perm_b32 v13, v1, v1, 0x7060405
	v_and_or_b32 v5, 0xffff, v4, v5
	v_cmp_lt_u16_sdwa s11, v12, v1 src0_sel:BYTE_0 src1_sel:BYTE_0
	v_cndmask_b32_e64 v4, v4, v5, s12
	v_cndmask_b32_e64 v1, v1, v13, s11
	v_and_b32_sdwa v12, v4, v14 dst_sel:DWORD dst_unused:UNUSED_PAD src0_sel:WORD_1 src1_sel:DWORD
	v_and_b32_sdwa v5, v1, v14 dst_sel:DWORD dst_unused:UNUSED_PAD src0_sel:WORD_1 src1_sel:DWORD
	v_lshrrev_b32_e32 v13, 8, v4
	v_perm_b32 v10, v1, v1, 0x6070504
	v_perm_b32 v15, v4, v4, 0x7050604
	v_cmp_lt_u16_sdwa s15, v1, v5 src0_sel:BYTE_3 src1_sel:DWORD
	v_cmp_lt_u16_sdwa s16, v12, v13 src0_sel:DWORD src1_sel:BYTE_0
	v_cndmask_b32_e64 v1, v1, v10, s15
	v_cndmask_b32_e64 v4, v4, v15, s16
	v_lshlrev_b16 v5, 8, v1
	v_and_b32_sdwa v10, v4, v14 dst_sel:DWORD dst_unused:UNUSED_PAD src0_sel:WORD_1 src1_sel:DWORD
	v_cmp_lt_u16_sdwa s13, v1, v4 src0_sel:BYTE_0 src1_sel:BYTE_3
	v_or_b32_sdwa v5, v10, v5 dst_sel:WORD_1 dst_unused:UNUSED_PAD src0_sel:DWORD src1_sel:DWORD
	v_and_or_b32 v5, 0xffff, v4, v5
	v_cndmask_b32_e64 v5, v4, v5, s13
	v_perm_b32 v4, v4, v1, 0x3020107
	v_perm_b32 v10, 0, v5, 0xc0c0001
	v_lshrrev_b32_e32 v12, 8, v5
	v_cndmask_b32_e64 v1, v1, v4, s13
	v_and_or_b32 v10, 0xffff0000, v5, v10
	v_cmp_lt_u16_sdwa s19, v12, v5 src0_sel:BYTE_0 src1_sel:BYTE_0
	v_lshrrev_b32_e32 v12, 8, v1
	v_perm_b32 v13, v1, v1, 0x7050604
	v_cndmask_b32_e64 v4, v5, v10, s19
	v_and_b32_sdwa v5, v1, v14 dst_sel:DWORD dst_unused:UNUSED_PAD src0_sel:WORD_1 src1_sel:DWORD
	v_lshrrev_b32_e32 v10, 16, v4
	v_cmp_lt_u16_sdwa s20, v5, v12 src0_sel:DWORD src1_sel:BYTE_0
	v_perm_b32 v15, 0, v10, 0xc0c0001
	v_cndmask_b32_e64 v1, v1, v13, s20
	v_cmp_lt_u16_sdwa s23, v4, v10 src0_sel:BYTE_3 src1_sel:BYTE_0
	v_lshlrev_b32_e32 v5, 16, v15
	v_lshrrev_b32_e32 v12, 8, v1
	v_perm_b32 v13, v1, v1, 0x7060405
	v_and_or_b32 v5, 0xffff, v4, v5
	v_cmp_lt_u16_sdwa s22, v12, v1 src0_sel:BYTE_0 src1_sel:BYTE_0
	v_cndmask_b32_e64 v4, v4, v5, s23
	v_cndmask_b32_e64 v1, v1, v13, s22
	v_and_b32_sdwa v12, v4, v14 dst_sel:DWORD dst_unused:UNUSED_PAD src0_sel:WORD_1 src1_sel:DWORD
	v_and_b32_sdwa v5, v1, v14 dst_sel:DWORD dst_unused:UNUSED_PAD src0_sel:WORD_1 src1_sel:DWORD
	v_lshrrev_b32_e32 v13, 8, v4
	v_perm_b32 v10, v1, v1, 0x6070504
	v_perm_b32 v15, v4, v4, 0x7050604
	v_cmp_lt_u16_sdwa s24, v1, v5 src0_sel:BYTE_3 src1_sel:DWORD
	v_cmp_lt_u16_sdwa s25, v12, v13 src0_sel:DWORD src1_sel:BYTE_0
	v_cndmask_b32_e64 v1, v1, v10, s24
	v_cndmask_b32_e64 v4, v4, v15, s25
	v_lshlrev_b16 v5, 8, v1
	v_and_b32_sdwa v10, v4, v14 dst_sel:DWORD dst_unused:UNUSED_PAD src0_sel:WORD_1 src1_sel:DWORD
	v_cmp_lt_u16_sdwa s21, v1, v4 src0_sel:BYTE_0 src1_sel:BYTE_3
	v_or_b32_sdwa v5, v10, v5 dst_sel:WORD_1 dst_unused:UNUSED_PAD src0_sel:DWORD src1_sel:DWORD
	v_and_or_b32 v5, 0xffff, v4, v5
	v_cndmask_b32_e64 v5, v4, v5, s21
	v_perm_b32 v4, v4, v1, 0x3020107
	v_perm_b32 v10, 0, v5, 0xc0c0001
	v_lshrrev_b32_e32 v12, 8, v5
	v_cndmask_b32_e64 v1, v1, v4, s21
	v_and_or_b32 v10, 0xffff0000, v5, v10
	v_cmp_lt_u16_sdwa s27, v12, v5 src0_sel:BYTE_0 src1_sel:BYTE_0
	v_lshrrev_b32_e32 v12, 8, v1
	v_perm_b32 v13, v1, v1, 0x7050604
	v_cndmask_b32_e64 v4, v5, v10, s27
	v_and_b32_sdwa v5, v1, v14 dst_sel:DWORD dst_unused:UNUSED_PAD src0_sel:WORD_1 src1_sel:DWORD
	v_lshrrev_b32_e32 v10, 16, v4
	v_cmp_lt_u16_sdwa s26, v5, v12 src0_sel:DWORD src1_sel:BYTE_0
	v_perm_b32 v15, 0, v10, 0xc0c0001
	v_cndmask_b32_e64 v1, v1, v13, s26
	v_cmp_lt_u16_sdwa s18, v4, v10 src0_sel:BYTE_3 src1_sel:BYTE_0
	v_lshlrev_b32_e32 v5, 16, v15
	v_lshrrev_b32_e32 v12, 8, v1
	v_perm_b32 v13, v1, v1, 0x7060405
	v_and_or_b32 v5, 0xffff, v4, v5
	v_cmp_lt_u16_sdwa s17, v12, v1 src0_sel:BYTE_0 src1_sel:BYTE_0
	v_cndmask_b32_e64 v4, v4, v5, s18
	v_cndmask_b32_e64 v1, v1, v13, s17
	v_and_b32_sdwa v12, v4, v14 dst_sel:DWORD dst_unused:UNUSED_PAD src0_sel:WORD_1 src1_sel:DWORD
	v_and_b32_sdwa v5, v1, v14 dst_sel:DWORD dst_unused:UNUSED_PAD src0_sel:WORD_1 src1_sel:DWORD
	v_lshrrev_b32_e32 v13, 8, v4
	v_perm_b32 v10, v1, v1, 0x6070504
	v_perm_b32 v15, v4, v4, 0x7050604
	v_cmp_lt_u16_sdwa s1, v1, v5 src0_sel:BYTE_3 src1_sel:DWORD
	v_cmp_lt_u16_sdwa s2, v12, v13 src0_sel:DWORD src1_sel:BYTE_0
	v_mbcnt_lo_u32_b32 v5, -1, 0
	v_mov_b32_e32 v13, 0
	v_cndmask_b32_e64 v1, v1, v10, s1
	v_cndmask_b32_e64 v4, v4, v15, s2
	v_lshlrev_b32_e32 v5, 3, v5
	v_lshlrev_b16 v10, 8, v1
	v_and_b32_sdwa v12, v4, v14 dst_sel:DWORD dst_unused:UNUSED_PAD src0_sel:WORD_1 src1_sel:DWORD
	v_perm_b32 v15, v4, v1, 0x3020107
	v_cmp_lt_u16_sdwa s8, v1, v4 src0_sel:BYTE_0 src1_sel:BYTE_3
	v_or_b32_sdwa v10, v12, v10 dst_sel:WORD_1 dst_unused:UNUSED_PAD src0_sel:DWORD src1_sel:DWORD
	v_and_b32_e32 v12, 0x70, v5
	v_cndmask_b32_e64 v15, v1, v15, s8
	v_and_or_b32 v16, 0xffff, v4, v10
	v_or_b32_e32 v10, 8, v12
	v_and_b32_sdwa v20, v15, v14 dst_sel:DWORD dst_unused:UNUSED_PAD src0_sel:WORD_1 src1_sel:DWORD
	v_lshrrev_b32_e32 v21, 8, v15
	v_perm_b32 v22, v15, v15, 0x7050604
	v_cndmask_b32_e64 v18, v4, v16, s8
	v_and_b32_e32 v4, 0x78, v5
	v_and_b32_e32 v16, 8, v5
	v_sub_nc_u32_e32 v19, v10, v12
	v_cmp_lt_u16_sdwa s14, v20, v21 src0_sel:DWORD src1_sel:BYTE_0
	v_mad_u32_u24 v1, 0x81, v0, v4
	v_mul_u32_u24_e32 v0, 0x81, v0
	v_min_i32_e32 v14, v16, v19
	v_cndmask_b32_e64 v19, v15, v22, s14
	ds_write_b64 v1, v[18:19]
	; wave barrier
	v_cmpx_lt_i32_e32 0, v14
	s_cbranch_execz .LBB117_4
; %bb.1:
	v_add_nc_u32_e32 v15, v0, v12
	v_add_nc_u32_e32 v17, v15, v16
	.p2align	6
.LBB117_2:                              ; =>This Inner Loop Header: Depth=1
	v_sub_nc_u32_e32 v18, v14, v13
	v_lshrrev_b32_e32 v18, 1, v18
	v_add_nc_u32_e32 v18, v18, v13
	v_add_nc_u32_e32 v19, v15, v18
	v_xad_u32 v20, v18, -1, v17
	v_add_nc_u32_e32 v21, 1, v18
	ds_read_u8 v19, v19
	ds_read_u8 v20, v20 offset:8
	s_waitcnt lgkmcnt(0)
	v_cmp_lt_u16_e32 vcc_lo, v20, v19
	v_cndmask_b32_e32 v14, v14, v18, vcc_lo
	v_cndmask_b32_e32 v13, v21, v13, vcc_lo
	v_cmp_ge_i32_e32 vcc_lo, v13, v14
	s_or_b32 s28, vcc_lo, s28
	s_andn2_b32 exec_lo, exec_lo, s28
	s_cbranch_execnz .LBB117_2
; %bb.3:
	s_or_b32 exec_lo, exec_lo, s28
	v_mov_b32_e32 v17, v13
.LBB117_4:
	s_or_b32 exec_lo, exec_lo, s29
	v_mov_b32_e32 v13, 24
	v_add_nc_u32_e32 v14, v12, v16
	v_add_nc_u32_e32 v16, v10, v16
	v_cmp_lt_i32_e32 vcc_lo, 7, v17
	v_lshrrev_b32_e32 v28, 16, v2
	v_lshrrev_b32_sdwa v25, v13, v2 dst_sel:BYTE_1 dst_unused:UNUSED_PAD src0_sel:DWORD src1_sel:DWORD
	v_add_nc_u32_e32 v13, v17, v12
	v_sub_nc_u32_e32 v14, v14, v17
	v_add_nc_u32_e32 v12, 16, v12
	v_sub_nc_u32_e32 v16, v16, v17
                                        ; implicit-def: $vgpr17
	v_add_nc_u32_e32 v18, v0, v13
	v_add_nc_u32_e32 v19, v0, v14
	ds_read_u8 v14, v18
	ds_read_u8 v15, v19 offset:8
	v_cmp_gt_i32_e64 s28, v12, v16
	s_waitcnt lgkmcnt(0)
	v_cmp_lt_u16_sdwa s29, v15, v14 src0_sel:BYTE_0 src1_sel:BYTE_0
	s_or_b32 s29, vcc_lo, s29
	s_and_b32 s28, s28, s29
	s_xor_b32 s29, s28, -1
	s_and_saveexec_b32 s30, s29
	s_xor_b32 s29, exec_lo, s30
; %bb.5:
	ds_read_u8 v17, v18 offset:1
                                        ; implicit-def: $vgpr19
; %bb.6:
	s_or_saveexec_b32 s29, s29
	v_mov_b32_e32 v18, v15
	s_xor_b32 exec_lo, exec_lo, s29
	s_cbranch_execz .LBB117_8
; %bb.7:
	ds_read_u8 v18, v19 offset:9
	s_waitcnt lgkmcnt(1)
	v_mov_b32_e32 v17, v14
.LBB117_8:
	s_or_b32 exec_lo, exec_lo, s29
	v_add_nc_u32_e32 v19, 1, v13
	v_add_nc_u32_e32 v20, 1, v16
	s_waitcnt lgkmcnt(0)
	v_cmp_lt_u16_sdwa s30, v18, v17 src0_sel:BYTE_0 src1_sel:BYTE_0
                                        ; implicit-def: $vgpr21
	v_cndmask_b32_e64 v19, v19, v13, s28
	v_cndmask_b32_e64 v20, v16, v20, s28
	v_cmp_ge_i32_e32 vcc_lo, v19, v10
	v_cmp_lt_i32_e64 s29, v20, v12
	s_or_b32 s30, vcc_lo, s30
	s_and_b32 s29, s29, s30
	s_xor_b32 s30, s29, -1
	s_and_saveexec_b32 s31, s30
	s_xor_b32 s30, exec_lo, s31
; %bb.9:
	v_add_nc_u32_e32 v21, v0, v19
	ds_read_u8 v21, v21 offset:1
; %bb.10:
	s_or_saveexec_b32 s30, s30
	v_mov_b32_e32 v22, v18
	s_xor_b32 exec_lo, exec_lo, s30
	s_cbranch_execz .LBB117_12
; %bb.11:
	s_waitcnt lgkmcnt(0)
	v_add_nc_u32_e32 v21, v0, v20
	ds_read_u8 v22, v21 offset:1
	v_mov_b32_e32 v21, v17
.LBB117_12:
	s_or_b32 exec_lo, exec_lo, s30
	v_add_nc_u32_e32 v23, 1, v19
	v_add_nc_u32_e32 v24, 1, v20
	s_waitcnt lgkmcnt(0)
	v_cmp_lt_u16_sdwa s31, v22, v21 src0_sel:BYTE_0 src1_sel:BYTE_0
                                        ; implicit-def: $vgpr26
	v_cndmask_b32_e64 v23, v23, v19, s29
	v_cndmask_b32_e64 v24, v20, v24, s29
	v_cmp_ge_i32_e32 vcc_lo, v23, v10
	v_cmp_lt_i32_e64 s30, v24, v12
	s_or_b32 s31, vcc_lo, s31
	s_and_b32 s30, s30, s31
	s_xor_b32 s31, s30, -1
	s_and_saveexec_b32 s33, s31
	s_xor_b32 s31, exec_lo, s33
; %bb.13:
	v_add_nc_u32_e32 v26, v0, v23
	ds_read_u8 v26, v26 offset:1
; %bb.14:
	s_or_saveexec_b32 s31, s31
	v_mov_b32_e32 v29, v22
	s_xor_b32 exec_lo, exec_lo, s31
	s_cbranch_execz .LBB117_16
; %bb.15:
	s_waitcnt lgkmcnt(0)
	v_add_nc_u32_e32 v26, v0, v24
	ds_read_u8 v29, v26 offset:1
	v_mov_b32_e32 v26, v21
.LBB117_16:
	s_or_b32 exec_lo, exec_lo, s31
	v_add_nc_u32_e32 v27, 1, v23
	v_add_nc_u32_e32 v30, 1, v24
	s_waitcnt lgkmcnt(0)
	v_cmp_lt_u16_sdwa s33, v29, v26 src0_sel:BYTE_0 src1_sel:BYTE_0
                                        ; implicit-def: $vgpr33
	v_cndmask_b32_e64 v31, v27, v23, s30
	v_cndmask_b32_e64 v32, v24, v30, s30
	v_cmp_ge_i32_e32 vcc_lo, v31, v10
	v_cmp_lt_i32_e64 s31, v32, v12
	s_or_b32 s33, vcc_lo, s33
	s_and_b32 s31, s31, s33
	s_xor_b32 s33, s31, -1
	s_and_saveexec_b32 s34, s33
	s_xor_b32 s33, exec_lo, s34
; %bb.17:
	v_add_nc_u32_e32 v27, v0, v31
	ds_read_u8 v33, v27 offset:1
; %bb.18:
	s_or_saveexec_b32 s33, s33
	v_mov_b32_e32 v34, v29
	s_xor_b32 exec_lo, exec_lo, s33
	s_cbranch_execz .LBB117_20
; %bb.19:
	v_add_nc_u32_e32 v27, v0, v32
	s_waitcnt lgkmcnt(0)
	v_mov_b32_e32 v33, v26
	ds_read_u8 v34, v27 offset:1
.LBB117_20:
	s_or_b32 exec_lo, exec_lo, s33
	v_add_nc_u32_e32 v27, 1, v31
	v_add_nc_u32_e32 v30, 1, v32
	s_waitcnt lgkmcnt(0)
	v_cmp_lt_u16_sdwa s34, v34, v33 src0_sel:BYTE_0 src1_sel:BYTE_0
	v_cndmask_b32_e64 v38, v27, v31, s31
	v_cndmask_b32_e64 v39, v32, v30, s31
                                        ; implicit-def: $vgpr27
	v_cmp_ge_i32_e32 vcc_lo, v38, v10
	v_cmp_lt_i32_e64 s33, v39, v12
	s_or_b32 s34, vcc_lo, s34
	s_and_b32 s34, s33, s34
	s_xor_b32 s33, s34, -1
	s_and_saveexec_b32 s35, s33
	s_xor_b32 s33, exec_lo, s35
; %bb.21:
	v_add_nc_u32_e32 v27, v0, v38
	ds_read_u8 v27, v27 offset:1
; %bb.22:
	s_or_saveexec_b32 s33, s33
	v_mov_b32_e32 v30, v34
	s_xor_b32 exec_lo, exec_lo, s33
	s_cbranch_execz .LBB117_24
; %bb.23:
	s_waitcnt lgkmcnt(0)
	v_add_nc_u32_e32 v27, v0, v39
	ds_read_u8 v30, v27 offset:1
	v_mov_b32_e32 v27, v33
.LBB117_24:
	s_or_b32 exec_lo, exec_lo, s33
	v_add_nc_u32_e32 v35, 1, v38
	v_add_nc_u32_e32 v36, 1, v39
	s_waitcnt lgkmcnt(0)
	v_cmp_lt_u16_sdwa s35, v30, v27 src0_sel:BYTE_0 src1_sel:BYTE_0
                                        ; implicit-def: $vgpr43
	v_cndmask_b32_e64 v41, v35, v38, s34
	v_cndmask_b32_e64 v42, v39, v36, s34
	v_cmp_ge_i32_e32 vcc_lo, v41, v10
	v_cmp_lt_i32_e64 s33, v42, v12
	s_or_b32 s35, vcc_lo, s35
	s_and_b32 vcc_lo, s33, s35
	s_xor_b32 s33, vcc_lo, -1
	s_and_saveexec_b32 s35, s33
	s_xor_b32 s33, exec_lo, s35
; %bb.25:
	v_add_nc_u32_e32 v35, v0, v41
	ds_read_u8 v43, v35 offset:1
; %bb.26:
	s_or_saveexec_b32 s33, s33
	v_mov_b32_e32 v44, v30
	s_xor_b32 exec_lo, exec_lo, s33
	s_cbranch_execz .LBB117_28
; %bb.27:
	v_add_nc_u32_e32 v35, v0, v42
	s_waitcnt lgkmcnt(0)
	v_mov_b32_e32 v43, v27
	ds_read_u8 v44, v35 offset:1
.LBB117_28:
	s_or_b32 exec_lo, exec_lo, s33
	v_add_nc_u32_e32 v35, 1, v41
	v_add_nc_u32_e32 v37, 1, v42
	s_waitcnt lgkmcnt(0)
	v_cmp_lt_u16_sdwa s36, v44, v43 src0_sel:BYTE_0 src1_sel:BYTE_0
	v_cndmask_b32_e32 v36, v35, v41, vcc_lo
	v_cndmask_b32_e32 v37, v42, v37, vcc_lo
                                        ; implicit-def: $vgpr35
	v_cmp_ge_i32_e64 s33, v36, v10
	v_cmp_lt_i32_e64 s35, v37, v12
	s_or_b32 s33, s33, s36
	s_and_b32 s33, s35, s33
	s_xor_b32 s35, s33, -1
	s_and_saveexec_b32 s36, s35
	s_xor_b32 s35, exec_lo, s36
; %bb.29:
	v_add_nc_u32_e32 v35, v0, v36
	ds_read_u8 v35, v35 offset:1
; %bb.30:
	s_or_saveexec_b32 s35, s35
	v_mov_b32_e32 v40, v44
	s_xor_b32 exec_lo, exec_lo, s35
	s_cbranch_execz .LBB117_32
; %bb.31:
	s_waitcnt lgkmcnt(0)
	v_add_nc_u32_e32 v35, v0, v37
	ds_read_u8 v40, v35 offset:1
	v_mov_b32_e32 v35, v43
.LBB117_32:
	s_or_b32 exec_lo, exec_lo, s35
	v_add_nc_u16 v11, v11, 1
	v_add_nc_u16 v8, v8, 1
	;; [unrolled: 1-line block ×5, first 2 shown]
	v_or_b32_sdwa v6, v6, v11 dst_sel:DWORD dst_unused:UNUSED_PAD src0_sel:DWORD src1_sel:BYTE_0
	v_lshlrev_b16 v11, 8, v8
	v_lshlrev_b16 v45, 8, v9
	;; [unrolled: 1-line block ×3, first 2 shown]
	v_or_b32_sdwa v25, v25, v28 dst_sel:DWORD dst_unused:UNUSED_PAD src0_sel:DWORD src1_sel:BYTE_0
	v_add_nc_u16 v6, 0x100, v6
	v_or_b32_sdwa v9, v9, v11 dst_sel:DWORD dst_unused:UNUSED_PAD src0_sel:BYTE_0 src1_sel:DWORD
	v_or_b32_sdwa v8, v8, v45 dst_sel:DWORD dst_unused:UNUSED_PAD src0_sel:BYTE_0 src1_sel:DWORD
	v_or_b32_sdwa v2, v7, v2 dst_sel:DWORD dst_unused:UNUSED_PAD src0_sel:DWORD src1_sel:BYTE_0
	v_add_nc_u16 v7, 0x100, v25
	v_lshlrev_b32_e32 v11, 16, v6
	v_and_b32_e32 v9, 0xffff, v9
	v_and_b32_e32 v8, 0xffff, v8
	v_add_nc_u16 v2, 0x100, v2
	v_lshlrev_b32_e32 v7, 16, v7
	v_perm_b32 v6, 0, v6, 0xc0c0001
	v_cndmask_b32_e64 v33, v33, v34, s34
	v_cndmask_b32_e64 v8, v9, v8, s0
	v_mov_b32_e32 v9, 0xff
	v_or_b32_sdwa v2, v2, v7 dst_sel:DWORD dst_unused:UNUSED_PAD src0_sel:WORD_0 src1_sel:DWORD
	v_lshlrev_b32_e32 v6, 16, v6
	v_cndmask_b32_e64 v34, v38, v39, s34
	v_or_b32_e32 v7, v8, v11
	v_cndmask_b32_e64 v17, v17, v18, s29
	v_perm_b32 v8, v2, v2, 0x7060405
	v_cndmask_b32_e64 v18, v19, v20, s29
	v_cndmask_b32_e64 v13, v13, v16, s28
	v_and_or_b32 v6, 0xffff, v7, v6
	v_add_nc_u32_e32 v11, 1, v36
	v_cndmask_b32_e64 v2, v2, v8, s3
	v_cndmask_b32_e32 v41, v41, v42, vcc_lo
	s_waitcnt lgkmcnt(0)
	v_cmp_lt_u16_sdwa s3, v40, v35 src0_sel:BYTE_0 src1_sel:BYTE_0
	v_cndmask_b32_e64 v6, v7, v6, s5
	v_cndmask_b32_e64 v11, v11, v36, s33
	v_perm_b32 v7, v2, v2, 0x6070504
	v_cndmask_b32_e64 v21, v21, v22, s30
	v_cndmask_b32_e64 v22, v23, v24, s30
	v_perm_b32 v8, v6, v6, 0x7050604
	v_cndmask_b32_e64 v26, v26, v29, s31
	v_cndmask_b32_e64 v2, v2, v7, s6
	;; [unrolled: 1-line block ×5, first 2 shown]
	v_add_nc_u32_e32 v13, v0, v13
	v_lshlrev_b16 v7, 8, v2
	v_add_nc_u32_e32 v23, v0, v34
	v_and_b32_sdwa v8, v6, v9 dst_sel:DWORD dst_unused:UNUSED_PAD src0_sel:WORD_1 src1_sel:DWORD
	; wave barrier
	v_cndmask_b32_e64 v14, v14, v15, s28
	v_and_b32_e32 v15, 0x60, v5
	v_lshlrev_b16 v17, 8, v17
	v_or_b32_sdwa v7, v8, v7 dst_sel:WORD_1 dst_unused:UNUSED_PAD src0_sel:DWORD src1_sel:DWORD
	v_cndmask_b32_e64 v25, v43, v44, s33
	v_lshlrev_b16 v24, 8, v26
	v_or_b32_sdwa v17, v14, v17 dst_sel:DWORD dst_unused:UNUSED_PAD src0_sel:BYTE_0 src1_sel:DWORD
	v_and_or_b32 v7, 0xffff, v6, v7
	v_cndmask_b32_e64 v7, v6, v7, s4
	v_perm_b32 v6, v6, v2, 0x3020107
	v_perm_b32 v8, 0, v7, 0xc0c0001
	v_cndmask_b32_e64 v2, v2, v6, s4
	v_and_or_b32 v8, 0xffff0000, v7, v8
	v_cndmask_b32_e64 v7, v7, v8, s9
	v_perm_b32 v8, v2, v2, 0x7050604
	v_lshrrev_b32_e32 v6, 16, v7
	v_cndmask_b32_e64 v2, v2, v8, s10
	v_perm_b32 v6, 0, v6, 0xc0c0001
	v_perm_b32 v8, v2, v2, 0x7060405
	v_lshlrev_b32_e32 v6, 16, v6
	v_cndmask_b32_e64 v2, v2, v8, s11
	v_and_or_b32 v6, 0xffff, v7, v6
	v_cndmask_b32_e64 v6, v7, v6, s12
	v_perm_b32 v7, v2, v2, 0x6070504
	v_perm_b32 v8, v6, v6, 0x7050604
	v_cndmask_b32_e64 v2, v2, v7, s15
	v_cndmask_b32_e64 v6, v6, v8, s16
	v_lshlrev_b16 v7, 8, v2
	v_and_b32_sdwa v8, v6, v9 dst_sel:DWORD dst_unused:UNUSED_PAD src0_sel:WORD_1 src1_sel:DWORD
	v_or_b32_sdwa v7, v8, v7 dst_sel:WORD_1 dst_unused:UNUSED_PAD src0_sel:DWORD src1_sel:DWORD
	v_and_or_b32 v7, 0xffff, v6, v7
	v_cndmask_b32_e64 v7, v6, v7, s13
	v_perm_b32 v6, v6, v2, 0x3020107
	v_perm_b32 v8, 0, v7, 0xc0c0001
	v_cndmask_b32_e64 v2, v2, v6, s13
	v_and_or_b32 v8, 0xffff0000, v7, v8
	v_cndmask_b32_e64 v7, v7, v8, s19
	v_perm_b32 v8, v2, v2, 0x7050604
	v_lshrrev_b32_e32 v6, 16, v7
	v_cndmask_b32_e64 v2, v2, v8, s20
	v_perm_b32 v6, 0, v6, 0xc0c0001
	v_perm_b32 v8, v2, v2, 0x7060405
	v_lshlrev_b32_e32 v6, 16, v6
	v_cndmask_b32_e64 v2, v2, v8, s22
	v_and_or_b32 v6, 0xffff, v7, v6
	v_cndmask_b32_e64 v6, v7, v6, s23
	v_perm_b32 v7, v2, v2, 0x6070504
	v_perm_b32 v8, v6, v6, 0x7050604
	v_cndmask_b32_e64 v2, v2, v7, s24
	v_cndmask_b32_e64 v6, v6, v8, s25
	v_lshlrev_b16 v7, 8, v2
	v_and_b32_sdwa v8, v6, v9 dst_sel:DWORD dst_unused:UNUSED_PAD src0_sel:WORD_1 src1_sel:DWORD
	v_or_b32_sdwa v7, v8, v7 dst_sel:WORD_1 dst_unused:UNUSED_PAD src0_sel:DWORD src1_sel:DWORD
	v_and_or_b32 v7, 0xffff, v6, v7
	v_cndmask_b32_e64 v7, v6, v7, s21
	v_perm_b32 v6, v6, v2, 0x3020107
	v_perm_b32 v8, 0, v7, 0xc0c0001
	v_cndmask_b32_e64 v2, v2, v6, s21
	v_and_or_b32 v8, 0xffff0000, v7, v8
	v_perm_b32 v38, v2, v2, 0x7050604
	v_cndmask_b32_e64 v7, v7, v8, s27
	v_cndmask_b32_e64 v2, v2, v38, s26
	v_add_nc_u32_e32 v8, 1, v37
	v_lshrrev_b32_e32 v6, 16, v7
	v_perm_b32 v19, v2, v2, 0x7060405
	v_cndmask_b32_e64 v8, v37, v8, s33
	v_perm_b32 v6, 0, v6, 0xc0c0001
	v_cndmask_b32_e64 v2, v2, v19, s17
	v_cndmask_b32_sdwa v19, v27, v30, vcc_lo dst_sel:BYTE_1 dst_unused:UNUSED_PAD src0_sel:DWORD src1_sel:DWORD
	v_cmp_ge_i32_e32 vcc_lo, v11, v10
	v_cmp_lt_i32_e64 s0, v8, v12
	v_lshlrev_b32_e32 v6, 16, v6
	v_add_nc_u32_e32 v10, v0, v41
	v_and_or_b32 v6, 0xffff, v7, v6
	v_cndmask_b32_e64 v6, v7, v6, s18
	v_perm_b32 v7, v2, v2, 0x6070504
	v_perm_b32 v16, v6, v6, 0x7050604
	v_cndmask_b32_e64 v2, v2, v7, s1
	s_or_b32 s1, vcc_lo, s3
	s_and_b32 vcc_lo, s0, s1
	v_cndmask_b32_e64 v6, v6, v16, s2
	v_lshlrev_b16 v7, 8, v2
	v_cndmask_b32_e32 v8, v11, v8, vcc_lo
	v_add_nc_u32_e32 v16, v0, v18
	v_add_nc_u32_e32 v18, v0, v22
	v_and_b32_sdwa v9, v6, v9 dst_sel:DWORD dst_unused:UNUSED_PAD src0_sel:WORD_1 src1_sel:DWORD
	v_perm_b32 v20, v6, v2, 0x3020107
	v_add_nc_u32_e32 v22, v0, v29
	v_add_nc_u32_e32 v11, v0, v28
	v_add_nc_u32_e32 v12, v0, v8
	v_or_b32_sdwa v7, v9, v7 dst_sel:WORD_1 dst_unused:UNUSED_PAD src0_sel:DWORD src1_sel:DWORD
	v_cndmask_b32_e64 v2, v2, v20, s8
	v_cndmask_b32_e32 v20, v35, v40, vcc_lo
	s_mov_b32 s0, exec_lo
	v_and_or_b32 v7, 0xffff, v6, v7
	v_perm_b32 v9, v2, v2, 0x7050604
	v_lshlrev_b16 v14, 8, v20
	v_cndmask_b32_e64 v6, v6, v7, s8
	v_cndmask_b32_e64 v7, v2, v9, s14
	ds_write_b64 v1, v[6:7]
	; wave barrier
	ds_read_u8 v2, v13
	ds_read_u8 v6, v16
	;; [unrolled: 1-line block ×8, first 2 shown]
	v_or_b32_e32 v13, 16, v15
	v_or_b32_sdwa v18, v21, v24 dst_sel:WORD_1 dst_unused:UNUSED_PAD src0_sel:BYTE_0 src1_sel:DWORD
	v_and_b32_e32 v16, 24, v5
	v_or_b32_sdwa v21, v33, v19 dst_sel:DWORD dst_unused:UNUSED_PAD src0_sel:BYTE_0 src1_sel:DWORD
	v_or_b32_sdwa v22, v25, v14 dst_sel:WORD_1 dst_unused:UNUSED_PAD src0_sel:BYTE_0 src1_sel:DWORD
	v_sub_nc_u32_e32 v20, v13, v15
	v_or_b32_sdwa v17, v17, v18 dst_sel:DWORD dst_unused:UNUSED_PAD src0_sel:WORD_0 src1_sel:DWORD
	v_sub_nc_u32_e64 v19, v16, 16 clamp
	v_or_b32_sdwa v18, v21, v22 dst_sel:DWORD dst_unused:UNUSED_PAD src0_sel:WORD_0 src1_sel:DWORD
	v_min_i32_e32 v14, v16, v20
	; wave barrier
	ds_write_b64 v1, v[17:18]
	; wave barrier
	v_cmpx_lt_i32_e64 v19, v14
	s_cbranch_execz .LBB117_36
; %bb.33:
	v_add_nc_u32_e32 v17, v0, v15
	s_mov_b32 s1, 0
	v_add_nc_u32_e32 v18, v17, v16
	.p2align	6
.LBB117_34:                             ; =>This Inner Loop Header: Depth=1
	v_sub_nc_u32_e32 v20, v14, v19
	v_lshrrev_b32_e32 v20, 1, v20
	v_add_nc_u32_e32 v20, v20, v19
	v_add_nc_u32_e32 v21, v17, v20
	v_xad_u32 v22, v20, -1, v18
	v_add_nc_u32_e32 v23, 1, v20
	ds_read_u8 v21, v21
	ds_read_u8 v22, v22 offset:16
	s_waitcnt lgkmcnt(0)
	v_cmp_lt_u16_e32 vcc_lo, v22, v21
	v_cndmask_b32_e32 v14, v14, v20, vcc_lo
	v_cndmask_b32_e32 v19, v23, v19, vcc_lo
	v_cmp_ge_i32_e32 vcc_lo, v19, v14
	s_or_b32 s1, vcc_lo, s1
	s_andn2_b32 exec_lo, exec_lo, s1
	s_cbranch_execnz .LBB117_34
; %bb.35:
	s_or_b32 exec_lo, exec_lo, s1
.LBB117_36:
	s_or_b32 exec_lo, exec_lo, s0
	v_add_nc_u32_e32 v17, v15, v16
	v_add_nc_u32_e32 v14, v19, v15
	;; [unrolled: 1-line block ×4, first 2 shown]
	v_cmp_lt_i32_e32 vcc_lo, 15, v19
	v_sub_nc_u32_e32 v17, v17, v19
	v_add_nc_u32_e32 v20, v0, v14
	v_sub_nc_u32_e32 v16, v16, v19
                                        ; implicit-def: $vgpr19
	v_add_nc_u32_e32 v21, v0, v17
	ds_read_u8 v17, v20
	ds_read_u8 v18, v21 offset:16
	v_cmp_gt_i32_e64 s0, v15, v16
	s_waitcnt lgkmcnt(0)
	v_cmp_lt_u16_sdwa s1, v18, v17 src0_sel:BYTE_0 src1_sel:BYTE_0
	s_or_b32 s1, vcc_lo, s1
	s_and_b32 s0, s0, s1
	s_xor_b32 s1, s0, -1
	s_and_saveexec_b32 s2, s1
	s_xor_b32 s1, exec_lo, s2
; %bb.37:
	ds_read_u8 v19, v20 offset:1
                                        ; implicit-def: $vgpr21
; %bb.38:
	s_or_saveexec_b32 s1, s1
	v_mov_b32_e32 v20, v18
	s_xor_b32 exec_lo, exec_lo, s1
	s_cbranch_execz .LBB117_40
; %bb.39:
	ds_read_u8 v20, v21 offset:17
	s_waitcnt lgkmcnt(1)
	v_mov_b32_e32 v19, v17
.LBB117_40:
	s_or_b32 exec_lo, exec_lo, s1
	v_add_nc_u32_e32 v21, 1, v14
	v_add_nc_u32_e32 v22, 1, v16
	s_waitcnt lgkmcnt(0)
	v_cmp_lt_u16_sdwa s2, v20, v19 src0_sel:BYTE_0 src1_sel:BYTE_0
                                        ; implicit-def: $vgpr23
	v_cndmask_b32_e64 v21, v21, v14, s0
	v_cndmask_b32_e64 v22, v16, v22, s0
	v_cmp_ge_i32_e32 vcc_lo, v21, v13
	v_cmp_lt_i32_e64 s1, v22, v15
	s_or_b32 s2, vcc_lo, s2
	s_and_b32 s1, s1, s2
	s_xor_b32 s2, s1, -1
	s_and_saveexec_b32 s3, s2
	s_xor_b32 s2, exec_lo, s3
; %bb.41:
	v_add_nc_u32_e32 v23, v0, v21
	ds_read_u8 v23, v23 offset:1
; %bb.42:
	s_or_saveexec_b32 s2, s2
	v_mov_b32_e32 v24, v20
	s_xor_b32 exec_lo, exec_lo, s2
	s_cbranch_execz .LBB117_44
; %bb.43:
	s_waitcnt lgkmcnt(0)
	v_add_nc_u32_e32 v23, v0, v22
	ds_read_u8 v24, v23 offset:1
	v_mov_b32_e32 v23, v19
.LBB117_44:
	s_or_b32 exec_lo, exec_lo, s2
	v_add_nc_u32_e32 v25, 1, v21
	v_add_nc_u32_e32 v26, 1, v22
	s_waitcnt lgkmcnt(0)
	v_cmp_lt_u16_sdwa s3, v24, v23 src0_sel:BYTE_0 src1_sel:BYTE_0
                                        ; implicit-def: $vgpr27
	v_cndmask_b32_e64 v25, v25, v21, s1
	v_cndmask_b32_e64 v26, v22, v26, s1
	v_cmp_ge_i32_e32 vcc_lo, v25, v13
	v_cmp_lt_i32_e64 s2, v26, v15
	s_or_b32 s3, vcc_lo, s3
	s_and_b32 s2, s2, s3
	s_xor_b32 s3, s2, -1
	s_and_saveexec_b32 s4, s3
	s_xor_b32 s3, exec_lo, s4
; %bb.45:
	v_add_nc_u32_e32 v27, v0, v25
	ds_read_u8 v27, v27 offset:1
; %bb.46:
	s_or_saveexec_b32 s3, s3
	v_mov_b32_e32 v28, v24
	s_xor_b32 exec_lo, exec_lo, s3
	s_cbranch_execz .LBB117_48
; %bb.47:
	s_waitcnt lgkmcnt(0)
	v_add_nc_u32_e32 v27, v0, v26
	ds_read_u8 v28, v27 offset:1
	v_mov_b32_e32 v27, v23
.LBB117_48:
	s_or_b32 exec_lo, exec_lo, s3
	v_add_nc_u32_e32 v29, 1, v25
	v_add_nc_u32_e32 v30, 1, v26
	s_waitcnt lgkmcnt(0)
	v_cmp_lt_u16_sdwa s4, v28, v27 src0_sel:BYTE_0 src1_sel:BYTE_0
                                        ; implicit-def: $vgpr31
	v_cndmask_b32_e64 v29, v29, v25, s2
	v_cndmask_b32_e64 v30, v26, v30, s2
	v_cmp_ge_i32_e32 vcc_lo, v29, v13
	v_cmp_lt_i32_e64 s3, v30, v15
	s_or_b32 s4, vcc_lo, s4
	s_and_b32 s3, s3, s4
	s_xor_b32 s4, s3, -1
	s_and_saveexec_b32 s5, s4
	s_xor_b32 s4, exec_lo, s5
; %bb.49:
	v_add_nc_u32_e32 v31, v0, v29
	ds_read_u8 v31, v31 offset:1
; %bb.50:
	s_or_saveexec_b32 s4, s4
	v_mov_b32_e32 v32, v28
	s_xor_b32 exec_lo, exec_lo, s4
	s_cbranch_execz .LBB117_52
; %bb.51:
	s_waitcnt lgkmcnt(0)
	v_add_nc_u32_e32 v31, v0, v30
	ds_read_u8 v32, v31 offset:1
	v_mov_b32_e32 v31, v27
.LBB117_52:
	s_or_b32 exec_lo, exec_lo, s4
	v_add_nc_u32_e32 v33, 1, v29
	v_add_nc_u32_e32 v34, 1, v30
	s_waitcnt lgkmcnt(0)
	v_cmp_lt_u16_sdwa s5, v32, v31 src0_sel:BYTE_0 src1_sel:BYTE_0
                                        ; implicit-def: $vgpr35
	v_cndmask_b32_e64 v33, v33, v29, s3
	v_cndmask_b32_e64 v34, v30, v34, s3
	v_cmp_ge_i32_e32 vcc_lo, v33, v13
	v_cmp_lt_i32_e64 s4, v34, v15
	s_or_b32 s5, vcc_lo, s5
	s_and_b32 s4, s4, s5
	s_xor_b32 s5, s4, -1
	s_and_saveexec_b32 s6, s5
	s_xor_b32 s5, exec_lo, s6
; %bb.53:
	v_add_nc_u32_e32 v35, v0, v33
	ds_read_u8 v35, v35 offset:1
; %bb.54:
	s_or_saveexec_b32 s5, s5
	v_mov_b32_e32 v36, v32
	s_xor_b32 exec_lo, exec_lo, s5
	s_cbranch_execz .LBB117_56
; %bb.55:
	s_waitcnt lgkmcnt(0)
	v_add_nc_u32_e32 v35, v0, v34
	ds_read_u8 v36, v35 offset:1
	v_mov_b32_e32 v35, v31
.LBB117_56:
	s_or_b32 exec_lo, exec_lo, s5
	v_add_nc_u32_e32 v37, 1, v33
	v_add_nc_u32_e32 v38, 1, v34
	s_waitcnt lgkmcnt(0)
	v_cmp_lt_u16_sdwa s6, v36, v35 src0_sel:BYTE_0 src1_sel:BYTE_0
                                        ; implicit-def: $vgpr39
	v_cndmask_b32_e64 v37, v37, v33, s4
	v_cndmask_b32_e64 v38, v34, v38, s4
	v_cmp_ge_i32_e32 vcc_lo, v37, v13
	v_cmp_lt_i32_e64 s5, v38, v15
	s_or_b32 s6, vcc_lo, s6
	s_and_b32 vcc_lo, s5, s6
	s_xor_b32 s5, vcc_lo, -1
	s_and_saveexec_b32 s6, s5
	s_xor_b32 s5, exec_lo, s6
; %bb.57:
	v_add_nc_u32_e32 v39, v0, v37
	ds_read_u8 v39, v39 offset:1
; %bb.58:
	s_or_saveexec_b32 s5, s5
	v_mov_b32_e32 v41, v36
	s_xor_b32 exec_lo, exec_lo, s5
	s_cbranch_execz .LBB117_60
; %bb.59:
	s_waitcnt lgkmcnt(0)
	v_add_nc_u32_e32 v39, v0, v38
	ds_read_u8 v41, v39 offset:1
	v_mov_b32_e32 v39, v35
.LBB117_60:
	s_or_b32 exec_lo, exec_lo, s5
	v_add_nc_u32_e32 v40, 1, v37
	v_add_nc_u32_e32 v42, 1, v38
	s_waitcnt lgkmcnt(0)
	v_cmp_lt_u16_sdwa s7, v41, v39 src0_sel:BYTE_0 src1_sel:BYTE_0
	v_cndmask_b32_e32 v43, v40, v37, vcc_lo
	v_cndmask_b32_e32 v44, v38, v42, vcc_lo
                                        ; implicit-def: $vgpr40
	v_cmp_ge_i32_e64 s5, v43, v13
	v_cmp_lt_i32_e64 s6, v44, v15
	s_or_b32 s5, s5, s7
	s_and_b32 s5, s6, s5
	s_xor_b32 s6, s5, -1
	s_and_saveexec_b32 s7, s6
	s_xor_b32 s6, exec_lo, s7
; %bb.61:
	v_add_nc_u32_e32 v40, v0, v43
	ds_read_u8 v40, v40 offset:1
; %bb.62:
	s_or_saveexec_b32 s6, s6
	v_mov_b32_e32 v42, v41
	s_xor_b32 exec_lo, exec_lo, s6
	s_cbranch_execz .LBB117_64
; %bb.63:
	s_waitcnt lgkmcnt(0)
	v_add_nc_u32_e32 v40, v0, v44
	ds_read_u8 v42, v40 offset:1
	v_mov_b32_e32 v40, v39
.LBB117_64:
	s_or_b32 exec_lo, exec_lo, s6
	v_add_nc_u32_e32 v45, 1, v44
	v_add_nc_u32_e32 v46, 1, v43
	v_cndmask_b32_e64 v39, v39, v41, s5
	v_perm_b32 v9, v9, v10, 0xc0c0004
	v_perm_b32 v10, v11, v12, 0xc0c0004
	v_cndmask_b32_e64 v41, v44, v45, s5
	v_cndmask_b32_e64 v45, v46, v43, s5
	v_perm_b32 v2, v2, v6, 0xc0c0004
	v_perm_b32 v6, v7, v8, 0xc0c0004
	v_cndmask_b32_sdwa v35, v35, v36, vcc_lo dst_sel:BYTE_1 dst_unused:UNUSED_PAD src0_sel:DWORD src1_sel:DWORD
	v_cndmask_b32_e32 v36, v37, v38, vcc_lo
	v_cndmask_b32_e64 v23, v23, v24, s2
	v_cndmask_b32_e64 v24, v25, v26, s2
	v_cmp_ge_i32_e32 vcc_lo, v45, v13
	s_waitcnt lgkmcnt(0)
	v_cmp_lt_u16_sdwa s2, v42, v40 src0_sel:BYTE_0 src1_sel:BYTE_0
	v_cndmask_b32_e64 v19, v19, v20, s1
	v_cndmask_b32_e64 v20, v21, v22, s1
	v_cmp_lt_i32_e64 s1, v41, v15
	v_cndmask_b32_e64 v8, v14, v16, s0
	v_lshl_or_b32 v7, v10, 16, v9
	v_lshl_or_b32 v6, v6, 16, v2
	v_cndmask_b32_e64 v18, v17, v18, s0
	s_or_b32 s0, vcc_lo, s2
	v_cndmask_b32_e64 v27, v27, v28, s3
	v_cndmask_b32_e64 v28, v29, v30, s3
	s_and_b32 vcc_lo, s1, s0
	v_cndmask_b32_e64 v43, v43, v44, s5
	v_cndmask_b32_e64 v31, v31, v32, s4
	;; [unrolled: 1-line block ×3, first 2 shown]
	v_cndmask_b32_e32 v2, v45, v41, vcc_lo
	; wave barrier
	ds_write_b64 v1, v[6:7]
	v_add_nc_u32_e32 v6, v0, v8
	v_add_nc_u32_e32 v7, v0, v20
	v_add_nc_u32_e32 v8, v0, v24
	v_add_nc_u32_e32 v9, v0, v28
	v_add_nc_u32_e32 v10, v0, v32
	v_add_nc_u32_e32 v11, v0, v36
	v_add_nc_u32_e32 v12, v0, v43
	; wave barrier
	v_add_nc_u32_e32 v13, v0, v2
	ds_read_u8 v2, v6
	ds_read_u8 v6, v7
	;; [unrolled: 1-line block ×8, first 2 shown]
	v_cndmask_b32_e32 v14, v40, v42, vcc_lo
	v_and_b32_e32 v17, 64, v5
	v_lshlrev_b16 v15, 8, v19
	v_lshlrev_b16 v16, 8, v27
	v_and_b32_e32 v5, 56, v5
	v_lshlrev_b16 v14, 8, v14
	v_or_b32_e32 v13, 32, v17
	v_or_b32_sdwa v15, v18, v15 dst_sel:DWORD dst_unused:UNUSED_PAD src0_sel:BYTE_0 src1_sel:DWORD
	v_or_b32_sdwa v16, v23, v16 dst_sel:WORD_1 dst_unused:UNUSED_PAD src0_sel:BYTE_0 src1_sel:DWORD
	v_or_b32_sdwa v20, v31, v35 dst_sel:DWORD dst_unused:UNUSED_PAD src0_sel:BYTE_0 src1_sel:DWORD
	v_or_b32_sdwa v21, v39, v14 dst_sel:WORD_1 dst_unused:UNUSED_PAD src0_sel:BYTE_0 src1_sel:DWORD
	v_sub_nc_u32_e32 v19, v13, v17
	v_sub_nc_u32_e64 v18, v5, 32 clamp
	v_or_b32_sdwa v15, v15, v16 dst_sel:DWORD dst_unused:UNUSED_PAD src0_sel:WORD_0 src1_sel:DWORD
	s_mov_b32 s0, exec_lo
	v_or_b32_sdwa v16, v20, v21 dst_sel:DWORD dst_unused:UNUSED_PAD src0_sel:WORD_0 src1_sel:DWORD
	v_min_i32_e32 v14, v5, v19
	; wave barrier
	ds_write_b64 v1, v[15:16]
	; wave barrier
	v_cmpx_lt_i32_e64 v18, v14
	s_cbranch_execz .LBB117_68
; %bb.65:
	v_add_nc_u32_e32 v15, v0, v17
	s_mov_b32 s1, 0
	v_add_nc_u32_e32 v16, v15, v5
	.p2align	6
.LBB117_66:                             ; =>This Inner Loop Header: Depth=1
	v_sub_nc_u32_e32 v19, v14, v18
	v_lshrrev_b32_e32 v19, 1, v19
	v_add_nc_u32_e32 v19, v19, v18
	v_add_nc_u32_e32 v20, v15, v19
	v_xad_u32 v21, v19, -1, v16
	v_add_nc_u32_e32 v22, 1, v19
	ds_read_u8 v20, v20
	ds_read_u8 v21, v21 offset:32
	s_waitcnt lgkmcnt(0)
	v_cmp_lt_u16_e32 vcc_lo, v21, v20
	v_cndmask_b32_e32 v14, v14, v19, vcc_lo
	v_cndmask_b32_e32 v18, v22, v18, vcc_lo
	v_cmp_ge_i32_e32 vcc_lo, v18, v14
	s_or_b32 s1, vcc_lo, s1
	s_andn2_b32 exec_lo, exec_lo, s1
	s_cbranch_execnz .LBB117_66
; %bb.67:
	s_or_b32 exec_lo, exec_lo, s1
.LBB117_68:
	s_or_b32 exec_lo, exec_lo, s0
	v_add_nc_u32_e32 v15, v17, v5
	v_add_nc_u32_e32 v14, v18, v17
	;; [unrolled: 1-line block ×4, first 2 shown]
	v_cmp_lt_i32_e32 vcc_lo, 31, v18
	v_sub_nc_u32_e32 v15, v15, v18
	v_add_nc_u32_e32 v19, v0, v14
	v_sub_nc_u32_e32 v17, v21, v18
                                        ; implicit-def: $vgpr18
	v_add_nc_u32_e32 v20, v0, v15
	ds_read_u8 v15, v19
	ds_read_u8 v16, v20 offset:32
	v_cmp_gt_i32_e64 s0, v5, v17
	s_waitcnt lgkmcnt(0)
	v_cmp_lt_u16_sdwa s1, v16, v15 src0_sel:BYTE_0 src1_sel:BYTE_0
	s_or_b32 s1, vcc_lo, s1
	s_and_b32 s0, s0, s1
	s_xor_b32 s1, s0, -1
	s_and_saveexec_b32 s2, s1
	s_xor_b32 s1, exec_lo, s2
; %bb.69:
	ds_read_u8 v18, v19 offset:1
                                        ; implicit-def: $vgpr20
; %bb.70:
	s_or_saveexec_b32 s1, s1
	v_mov_b32_e32 v19, v16
	s_xor_b32 exec_lo, exec_lo, s1
	s_cbranch_execz .LBB117_72
; %bb.71:
	ds_read_u8 v19, v20 offset:33
	s_waitcnt lgkmcnt(1)
	v_mov_b32_e32 v18, v15
.LBB117_72:
	s_or_b32 exec_lo, exec_lo, s1
	v_add_nc_u32_e32 v20, 1, v14
	v_add_nc_u32_e32 v21, 1, v17
	s_waitcnt lgkmcnt(0)
	v_cmp_lt_u16_sdwa s2, v19, v18 src0_sel:BYTE_0 src1_sel:BYTE_0
                                        ; implicit-def: $vgpr22
	v_cndmask_b32_e64 v20, v20, v14, s0
	v_cndmask_b32_e64 v21, v17, v21, s0
	v_cmp_ge_i32_e32 vcc_lo, v20, v13
	v_cmp_lt_i32_e64 s1, v21, v5
	s_or_b32 s2, vcc_lo, s2
	s_and_b32 s1, s1, s2
	s_xor_b32 s2, s1, -1
	s_and_saveexec_b32 s3, s2
	s_xor_b32 s2, exec_lo, s3
; %bb.73:
	v_add_nc_u32_e32 v22, v0, v20
	ds_read_u8 v22, v22 offset:1
; %bb.74:
	s_or_saveexec_b32 s2, s2
	v_mov_b32_e32 v23, v19
	s_xor_b32 exec_lo, exec_lo, s2
	s_cbranch_execz .LBB117_76
; %bb.75:
	s_waitcnt lgkmcnt(0)
	v_add_nc_u32_e32 v22, v0, v21
	ds_read_u8 v23, v22 offset:1
	v_mov_b32_e32 v22, v18
.LBB117_76:
	s_or_b32 exec_lo, exec_lo, s2
	v_add_nc_u32_e32 v24, 1, v20
	v_add_nc_u32_e32 v26, 1, v21
	s_waitcnt lgkmcnt(0)
	v_cmp_lt_u16_sdwa s3, v23, v22 src0_sel:BYTE_0 src1_sel:BYTE_0
                                        ; implicit-def: $vgpr28
	v_cndmask_b32_e64 v25, v24, v20, s1
	v_cndmask_b32_e64 v26, v21, v26, s1
	v_cmp_ge_i32_e32 vcc_lo, v25, v13
	v_cmp_lt_i32_e64 s2, v26, v5
	s_or_b32 s3, vcc_lo, s3
	s_and_b32 s2, s2, s3
	s_xor_b32 s3, s2, -1
	s_and_saveexec_b32 s4, s3
	s_xor_b32 s3, exec_lo, s4
; %bb.77:
	v_add_nc_u32_e32 v24, v0, v25
	ds_read_u8 v28, v24 offset:1
; %bb.78:
	s_or_saveexec_b32 s3, s3
	v_mov_b32_e32 v29, v23
	s_xor_b32 exec_lo, exec_lo, s3
	s_cbranch_execz .LBB117_80
; %bb.79:
	v_add_nc_u32_e32 v24, v0, v26
	s_waitcnt lgkmcnt(0)
	v_mov_b32_e32 v28, v22
	ds_read_u8 v29, v24 offset:1
.LBB117_80:
	s_or_b32 exec_lo, exec_lo, s3
	v_add_nc_u32_e32 v24, 1, v25
	v_add_nc_u32_e32 v27, 1, v26
	s_waitcnt lgkmcnt(0)
	v_cmp_lt_u16_sdwa s4, v29, v28 src0_sel:BYTE_0 src1_sel:BYTE_0
	v_cndmask_b32_e64 v30, v24, v25, s2
	v_cndmask_b32_e64 v31, v26, v27, s2
                                        ; implicit-def: $vgpr24
	v_cmp_ge_i32_e32 vcc_lo, v30, v13
	v_cmp_lt_i32_e64 s3, v31, v5
	s_or_b32 s4, vcc_lo, s4
	s_and_b32 s4, s3, s4
	s_xor_b32 s3, s4, -1
	s_and_saveexec_b32 s5, s3
	s_xor_b32 s3, exec_lo, s5
; %bb.81:
	v_add_nc_u32_e32 v24, v0, v30
	ds_read_u8 v24, v24 offset:1
; %bb.82:
	s_or_saveexec_b32 s3, s3
	v_mov_b32_e32 v27, v29
	s_xor_b32 exec_lo, exec_lo, s3
	s_cbranch_execz .LBB117_84
; %bb.83:
	s_waitcnt lgkmcnt(0)
	v_add_nc_u32_e32 v24, v0, v31
	ds_read_u8 v27, v24 offset:1
	v_mov_b32_e32 v24, v28
.LBB117_84:
	s_or_b32 exec_lo, exec_lo, s3
	v_add_nc_u32_e32 v32, 1, v30
	v_add_nc_u32_e32 v33, 1, v31
	s_waitcnt lgkmcnt(0)
	v_cmp_lt_u16_sdwa s5, v27, v24 src0_sel:BYTE_0 src1_sel:BYTE_0
                                        ; implicit-def: $vgpr34
	v_cndmask_b32_e64 v32, v32, v30, s4
	v_cndmask_b32_e64 v33, v31, v33, s4
	v_cmp_ge_i32_e32 vcc_lo, v32, v13
	v_cmp_lt_i32_e64 s3, v33, v5
	s_or_b32 s5, vcc_lo, s5
	s_and_b32 s3, s3, s5
	s_xor_b32 s5, s3, -1
	s_and_saveexec_b32 s6, s5
	s_xor_b32 s5, exec_lo, s6
; %bb.85:
	v_add_nc_u32_e32 v34, v0, v32
	ds_read_u8 v34, v34 offset:1
; %bb.86:
	s_or_saveexec_b32 s5, s5
	v_mov_b32_e32 v35, v27
	s_xor_b32 exec_lo, exec_lo, s5
	s_cbranch_execz .LBB117_88
; %bb.87:
	s_waitcnt lgkmcnt(0)
	v_add_nc_u32_e32 v34, v0, v33
	ds_read_u8 v35, v34 offset:1
	v_mov_b32_e32 v34, v24
.LBB117_88:
	s_or_b32 exec_lo, exec_lo, s5
	v_add_nc_u32_e32 v36, 1, v32
	v_add_nc_u32_e32 v37, 1, v33
	s_waitcnt lgkmcnt(0)
	v_cmp_lt_u16_sdwa s6, v35, v34 src0_sel:BYTE_0 src1_sel:BYTE_0
                                        ; implicit-def: $vgpr38
	v_cndmask_b32_e64 v36, v36, v32, s3
	v_cndmask_b32_e64 v37, v33, v37, s3
	v_cmp_ge_i32_e32 vcc_lo, v36, v13
	v_cmp_lt_i32_e64 s5, v37, v5
	s_or_b32 s6, vcc_lo, s6
	s_and_b32 vcc_lo, s5, s6
	s_xor_b32 s5, vcc_lo, -1
	s_and_saveexec_b32 s6, s5
	s_xor_b32 s5, exec_lo, s6
; %bb.89:
	v_add_nc_u32_e32 v38, v0, v36
	ds_read_u8 v38, v38 offset:1
; %bb.90:
	s_or_saveexec_b32 s5, s5
	v_mov_b32_e32 v40, v35
	s_xor_b32 exec_lo, exec_lo, s5
	s_cbranch_execz .LBB117_92
; %bb.91:
	s_waitcnt lgkmcnt(0)
	v_add_nc_u32_e32 v38, v0, v37
	ds_read_u8 v40, v38 offset:1
	v_mov_b32_e32 v38, v34
.LBB117_92:
	s_or_b32 exec_lo, exec_lo, s5
	v_add_nc_u32_e32 v39, 1, v36
	v_add_nc_u32_e32 v41, 1, v37
	s_waitcnt lgkmcnt(0)
	v_cmp_lt_u16_sdwa s7, v40, v38 src0_sel:BYTE_0 src1_sel:BYTE_0
	v_cndmask_b32_e32 v42, v39, v36, vcc_lo
	v_cndmask_b32_e32 v43, v37, v41, vcc_lo
                                        ; implicit-def: $vgpr39
	v_cmp_ge_i32_e64 s5, v42, v13
	v_cmp_lt_i32_e64 s6, v43, v5
	s_or_b32 s5, s5, s7
	s_and_b32 s5, s6, s5
	s_xor_b32 s6, s5, -1
	s_and_saveexec_b32 s7, s6
	s_xor_b32 s6, exec_lo, s7
; %bb.93:
	v_add_nc_u32_e32 v39, v0, v42
	ds_read_u8 v39, v39 offset:1
; %bb.94:
	s_or_saveexec_b32 s6, s6
	v_mov_b32_e32 v41, v40
	s_xor_b32 exec_lo, exec_lo, s6
	s_cbranch_execz .LBB117_96
; %bb.95:
	s_waitcnt lgkmcnt(0)
	v_add_nc_u32_e32 v39, v0, v43
	ds_read_u8 v41, v39 offset:1
	v_mov_b32_e32 v39, v38
.LBB117_96:
	s_or_b32 exec_lo, exec_lo, s6
	v_add_nc_u32_e32 v44, 1, v43
	v_add_nc_u32_e32 v45, 1, v42
	v_cndmask_b32_e64 v38, v38, v40, s5
	v_perm_b32 v9, v9, v10, 0xc0c0004
	v_perm_b32 v10, v11, v12, 0xc0c0004
	v_cndmask_b32_e64 v40, v43, v44, s5
	v_cndmask_b32_e64 v44, v45, v42, s5
	v_perm_b32 v2, v2, v6, 0xc0c0004
	v_perm_b32 v7, v7, v8, 0xc0c0004
	v_cndmask_b32_sdwa v34, v34, v35, vcc_lo dst_sel:BYTE_1 dst_unused:UNUSED_PAD src0_sel:DWORD src1_sel:DWORD
	v_cndmask_b32_e32 v35, v36, v37, vcc_lo
	v_cndmask_b32_e64 v18, v18, v19, s1
	v_cndmask_b32_e64 v19, v20, v21, s1
	v_cmp_ge_i32_e32 vcc_lo, v44, v13
	s_waitcnt lgkmcnt(0)
	v_cmp_lt_u16_sdwa s1, v41, v39 src0_sel:BYTE_0 src1_sel:BYTE_0
	v_cndmask_b32_e64 v15, v15, v16, s0
	v_cndmask_b32_e64 v14, v14, v17, s0
	v_cmp_lt_i32_e64 s0, v40, v5
	v_add_nc_u32_e32 v16, v0, v4
	v_lshl_or_b32 v6, v10, 16, v9
	v_lshl_or_b32 v5, v7, 16, v2
	s_or_b32 s1, vcc_lo, s1
	v_cndmask_b32_e64 v22, v22, v23, s2
	v_cndmask_b32_e64 v23, v25, v26, s2
	;; [unrolled: 1-line block ×4, first 2 shown]
	s_and_b32 vcc_lo, s0, s1
	v_cndmask_b32_e64 v42, v42, v43, s5
	v_cndmask_b32_e64 v32, v32, v33, s3
	v_cndmask_b32_e32 v2, v44, v40, vcc_lo
	; wave barrier
	ds_write_b64 v16, v[5:6]
	v_add_nc_u32_e32 v5, v0, v14
	v_add_nc_u32_e32 v6, v0, v19
	;; [unrolled: 1-line block ×7, first 2 shown]
	; wave barrier
	v_add_nc_u32_e32 v13, v0, v2
	ds_read_u8 v2, v5
	ds_read_u8 v5, v6
	;; [unrolled: 1-line block ×8, first 2 shown]
	v_cndmask_b32_e32 v12, v39, v41, vcc_lo
	v_lshlrev_b16 v13, 8, v18
	v_lshlrev_b16 v14, 8, v28
	v_cndmask_b32_e64 v17, v24, v27, s3
	s_mov_b32 s0, exec_lo
	v_lshlrev_b16 v12, 8, v12
	v_or_b32_sdwa v15, v15, v13 dst_sel:DWORD dst_unused:UNUSED_PAD src0_sel:BYTE_0 src1_sel:DWORD
	v_or_b32_sdwa v14, v22, v14 dst_sel:WORD_1 dst_unused:UNUSED_PAD src0_sel:BYTE_0 src1_sel:DWORD
	v_or_b32_sdwa v17, v17, v34 dst_sel:DWORD dst_unused:UNUSED_PAD src0_sel:BYTE_0 src1_sel:DWORD
	v_min_u32_e32 v13, 64, v4
	v_or_b32_sdwa v18, v38, v12 dst_sel:WORD_1 dst_unused:UNUSED_PAD src0_sel:BYTE_0 src1_sel:DWORD
	v_sub_nc_u32_e64 v12, v4, 64 clamp
	v_or_b32_sdwa v14, v15, v14 dst_sel:DWORD dst_unused:UNUSED_PAD src0_sel:WORD_0 src1_sel:DWORD
	; wave barrier
	v_or_b32_sdwa v15, v17, v18 dst_sel:DWORD dst_unused:UNUSED_PAD src0_sel:WORD_0 src1_sel:DWORD
	ds_write_b64 v16, v[14:15]
	; wave barrier
	v_cmpx_lt_u32_e64 v12, v13
	s_cbranch_execz .LBB117_100
; %bb.97:
	s_mov_b32 s1, 0
	.p2align	6
.LBB117_98:                             ; =>This Inner Loop Header: Depth=1
	v_sub_nc_u32_e32 v14, v13, v12
	v_lshrrev_b32_e32 v14, 1, v14
	v_add_nc_u32_e32 v14, v14, v12
	v_add_nc_u32_e32 v15, v0, v14
	v_xad_u32 v16, v14, -1, v1
	v_add_nc_u32_e32 v17, 1, v14
	ds_read_u8 v15, v15
	ds_read_u8 v16, v16 offset:64
	s_waitcnt lgkmcnt(0)
	v_cmp_lt_u16_e32 vcc_lo, v16, v15
	v_cndmask_b32_e32 v13, v13, v14, vcc_lo
	v_cndmask_b32_e32 v12, v17, v12, vcc_lo
	v_cmp_ge_i32_e32 vcc_lo, v12, v13
	s_or_b32 s1, vcc_lo, s1
	s_andn2_b32 exec_lo, exec_lo, s1
	s_cbranch_execnz .LBB117_98
; %bb.99:
	s_or_b32 exec_lo, exec_lo, s1
.LBB117_100:
	s_or_b32 exec_lo, exec_lo, s0
	v_sub_nc_u32_e32 v14, v4, v12
	v_add_nc_u32_e32 v15, v0, v12
	v_cmp_lt_i32_e32 vcc_lo, 63, v12
	v_add_nc_u32_e32 v17, v0, v14
	v_add_nc_u32_e32 v16, 64, v14
                                        ; implicit-def: $vgpr14
	ds_read_u8 v4, v15
	ds_read_u8 v13, v17 offset:64
	v_cmp_gt_i32_e64 s0, 0x80, v16
	s_waitcnt lgkmcnt(0)
	v_cmp_lt_u16_sdwa s1, v13, v4 src0_sel:BYTE_0 src1_sel:BYTE_0
	s_or_b32 s1, vcc_lo, s1
	s_and_b32 vcc_lo, s0, s1
	s_xor_b32 s0, vcc_lo, -1
	s_and_saveexec_b32 s1, s0
	s_xor_b32 s0, exec_lo, s1
; %bb.101:
	ds_read_u8 v14, v15 offset:1
                                        ; implicit-def: $vgpr17
; %bb.102:
	s_or_saveexec_b32 s0, s0
	v_mov_b32_e32 v15, v13
	s_xor_b32 exec_lo, exec_lo, s0
	s_cbranch_execz .LBB117_104
; %bb.103:
	ds_read_u8 v15, v17 offset:65
	s_waitcnt lgkmcnt(1)
	v_mov_b32_e32 v14, v4
.LBB117_104:
	s_or_b32 exec_lo, exec_lo, s0
	v_add_nc_u32_e32 v17, 1, v12
	v_add_nc_u32_e32 v18, 1, v16
	s_waitcnt lgkmcnt(0)
	v_cmp_lt_u16_sdwa s2, v15, v14 src0_sel:BYTE_0 src1_sel:BYTE_0
	v_cndmask_b32_e32 v20, v17, v12, vcc_lo
	v_cndmask_b32_e32 v21, v16, v18, vcc_lo
                                        ; implicit-def: $vgpr17
	v_cmp_lt_i32_e64 s0, 63, v20
	v_cmp_gt_i32_e64 s1, 0x80, v21
	s_or_b32 s0, s0, s2
	s_and_b32 s0, s1, s0
	s_xor_b32 s1, s0, -1
	s_and_saveexec_b32 s2, s1
	s_xor_b32 s1, exec_lo, s2
; %bb.105:
	v_add_nc_u32_e32 v17, v0, v20
	ds_read_u8 v17, v17 offset:1
; %bb.106:
	s_or_saveexec_b32 s1, s1
	v_mov_b32_e32 v18, v15
	s_xor_b32 exec_lo, exec_lo, s1
	s_cbranch_execz .LBB117_108
; %bb.107:
	s_waitcnt lgkmcnt(0)
	v_add_nc_u32_e32 v17, v0, v21
	ds_read_u8 v18, v17 offset:1
	v_mov_b32_e32 v17, v14
.LBB117_108:
	s_or_b32 exec_lo, exec_lo, s1
	v_add_nc_u32_e32 v19, 1, v20
	v_add_nc_u32_e32 v22, 1, v21
	s_waitcnt lgkmcnt(0)
	v_cmp_lt_u16_sdwa s3, v18, v17 src0_sel:BYTE_0 src1_sel:BYTE_0
	v_cndmask_b32_e64 v24, v19, v20, s0
	v_cndmask_b32_e64 v25, v21, v22, s0
                                        ; implicit-def: $vgpr19
	v_cmp_lt_i32_e64 s1, 63, v24
	v_cmp_gt_i32_e64 s2, 0x80, v25
	s_or_b32 s1, s1, s3
	s_and_b32 s1, s2, s1
	s_xor_b32 s2, s1, -1
	s_and_saveexec_b32 s3, s2
	s_xor_b32 s2, exec_lo, s3
; %bb.109:
	v_add_nc_u32_e32 v19, v0, v24
	ds_read_u8 v19, v19 offset:1
; %bb.110:
	s_or_saveexec_b32 s2, s2
	v_mov_b32_e32 v22, v18
	s_xor_b32 exec_lo, exec_lo, s2
	s_cbranch_execz .LBB117_112
; %bb.111:
	s_waitcnt lgkmcnt(0)
	v_add_nc_u32_e32 v19, v0, v25
	ds_read_u8 v22, v19 offset:1
	v_mov_b32_e32 v19, v17
.LBB117_112:
	s_or_b32 exec_lo, exec_lo, s2
	v_add_nc_u32_e32 v23, 1, v24
	v_add_nc_u32_e32 v26, 1, v25
	s_waitcnt lgkmcnt(0)
	v_cmp_lt_u16_sdwa s4, v22, v19 src0_sel:BYTE_0 src1_sel:BYTE_0
	v_cndmask_b32_e64 v28, v23, v24, s1
	v_cndmask_b32_e64 v29, v25, v26, s1
                                        ; implicit-def: $vgpr23
	v_cmp_lt_i32_e64 s2, 63, v28
	v_cmp_gt_i32_e64 s3, 0x80, v29
	s_or_b32 s2, s2, s4
	s_and_b32 s2, s3, s2
	s_xor_b32 s3, s2, -1
	s_and_saveexec_b32 s4, s3
	s_xor_b32 s3, exec_lo, s4
; %bb.113:
	v_add_nc_u32_e32 v23, v0, v28
	ds_read_u8 v23, v23 offset:1
; %bb.114:
	s_or_saveexec_b32 s3, s3
	v_mov_b32_e32 v26, v22
	s_xor_b32 exec_lo, exec_lo, s3
	s_cbranch_execz .LBB117_116
; %bb.115:
	s_waitcnt lgkmcnt(0)
	v_add_nc_u32_e32 v23, v0, v29
	ds_read_u8 v26, v23 offset:1
	v_mov_b32_e32 v23, v19
.LBB117_116:
	s_or_b32 exec_lo, exec_lo, s3
	v_add_nc_u32_e32 v27, 1, v28
	v_add_nc_u32_e32 v30, 1, v29
	s_waitcnt lgkmcnt(0)
	v_cmp_lt_u16_sdwa s5, v26, v23 src0_sel:BYTE_0 src1_sel:BYTE_0
	v_cndmask_b32_e64 v31, v27, v28, s2
	v_cndmask_b32_e64 v32, v29, v30, s2
                                        ; implicit-def: $vgpr27
	v_cmp_lt_i32_e64 s3, 63, v31
	v_cmp_gt_i32_e64 s4, 0x80, v32
	s_or_b32 s3, s3, s5
	s_and_b32 s3, s4, s3
	s_xor_b32 s4, s3, -1
	s_and_saveexec_b32 s5, s4
	s_xor_b32 s4, exec_lo, s5
; %bb.117:
	v_add_nc_u32_e32 v27, v0, v31
	ds_read_u8 v27, v27 offset:1
; %bb.118:
	s_or_saveexec_b32 s4, s4
	v_mov_b32_e32 v30, v26
	s_xor_b32 exec_lo, exec_lo, s4
	s_cbranch_execz .LBB117_120
; %bb.119:
	s_waitcnt lgkmcnt(0)
	v_add_nc_u32_e32 v27, v0, v32
	ds_read_u8 v30, v27 offset:1
	v_mov_b32_e32 v27, v23
.LBB117_120:
	s_or_b32 exec_lo, exec_lo, s4
	v_add_nc_u32_e32 v33, 1, v31
	v_add_nc_u32_e32 v34, 1, v32
	s_waitcnt lgkmcnt(0)
	v_cmp_lt_u16_sdwa s6, v30, v27 src0_sel:BYTE_0 src1_sel:BYTE_0
                                        ; implicit-def: $vgpr39
	v_cndmask_b32_e64 v33, v33, v31, s3
	v_cndmask_b32_e64 v34, v32, v34, s3
	v_cmp_lt_i32_e64 s4, 63, v33
	v_cmp_gt_i32_e64 s5, 0x80, v34
	s_or_b32 s4, s4, s6
	s_and_b32 s4, s5, s4
	s_xor_b32 s5, s4, -1
	s_and_saveexec_b32 s6, s5
	s_xor_b32 s5, exec_lo, s6
; %bb.121:
	v_add_nc_u32_e32 v35, v0, v33
	ds_read_u8 v39, v35 offset:1
; %bb.122:
	s_or_saveexec_b32 s5, s5
	v_mov_b32_e32 v36, v30
	s_xor_b32 exec_lo, exec_lo, s5
	s_cbranch_execz .LBB117_124
; %bb.123:
	v_add_nc_u32_e32 v35, v0, v34
	s_waitcnt lgkmcnt(0)
	v_mov_b32_e32 v39, v27
	ds_read_u8 v36, v35 offset:1
.LBB117_124:
	s_or_b32 exec_lo, exec_lo, s5
	v_add_nc_u32_e32 v35, 1, v33
	v_add_nc_u32_e32 v37, 1, v34
	s_waitcnt lgkmcnt(0)
	v_cmp_ge_u16_sdwa s7, v36, v39 src0_sel:BYTE_0 src1_sel:BYTE_0
                                        ; implicit-def: $vgpr41
                                        ; implicit-def: $vgpr40
	v_cndmask_b32_e64 v42, v35, v33, s4
	v_cndmask_b32_e64 v37, v34, v37, s4
	v_cmp_gt_i32_e64 s5, 64, v42
	v_cmp_lt_i32_e64 s6, 0x7f, v37
	s_and_b32 s5, s5, s7
	s_or_b32 s5, s6, s5
	s_and_saveexec_b32 s6, s5
	s_xor_b32 s5, exec_lo, s6
; %bb.125:
	v_add_nc_u32_e32 v35, v0, v42
	v_add_nc_u32_e32 v40, 1, v42
	ds_read_u8 v41, v35 offset:1
; %bb.126:
	s_or_saveexec_b32 s5, s5
	v_mov_b32_e32 v35, v39
	v_mov_b32_e32 v38, v42
	s_xor_b32 exec_lo, exec_lo, s5
	s_cbranch_execz .LBB117_128
; %bb.127:
	v_add_nc_u32_e32 v35, v0, v37
	s_waitcnt lgkmcnt(0)
	v_add_nc_u32_e32 v41, 1, v37
	v_mov_b32_e32 v38, v37
	v_mov_b32_e32 v40, v42
	ds_read_u8 v43, v35 offset:1
	v_mov_b32_e32 v35, v36
	v_mov_b32_e32 v37, v41
	;; [unrolled: 1-line block ×3, first 2 shown]
	s_waitcnt lgkmcnt(0)
	v_mov_b32_e32 v36, v43
.LBB117_128:
	s_or_b32 exec_lo, exec_lo, s5
	v_cmp_lt_i32_e64 s5, 63, v40
	s_waitcnt lgkmcnt(0)
	v_cmp_lt_u16_sdwa s7, v36, v41 src0_sel:BYTE_0 src1_sel:BYTE_0
	v_perm_b32 v8, v8, v9, 0xc0c0004
	v_perm_b32 v9, v10, v11, 0xc0c0004
	;; [unrolled: 1-line block ×4, first 2 shown]
	v_cmp_gt_i32_e64 s6, 0x80, v37
	v_cndmask_b32_e32 v7, v12, v16, vcc_lo
	s_or_b32 s5, s5, s7
	v_lshl_or_b32 v6, v9, 16, v8
	v_lshl_or_b32 v5, v5, 16, v2
	v_cndmask_b32_e64 v20, v20, v21, s0
	v_cndmask_b32_e64 v24, v24, v25, s1
	s_and_b32 s5, s6, s5
	v_cndmask_b32_e64 v28, v28, v29, s2
	v_cndmask_b32_e64 v33, v33, v34, s4
	;; [unrolled: 1-line block ×4, first 2 shown]
	; wave barrier
	ds_write_b64 v1, v[5:6]
	v_add_nc_u32_e32 v1, v0, v7
	v_add_nc_u32_e32 v5, v0, v20
	v_add_nc_u32_e32 v6, v0, v24
	v_add_nc_u32_e32 v7, v0, v28
	v_add_nc_u32_e32 v9, v0, v31
	v_add_nc_u32_e32 v10, v0, v33
	v_add_nc_u32_e32 v11, v0, v38
	v_add_nc_u32_e32 v0, v0, v8
	; wave barrier
	ds_read_u8 v1, v1
	ds_read_u8 v5, v5
	ds_read_u8 v6, v6
	ds_read_u8 v7, v7
	ds_read_u8 v8, v9
	ds_read_u8 v9, v10
	ds_read_u8 v10, v11
	ds_read_u8 v0, v0
	v_cndmask_b32_e64 v2, v41, v36, s5
	v_cndmask_b32_e64 v11, v27, v30, s4
	v_cndmask_b32_e32 v4, v4, v13, vcc_lo
	v_cndmask_b32_e64 v12, v14, v15, s0
	v_cndmask_b32_e64 v13, v17, v18, s1
	;; [unrolled: 1-line block ×4, first 2 shown]
	s_add_u32 s0, s38, s40
	s_addc_u32 s1, s39, 0
	s_waitcnt lgkmcnt(7)
	v_add_nc_u16 v1, v1, v4
	s_waitcnt lgkmcnt(6)
	v_add_nc_u16 v4, v5, v12
	;; [unrolled: 2-line block ×8, first 2 shown]
	v_lshlrev_b16 v2, 8, v4
	v_lshlrev_b16 v4, 8, v6
	;; [unrolled: 1-line block ×4, first 2 shown]
	v_or_b32_sdwa v2, v1, v2 dst_sel:DWORD dst_unused:UNUSED_PAD src0_sel:BYTE_0 src1_sel:DWORD
	v_or_b32_sdwa v4, v5, v4 dst_sel:WORD_1 dst_unused:UNUSED_PAD src0_sel:BYTE_0 src1_sel:DWORD
	v_or_b32_sdwa v5, v7, v6 dst_sel:DWORD dst_unused:UNUSED_PAD src0_sel:BYTE_0 src1_sel:DWORD
	v_or_b32_sdwa v6, v9, v0 dst_sel:WORD_1 dst_unused:UNUSED_PAD src0_sel:BYTE_0 src1_sel:DWORD
	v_add_co_u32 v0, s0, s0, v3
	v_add_co_ci_u32_e64 v1, null, s1, 0, s0
	v_or_b32_sdwa v2, v2, v4 dst_sel:DWORD dst_unused:UNUSED_PAD src0_sel:WORD_0 src1_sel:DWORD
	v_or_b32_sdwa v3, v5, v6 dst_sel:DWORD dst_unused:UNUSED_PAD src0_sel:WORD_0 src1_sel:DWORD
	global_store_dwordx2 v[0:1], v[2:3], off
	s_endpgm
	.section	.rodata,"a",@progbits
	.p2align	6, 0x0
	.amdhsa_kernel _Z10sort_pairsILj256ELj16ELj8EhN10test_utils4lessEEvPKT2_PS2_T3_
		.amdhsa_group_segment_fixed_size 2064
		.amdhsa_private_segment_fixed_size 0
		.amdhsa_kernarg_size 20
		.amdhsa_user_sgpr_count 6
		.amdhsa_user_sgpr_private_segment_buffer 1
		.amdhsa_user_sgpr_dispatch_ptr 0
		.amdhsa_user_sgpr_queue_ptr 0
		.amdhsa_user_sgpr_kernarg_segment_ptr 1
		.amdhsa_user_sgpr_dispatch_id 0
		.amdhsa_user_sgpr_flat_scratch_init 0
		.amdhsa_user_sgpr_private_segment_size 0
		.amdhsa_wavefront_size32 1
		.amdhsa_uses_dynamic_stack 0
		.amdhsa_system_sgpr_private_segment_wavefront_offset 0
		.amdhsa_system_sgpr_workgroup_id_x 1
		.amdhsa_system_sgpr_workgroup_id_y 0
		.amdhsa_system_sgpr_workgroup_id_z 0
		.amdhsa_system_sgpr_workgroup_info 0
		.amdhsa_system_vgpr_workitem_id 0
		.amdhsa_next_free_vgpr 47
		.amdhsa_next_free_sgpr 41
		.amdhsa_reserve_vcc 1
		.amdhsa_reserve_flat_scratch 0
		.amdhsa_float_round_mode_32 0
		.amdhsa_float_round_mode_16_64 0
		.amdhsa_float_denorm_mode_32 3
		.amdhsa_float_denorm_mode_16_64 3
		.amdhsa_dx10_clamp 1
		.amdhsa_ieee_mode 1
		.amdhsa_fp16_overflow 0
		.amdhsa_workgroup_processor_mode 1
		.amdhsa_memory_ordered 1
		.amdhsa_forward_progress 1
		.amdhsa_shared_vgpr_count 0
		.amdhsa_exception_fp_ieee_invalid_op 0
		.amdhsa_exception_fp_denorm_src 0
		.amdhsa_exception_fp_ieee_div_zero 0
		.amdhsa_exception_fp_ieee_overflow 0
		.amdhsa_exception_fp_ieee_underflow 0
		.amdhsa_exception_fp_ieee_inexact 0
		.amdhsa_exception_int_div_zero 0
	.end_amdhsa_kernel
	.section	.text._Z10sort_pairsILj256ELj16ELj8EhN10test_utils4lessEEvPKT2_PS2_T3_,"axG",@progbits,_Z10sort_pairsILj256ELj16ELj8EhN10test_utils4lessEEvPKT2_PS2_T3_,comdat
.Lfunc_end117:
	.size	_Z10sort_pairsILj256ELj16ELj8EhN10test_utils4lessEEvPKT2_PS2_T3_, .Lfunc_end117-_Z10sort_pairsILj256ELj16ELj8EhN10test_utils4lessEEvPKT2_PS2_T3_
                                        ; -- End function
	.set _Z10sort_pairsILj256ELj16ELj8EhN10test_utils4lessEEvPKT2_PS2_T3_.num_vgpr, 47
	.set _Z10sort_pairsILj256ELj16ELj8EhN10test_utils4lessEEvPKT2_PS2_T3_.num_agpr, 0
	.set _Z10sort_pairsILj256ELj16ELj8EhN10test_utils4lessEEvPKT2_PS2_T3_.numbered_sgpr, 41
	.set _Z10sort_pairsILj256ELj16ELj8EhN10test_utils4lessEEvPKT2_PS2_T3_.num_named_barrier, 0
	.set _Z10sort_pairsILj256ELj16ELj8EhN10test_utils4lessEEvPKT2_PS2_T3_.private_seg_size, 0
	.set _Z10sort_pairsILj256ELj16ELj8EhN10test_utils4lessEEvPKT2_PS2_T3_.uses_vcc, 1
	.set _Z10sort_pairsILj256ELj16ELj8EhN10test_utils4lessEEvPKT2_PS2_T3_.uses_flat_scratch, 0
	.set _Z10sort_pairsILj256ELj16ELj8EhN10test_utils4lessEEvPKT2_PS2_T3_.has_dyn_sized_stack, 0
	.set _Z10sort_pairsILj256ELj16ELj8EhN10test_utils4lessEEvPKT2_PS2_T3_.has_recursion, 0
	.set _Z10sort_pairsILj256ELj16ELj8EhN10test_utils4lessEEvPKT2_PS2_T3_.has_indirect_call, 0
	.section	.AMDGPU.csdata,"",@progbits
; Kernel info:
; codeLenInByte = 8308
; TotalNumSgprs: 43
; NumVgprs: 47
; ScratchSize: 0
; MemoryBound: 0
; FloatMode: 240
; IeeeMode: 1
; LDSByteSize: 2064 bytes/workgroup (compile time only)
; SGPRBlocks: 0
; VGPRBlocks: 5
; NumSGPRsForWavesPerEU: 43
; NumVGPRsForWavesPerEU: 47
; Occupancy: 16
; WaveLimiterHint : 0
; COMPUTE_PGM_RSRC2:SCRATCH_EN: 0
; COMPUTE_PGM_RSRC2:USER_SGPR: 6
; COMPUTE_PGM_RSRC2:TRAP_HANDLER: 0
; COMPUTE_PGM_RSRC2:TGID_X_EN: 1
; COMPUTE_PGM_RSRC2:TGID_Y_EN: 0
; COMPUTE_PGM_RSRC2:TGID_Z_EN: 0
; COMPUTE_PGM_RSRC2:TIDIG_COMP_CNT: 0
	.section	.text._Z19sort_keys_segmentedILj256ELj16ELj8EhN10test_utils4lessEEvPKT2_PS2_PKjT3_,"axG",@progbits,_Z19sort_keys_segmentedILj256ELj16ELj8EhN10test_utils4lessEEvPKT2_PS2_PKjT3_,comdat
	.protected	_Z19sort_keys_segmentedILj256ELj16ELj8EhN10test_utils4lessEEvPKT2_PS2_PKjT3_ ; -- Begin function _Z19sort_keys_segmentedILj256ELj16ELj8EhN10test_utils4lessEEvPKT2_PS2_PKjT3_
	.globl	_Z19sort_keys_segmentedILj256ELj16ELj8EhN10test_utils4lessEEvPKT2_PS2_PKjT3_
	.p2align	8
	.type	_Z19sort_keys_segmentedILj256ELj16ELj8EhN10test_utils4lessEEvPKT2_PS2_PKjT3_,@function
_Z19sort_keys_segmentedILj256ELj16ELj8EhN10test_utils4lessEEvPKT2_PS2_PKjT3_: ; @_Z19sort_keys_segmentedILj256ELj16ELj8EhN10test_utils4lessEEvPKT2_PS2_PKjT3_
; %bb.0:
	s_clause 0x1
	s_load_dwordx2 s[0:1], s[4:5], 0x10
	s_load_dwordx4 s[16:19], s[4:5], 0x0
	v_lshrrev_b32_e32 v8, 4, v0
	v_mov_b32_e32 v1, 0
	v_mov_b32_e32 v9, 0
	;; [unrolled: 1-line block ×4, first 2 shown]
	v_lshl_or_b32 v0, s6, 4, v8
	v_mov_b32_e32 v11, 0
	v_mov_b32_e32 v13, 0
	v_lshlrev_b64 v[2:3], 2, v[0:1]
	v_lshlrev_b32_e32 v4, 7, v0
	v_mov_b32_e32 v0, 0
	s_waitcnt lgkmcnt(0)
	v_add_co_u32 v2, vcc_lo, s0, v2
	v_add_co_ci_u32_e64 v3, null, s1, v3, vcc_lo
	global_load_dword v6, v[2:3], off
	v_mbcnt_lo_u32_b32 v2, -1, 0
	v_lshlrev_b32_e32 v7, 3, v2
	v_add_co_u32 v2, s0, s16, v4
	v_add_co_ci_u32_e64 v3, null, s17, 0, s0
	v_and_b32_e32 v5, 0x78, v7
	v_add_co_u32 v2, vcc_lo, v2, v5
	v_add_co_ci_u32_e64 v3, null, 0, v3, vcc_lo
	s_waitcnt vmcnt(0)
	v_cmp_lt_u32_e64 s0, v5, v6
	s_and_saveexec_b32 s1, s0
	s_cbranch_execz .LBB118_2
; %bb.1:
	global_load_ubyte v9, v[2:3], off
	v_mov_b32_e32 v12, 0
	v_mov_b32_e32 v0, 0
	v_mov_b32_e32 v10, 0
	v_mov_b32_e32 v11, 0
	v_mov_b32_e32 v13, 0
.LBB118_2:
	s_or_b32 exec_lo, exec_lo, s1
	v_or_b32_e32 v14, 1, v5
	v_mov_b32_e32 v15, v1
	v_cmp_lt_u32_e64 s1, v14, v6
	s_and_saveexec_b32 s2, s1
	s_cbranch_execz .LBB118_4
; %bb.3:
	global_load_ubyte v15, v[2:3], off offset:1
.LBB118_4:
	s_or_b32 exec_lo, exec_lo, s2
	v_or_b32_e32 v16, 2, v5
	v_cmp_lt_u32_e64 s2, v16, v6
	s_and_saveexec_b32 s3, s2
	s_cbranch_execz .LBB118_6
; %bb.5:
	global_load_ubyte v1, v[2:3], off offset:2
.LBB118_6:
	s_or_b32 exec_lo, exec_lo, s3
	v_or_b32_e32 v17, 3, v5
	;; [unrolled: 8-line block ×6, first 2 shown]
	v_cmp_lt_u32_e64 s7, v21, v6
	s_and_saveexec_b32 s8, s7
	s_cbranch_execz .LBB118_16
; %bb.15:
	global_load_ubyte v13, v[2:3], off offset:7
.LBB118_16:
	s_or_b32 exec_lo, exec_lo, s8
	s_waitcnt vmcnt(0)
	v_perm_b32 v1, v1, v12, 0xc0c0004
	v_perm_b32 v2, v9, v15, 0xc0c0004
	v_or_b32_e32 v3, 0xffffff00, v9
	v_cmp_lt_i32_e32 vcc_lo, v14, v6
	v_perm_b32 v0, v0, v10, 0xc0c0004
	v_lshlrev_b32_e32 v1, 16, v1
	v_cmp_lt_i32_e64 s8, v17, v6
	s_mov_b32 s9, exec_lo
	v_or_b32_e32 v10, 0xff, v0
	v_or_b32_e32 v9, v2, v1
	v_or_b32_sdwa v1, v3, v1 dst_sel:DWORD dst_unused:UNUSED_PAD src0_sel:WORD_0 src1_sel:DWORD
	v_mov_b32_e32 v3, 0xff
	v_perm_b32 v2, v11, v13, 0xc0c0004
	v_and_b32_e32 v10, 0xffff, v10
	v_cndmask_b32_e32 v1, v1, v9, vcc_lo
	v_cmp_lt_i32_e32 vcc_lo, v16, v6
	v_lshl_or_b32 v0, v2, 16, v0
	v_mov_b32_e32 v2, 0xffffff00
	v_or_b32_sdwa v11, v1, v3 dst_sel:WORD_1 dst_unused:UNUSED_PAD src0_sel:WORD_1 src1_sel:DWORD
	v_and_or_b32 v10, 0xffff0000, v0, v10
	v_and_or_b32 v1, 0xffff, v1, v11
	v_cndmask_b32_e32 v1, v1, v9, vcc_lo
	v_cmp_lt_i32_e32 vcc_lo, v18, v6
	v_or_b32_sdwa v11, v1, v2 dst_sel:WORD_1 dst_unused:UNUSED_PAD src0_sel:WORD_1 src1_sel:DWORD
	v_cndmask_b32_e32 v10, v10, v0, vcc_lo
	v_and_or_b32 v1, 0xffff, v1, v11
	v_or_b32_e32 v12, 0xffffff00, v10
	v_cndmask_b32_e64 v1, v1, v9, s8
	v_and_b32_e32 v11, 0xffff, v12
	v_cmp_lt_i32_e64 s8, v21, v6
	v_cndmask_b32_e32 v1, v1, v9, vcc_lo
	v_and_or_b32 v10, 0xffff0000, v10, v11
	v_cmp_lt_i32_e32 vcc_lo, v19, v6
	v_cndmask_b32_e32 v11, v1, v9, vcc_lo
	v_cndmask_b32_e32 v1, v10, v0, vcc_lo
	v_cmp_lt_i32_e32 vcc_lo, v20, v6
	v_or_b32_sdwa v3, v1, v3 dst_sel:WORD_1 dst_unused:UNUSED_PAD src0_sel:WORD_1 src1_sel:DWORD
	v_and_or_b32 v1, 0xffff, v1, v3
	v_cndmask_b32_e32 v1, v1, v0, vcc_lo
	v_cndmask_b32_e32 v0, v11, v9, vcc_lo
	v_cmpx_ge_i32_e64 v21, v6
; %bb.17:
	v_or_b32_sdwa v2, v1, v2 dst_sel:WORD_1 dst_unused:UNUSED_PAD src0_sel:WORD_1 src1_sel:DWORD
	v_cmp_lt_i32_e32 vcc_lo, v5, v6
	s_andn2_b32 s8, s8, exec_lo
	v_and_or_b32 v1, 0xffff, v1, v2
	s_and_b32 s10, vcc_lo, exec_lo
	s_or_b32 s8, s8, s10
; %bb.18:
	s_or_b32 exec_lo, exec_lo, s9
	s_and_saveexec_b32 s10, s8
	s_cbranch_execz .LBB118_22
; %bb.19:
	v_lshrrev_b32_e32 v2, 8, v0
	v_perm_b32 v3, 0, v0, 0xc0c0001
	v_and_b32_e32 v9, 0xff, v0
	v_lshrrev_b32_e32 v12, 8, v1
	v_and_b32_e32 v15, 0xff, v1
	v_and_b32_e32 v10, 0xff, v2
	v_and_or_b32 v2, 0xffff0000, v0, v3
	v_perm_b32 v11, v1, v1, 0x7060405
	v_and_b32_e32 v12, 0xff, v12
	v_cmp_lt_u16_e32 vcc_lo, v10, v9
	v_cndmask_b32_e32 v0, v0, v2, vcc_lo
	v_lshrrev_b32_e32 v2, 16, v0
	v_lshrrev_b32_e32 v13, 24, v0
	v_perm_b32 v3, 0, v2, 0xc0c0001
	v_and_b32_e32 v14, 0xff, v2
	v_mov_b32_e32 v2, 0xffffff00
	v_lshlrev_b32_e32 v3, 16, v3
	v_cmp_lt_u16_e32 vcc_lo, v13, v14
	v_min_u16 v16, v13, v14
	v_max_u16 v13, v13, v14
	v_and_or_b32 v3, 0xffff, v0, v3
	v_lshlrev_b16 v17, 8, v16
	v_cndmask_b32_e32 v0, v0, v3, vcc_lo
	v_cmp_lt_u16_e32 vcc_lo, v12, v15
	v_mov_b32_e32 v3, 0xff
	v_and_b32_sdwa v18, v0, v2 dst_sel:DWORD dst_unused:UNUSED_PAD src0_sel:WORD_1 src1_sel:DWORD
	v_cndmask_b32_e32 v1, v1, v11, vcc_lo
	v_max_u16 v11, v10, v9
	v_or_b32_sdwa v17, v0, v17 dst_sel:DWORD dst_unused:UNUSED_PAD src0_sel:BYTE_0 src1_sel:DWORD
	v_min_u16 v9, v10, v9
	v_lshrrev_b32_e32 v19, 24, v1
	v_and_b32_sdwa v20, v1, v3 dst_sel:DWORD dst_unused:UNUSED_PAD src0_sel:WORD_1 src1_sel:DWORD
	v_perm_b32 v21, v1, v1, 0x6070504
	v_or_b32_sdwa v18, v11, v18 dst_sel:WORD_1 dst_unused:UNUSED_PAD src0_sel:DWORD src1_sel:DWORD
	v_min_u16 v23, v16, v11
	v_cmp_lt_u16_e32 vcc_lo, v19, v20
	v_or_b32_sdwa v17, v17, v18 dst_sel:DWORD dst_unused:UNUSED_PAD src0_sel:WORD_0 src1_sel:DWORD
	v_min_u16 v18, v12, v15
	v_max_u16 v12, v12, v15
	v_cndmask_b32_e32 v1, v1, v21, vcc_lo
	v_cmp_lt_u16_e32 vcc_lo, v16, v11
	v_lshlrev_b16 v15, 8, v9
	v_lshlrev_b16 v10, 8, v18
	v_min_u16 v21, v19, v20
	v_and_b32_e32 v14, 0xffffff00, v1
	v_cndmask_b32_e32 v0, v0, v17, vcc_lo
	v_cmp_lt_u16_e32 vcc_lo, v18, v13
	v_or_b32_e32 v15, v23, v15
	v_max_u16 v11, v16, v11
	v_or_b32_e32 v14, v13, v14
	v_and_b32_sdwa v17, v0, v3 dst_sel:DWORD dst_unused:UNUSED_PAD src0_sel:WORD_1 src1_sel:DWORD
	v_max_u16 v24, v18, v13
	v_max_u16 v22, v21, v12
	v_cmp_lt_u16_e64 s8, v21, v12
	v_and_b32_e32 v14, 0xffff, v14
	v_or_b32_sdwa v10, v17, v10 dst_sel:WORD_1 dst_unused:UNUSED_PAD src0_sel:DWORD src1_sel:DWORD
	v_lshlrev_b16 v17, 8, v21
	v_lshlrev_b16 v25, 8, v24
	v_and_or_b32 v14, 0xffff0000, v1, v14
	v_and_or_b32 v10, 0xffff, v0, v10
	v_cndmask_b32_e32 v1, v1, v14, vcc_lo
	v_cndmask_b32_e32 v0, v0, v10, vcc_lo
	v_min_u16 v10, v18, v13
	v_and_b32_e32 v14, 0xffff, v15
	v_lshlrev_b16 v13, 8, v11
	v_and_b32_sdwa v18, v1, v2 dst_sel:DWORD dst_unused:UNUSED_PAD src0_sel:WORD_1 src1_sel:DWORD
	v_min_u16 v15, v21, v12
	v_or_b32_sdwa v17, v1, v17 dst_sel:DWORD dst_unused:UNUSED_PAD src0_sel:BYTE_0 src1_sel:DWORD
	v_and_or_b32 v14, 0xffff0000, v0, v14
	v_cmp_lt_u16_e32 vcc_lo, v16, v9
	v_or_b32_sdwa v18, v12, v18 dst_sel:WORD_1 dst_unused:UNUSED_PAD src0_sel:DWORD src1_sel:DWORD
	v_or_b32_sdwa v13, v10, v13 dst_sel:WORD_1 dst_unused:UNUSED_PAD src0_sel:DWORD src1_sel:DWORD
	v_or_b32_e32 v25, v15, v25
	v_cndmask_b32_e32 v0, v0, v14, vcc_lo
	v_or_b32_sdwa v16, v17, v18 dst_sel:DWORD dst_unused:UNUSED_PAD src0_sel:WORD_0 src1_sel:DWORD
	v_max_u16 v14, v19, v20
	v_lshlrev_b16 v17, 8, v22
	v_and_b32_e32 v18, 0xffff, v25
	v_and_or_b32 v13, 0xffff, v0, v13
	v_cndmask_b32_e64 v1, v1, v16, s8
	v_cmp_lt_u16_e64 s8, v10, v11
	v_min_u16 v16, v10, v11
	v_cndmask_b32_e32 v19, v23, v9, vcc_lo
	v_max_u16 v10, v10, v11
	v_cndmask_b32_e32 v9, v9, v23, vcc_lo
	v_cndmask_b32_e64 v0, v0, v13, s8
	v_or_b32_sdwa v13, v14, v17 dst_sel:WORD_1 dst_unused:UNUSED_PAD src0_sel:DWORD src1_sel:DWORD
	v_and_or_b32 v17, 0xffff0000, v1, v18
	v_cmp_lt_u16_e64 s8, v15, v24
	v_lshlrev_b16 v18, 8, v16
	v_and_b32_sdwa v20, v0, v2 dst_sel:DWORD dst_unused:UNUSED_PAD src0_sel:WORD_1 src1_sel:DWORD
	v_cmp_lt_u16_e64 s9, v16, v19
	v_min_u16 v21, v16, v19
	v_cndmask_b32_e64 v1, v1, v17, s8
	v_cmp_gt_u16_e64 s8, v12, v14
	v_or_b32_sdwa v17, v0, v18 dst_sel:DWORD dst_unused:UNUSED_PAD src0_sel:BYTE_0 src1_sel:DWORD
	v_or_b32_sdwa v18, v19, v20 dst_sel:WORD_1 dst_unused:UNUSED_PAD src0_sel:DWORD src1_sel:DWORD
	v_min_u16 v12, v15, v24
	v_and_or_b32 v13, 0xffff, v1, v13
	v_lshlrev_b16 v23, 8, v9
	v_or_b32_sdwa v17, v17, v18 dst_sel:DWORD dst_unused:UNUSED_PAD src0_sel:WORD_0 src1_sel:DWORD
	v_max_u16 v18, v12, v10
	v_cndmask_b32_e64 v1, v1, v13, s8
	v_max_u16 v13, v15, v24
	v_lshlrev_b16 v15, 8, v12
	v_cndmask_b32_e64 v0, v0, v17, s9
	v_min_u16 v20, v12, v10
	v_and_b32_e32 v11, 0xffffff00, v1
	v_cmp_lt_u16_e32 vcc_lo, v12, v10
	v_or_b32_e32 v12, v21, v23
	v_and_b32_sdwa v17, v0, v3 dst_sel:DWORD dst_unused:UNUSED_PAD src0_sel:WORD_1 src1_sel:DWORD
	v_or_b32_e32 v11, v10, v11
	v_and_b32_e32 v12, 0xffff, v12
	v_or_b32_sdwa v15, v17, v15 dst_sel:WORD_1 dst_unused:UNUSED_PAD src0_sel:DWORD src1_sel:DWORD
	v_lshlrev_b16 v17, 8, v18
	v_and_b32_e32 v11, 0xffff, v11
	v_and_or_b32 v15, 0xffff, v0, v15
	v_and_or_b32 v10, 0xffff0000, v1, v11
	v_max_u16 v11, v16, v19
	v_cndmask_b32_e64 v16, v22, v14, s8
	v_cndmask_b32_e32 v0, v0, v15, vcc_lo
	v_cndmask_b32_e32 v1, v1, v10, vcc_lo
	v_lshlrev_b16 v10, 8, v11
	v_lshlrev_b16 v19, 8, v16
	v_min_u16 v24, v16, v13
	v_and_or_b32 v12, 0xffff0000, v0, v12
	v_and_b32_sdwa v23, v1, v2 dst_sel:DWORD dst_unused:UNUSED_PAD src0_sel:WORD_1 src1_sel:DWORD
	v_cmp_lt_u16_e32 vcc_lo, v21, v9
	v_or_b32_sdwa v19, v1, v19 dst_sel:DWORD dst_unused:UNUSED_PAD src0_sel:BYTE_0 src1_sel:DWORD
	v_or_b32_sdwa v10, v20, v10 dst_sel:WORD_1 dst_unused:UNUSED_PAD src0_sel:DWORD src1_sel:DWORD
	v_or_b32_e32 v17, v24, v17
	v_or_b32_sdwa v23, v13, v23 dst_sel:WORD_1 dst_unused:UNUSED_PAD src0_sel:DWORD src1_sel:DWORD
	v_cndmask_b32_e32 v0, v0, v12, vcc_lo
	v_cndmask_b32_e64 v12, v14, v22, s8
	v_cmp_lt_u16_e32 vcc_lo, v16, v13
	v_and_b32_e32 v17, 0xffff, v17
	v_or_b32_sdwa v14, v19, v23 dst_sel:DWORD dst_unused:UNUSED_PAD src0_sel:WORD_0 src1_sel:DWORD
	v_max_u16 v19, v16, v13
	v_and_or_b32 v10, 0xffff, v0, v10
	v_min_u16 v15, v20, v11
	v_cndmask_b32_e32 v1, v1, v14, vcc_lo
	v_cmp_lt_u16_e32 vcc_lo, v20, v11
	v_lshlrev_b16 v13, 8, v19
	v_lshlrev_b16 v16, 8, v15
	v_max_u16 v11, v20, v11
	v_and_or_b32 v14, 0xffff0000, v1, v17
	v_cndmask_b32_e32 v0, v0, v10, vcc_lo
	v_cmp_lt_u16_e32 vcc_lo, v24, v18
	v_or_b32_sdwa v13, v12, v13 dst_sel:WORD_1 dst_unused:UNUSED_PAD src0_sel:DWORD src1_sel:DWORD
	v_max_u16 v10, v21, v9
	v_min_u16 v9, v21, v9
	v_and_b32_sdwa v17, v0, v2 dst_sel:DWORD dst_unused:UNUSED_PAD src0_sel:WORD_1 src1_sel:DWORD
	v_cndmask_b32_e32 v1, v1, v14, vcc_lo
	v_cmp_lt_u16_e32 vcc_lo, v12, v19
	v_or_b32_sdwa v14, v0, v16 dst_sel:DWORD dst_unused:UNUSED_PAD src0_sel:BYTE_0 src1_sel:DWORD
	v_min_u16 v22, v12, v19
	v_or_b32_sdwa v16, v10, v17 dst_sel:WORD_1 dst_unused:UNUSED_PAD src0_sel:DWORD src1_sel:DWORD
	v_and_or_b32 v13, 0xffff, v1, v13
	v_lshlrev_b16 v17, 8, v9
	v_max_u16 v12, v12, v19
	v_or_b32_sdwa v14, v14, v16 dst_sel:DWORD dst_unused:UNUSED_PAD src0_sel:WORD_0 src1_sel:DWORD
	v_cndmask_b32_e32 v1, v1, v13, vcc_lo
	v_cmp_lt_u16_e32 vcc_lo, v15, v10
	v_min_u16 v13, v24, v18
	v_max_u16 v18, v24, v18
	v_and_b32_e32 v16, 0xffffff00, v1
	v_cndmask_b32_e32 v0, v0, v14, vcc_lo
	v_lshlrev_b16 v20, 8, v13
	v_min_u16 v14, v15, v10
	v_cmp_lt_u16_e32 vcc_lo, v13, v11
	v_or_b32_e32 v16, v11, v16
	v_and_b32_sdwa v21, v0, v3 dst_sel:DWORD dst_unused:UNUSED_PAD src0_sel:WORD_1 src1_sel:DWORD
	v_max_u16 v10, v15, v10
	v_or_b32_e32 v17, v14, v17
	v_max_u16 v23, v13, v11
	v_and_b32_e32 v16, 0xffff, v16
	v_or_b32_sdwa v20, v21, v20 dst_sel:WORD_1 dst_unused:UNUSED_PAD src0_sel:DWORD src1_sel:DWORD
	v_min_u16 v11, v13, v11
	v_and_b32_e32 v17, 0xffff, v17
	v_lshlrev_b16 v13, 8, v22
	v_and_or_b32 v16, 0xffff0000, v1, v16
	v_and_or_b32 v20, 0xffff, v0, v20
	v_lshlrev_b16 v21, 8, v10
	v_lshlrev_b16 v25, 8, v23
	v_cmp_lt_u16_e64 s8, v22, v18
	v_cndmask_b32_e32 v1, v1, v16, vcc_lo
	v_cndmask_b32_e32 v0, v0, v20, vcc_lo
	v_min_u16 v20, v22, v18
	v_cmp_lt_u16_e32 vcc_lo, v15, v9
	v_or_b32_sdwa v21, v11, v21 dst_sel:WORD_1 dst_unused:UNUSED_PAD src0_sel:DWORD src1_sel:DWORD
	v_and_b32_sdwa v24, v1, v2 dst_sel:DWORD dst_unused:UNUSED_PAD src0_sel:WORD_1 src1_sel:DWORD
	v_and_or_b32 v17, 0xffff0000, v0, v17
	v_or_b32_sdwa v13, v1, v13 dst_sel:DWORD dst_unused:UNUSED_PAD src0_sel:BYTE_0 src1_sel:DWORD
	v_or_b32_e32 v25, v20, v25
	v_max_u16 v16, v22, v18
	v_or_b32_sdwa v24, v18, v24 dst_sel:WORD_1 dst_unused:UNUSED_PAD src0_sel:DWORD src1_sel:DWORD
	v_cndmask_b32_e32 v0, v0, v17, vcc_lo
	v_cndmask_b32_e32 v9, v14, v9, vcc_lo
	v_and_b32_e32 v17, 0xffff, v25
	v_lshlrev_b16 v15, 8, v16
	v_or_b32_sdwa v13, v13, v24 dst_sel:DWORD dst_unused:UNUSED_PAD src0_sel:WORD_0 src1_sel:DWORD
	v_and_or_b32 v19, 0xffff, v0, v21
	v_cmp_lt_u16_e32 vcc_lo, v20, v23
	v_or_b32_sdwa v15, v12, v15 dst_sel:WORD_1 dst_unused:UNUSED_PAD src0_sel:DWORD src1_sel:DWORD
	v_cndmask_b32_e64 v1, v1, v13, s8
	v_cmp_lt_u16_e64 s8, v11, v10
	v_min_u16 v13, v11, v10
	v_and_or_b32 v17, 0xffff0000, v1, v17
	v_cndmask_b32_e64 v0, v0, v19, s8
	v_lshlrev_b16 v19, 8, v13
	v_cmp_lt_u16_e64 s8, v13, v9
	v_cndmask_b32_e32 v1, v1, v17, vcc_lo
	v_and_b32_sdwa v14, v0, v2 dst_sel:DWORD dst_unused:UNUSED_PAD src0_sel:WORD_1 src1_sel:DWORD
	v_or_b32_sdwa v17, v0, v19 dst_sel:DWORD dst_unused:UNUSED_PAD src0_sel:BYTE_0 src1_sel:DWORD
	v_cmp_gt_u16_e32 vcc_lo, v18, v12
	v_and_or_b32 v15, 0xffff, v1, v15
	v_or_b32_sdwa v14, v9, v14 dst_sel:WORD_1 dst_unused:UNUSED_PAD src0_sel:DWORD src1_sel:DWORD
	v_max_u16 v9, v11, v10
	v_cndmask_b32_e32 v1, v1, v15, vcc_lo
	v_or_b32_sdwa v14, v17, v14 dst_sel:DWORD dst_unused:UNUSED_PAD src0_sel:WORD_0 src1_sel:DWORD
	v_min_u16 v15, v20, v23
	v_and_b32_e32 v10, 0xffffff00, v1
	v_cndmask_b32_e64 v0, v0, v14, s8
	v_lshlrev_b16 v11, 8, v15
	v_cmp_lt_u16_e64 s8, v15, v9
	v_or_b32_e32 v10, v9, v10
	v_and_b32_sdwa v3, v0, v3 dst_sel:DWORD dst_unused:UNUSED_PAD src0_sel:WORD_1 src1_sel:DWORD
	v_cndmask_b32_e32 v9, v16, v12, vcc_lo
	v_and_b32_e32 v10, 0xffff, v10
	v_or_b32_sdwa v11, v3, v11 dst_sel:WORD_1 dst_unused:UNUSED_PAD src0_sel:DWORD src1_sel:DWORD
	v_max_u16 v3, v20, v23
	v_and_or_b32 v10, 0xffff0000, v1, v10
	v_and_or_b32 v11, 0xffff, v0, v11
	v_cndmask_b32_e64 v1, v1, v10, s8
	v_cndmask_b32_e64 v0, v0, v11, s8
	s_mov_b32 s8, exec_lo
	v_cmpx_lt_u16_e64 v9, v3
; %bb.20:
	v_and_b32_sdwa v2, v1, v2 dst_sel:DWORD dst_unused:UNUSED_PAD src0_sel:WORD_1 src1_sel:DWORD
	v_lshlrev_b16 v9, 8, v9
	v_or_b32_sdwa v2, v3, v2 dst_sel:WORD_1 dst_unused:UNUSED_PAD src0_sel:BYTE_0 src1_sel:DWORD
	v_or_b32_sdwa v1, v1, v9 dst_sel:DWORD dst_unused:UNUSED_PAD src0_sel:BYTE_0 src1_sel:DWORD
	v_or_b32_sdwa v1, v1, v2 dst_sel:DWORD dst_unused:UNUSED_PAD src0_sel:WORD_0 src1_sel:DWORD
; %bb.21:
	s_or_b32 exec_lo, exec_lo, s8
.LBB118_22:
	s_or_b32 exec_lo, exec_lo, s10
	v_and_b32_e32 v2, 0x70, v7
	v_and_b32_e32 v11, 8, v7
	v_mad_u32_u24 v14, 0x81, v8, v5
	s_mov_b32 s9, 0
	s_mov_b32 s8, exec_lo
	v_min_i32_e32 v10, v6, v2
	v_min_i32_e32 v11, v6, v11
	; wave barrier
	ds_write_b64 v14, v[0:1]
	v_add_nc_u32_e32 v2, 8, v10
	; wave barrier
	v_min_i32_e32 v3, v6, v2
	v_add_nc_u32_e32 v2, 8, v3
	v_sub_nc_u32_e32 v13, v3, v10
	v_min_i32_e32 v9, v6, v2
	v_min_i32_e32 v13, v11, v13
	v_sub_nc_u32_e32 v2, v9, v3
	v_sub_nc_u32_e32 v12, v11, v2
	v_cmp_ge_i32_e32 vcc_lo, v11, v2
	v_mul_u32_u24_e32 v2, 0x81, v8
	v_cndmask_b32_e32 v12, 0, v12, vcc_lo
	v_cmpx_lt_i32_e64 v12, v13
	s_cbranch_execz .LBB118_26
; %bb.23:
	v_add_nc_u32_e32 v0, v2, v10
	v_add3_u32 v1, v2, v3, v11
	.p2align	6
.LBB118_24:                             ; =>This Inner Loop Header: Depth=1
	v_sub_nc_u32_e32 v8, v13, v12
	v_lshrrev_b32_e32 v8, 1, v8
	v_add_nc_u32_e32 v8, v8, v12
	v_add_nc_u32_e32 v14, v0, v8
	v_xad_u32 v15, v8, -1, v1
	v_add_nc_u32_e32 v16, 1, v8
	ds_read_u8 v14, v14
	ds_read_u8 v15, v15
	s_waitcnt lgkmcnt(0)
	v_cmp_lt_u16_e32 vcc_lo, v15, v14
	v_cndmask_b32_e32 v13, v13, v8, vcc_lo
	v_cndmask_b32_e32 v12, v16, v12, vcc_lo
	v_cmp_ge_i32_e32 vcc_lo, v12, v13
	s_or_b32 s9, vcc_lo, s9
	s_andn2_b32 exec_lo, exec_lo, s9
	s_cbranch_execnz .LBB118_24
; %bb.25:
	s_or_b32 exec_lo, exec_lo, s9
.LBB118_26:
	s_or_b32 exec_lo, exec_lo, s8
	v_add_nc_u32_e32 v0, v3, v11
	v_add_nc_u32_e32 v11, v12, v10
                                        ; implicit-def: $vgpr8
	v_sub_nc_u32_e32 v12, v0, v12
	v_add_nc_u32_e32 v10, v2, v11
	v_cmp_le_i32_e32 vcc_lo, v3, v11
	v_add_nc_u32_e32 v13, v2, v12
	v_cmp_gt_i32_e64 s8, v9, v12
	ds_read_u8 v0, v10
	ds_read_u8 v1, v13
	s_waitcnt lgkmcnt(0)
	v_cmp_lt_u16_sdwa s9, v1, v0 src0_sel:BYTE_0 src1_sel:BYTE_0
	s_or_b32 s9, vcc_lo, s9
	s_and_b32 s8, s8, s9
	s_xor_b32 s9, s8, -1
	s_and_saveexec_b32 s10, s9
	s_xor_b32 s9, exec_lo, s10
; %bb.27:
	ds_read_u8 v8, v10 offset:1
                                        ; implicit-def: $vgpr13
; %bb.28:
	s_or_saveexec_b32 s9, s9
	v_mov_b32_e32 v10, v1
	s_xor_b32 exec_lo, exec_lo, s9
	s_cbranch_execz .LBB118_30
; %bb.29:
	ds_read_u8 v10, v13 offset:1
	s_waitcnt lgkmcnt(1)
	v_mov_b32_e32 v8, v0
.LBB118_30:
	s_or_b32 exec_lo, exec_lo, s9
	v_add_nc_u32_e32 v13, 1, v11
	v_add_nc_u32_e32 v15, 1, v12
	s_waitcnt lgkmcnt(0)
	v_cmp_lt_u16_sdwa s10, v10, v8 src0_sel:BYTE_0 src1_sel:BYTE_0
	v_cndmask_b32_e64 v14, v13, v11, s8
	v_cndmask_b32_e64 v13, v12, v15, s8
                                        ; implicit-def: $vgpr11
	v_cmp_ge_i32_e32 vcc_lo, v14, v3
	v_cmp_lt_i32_e64 s9, v13, v9
	s_or_b32 s10, vcc_lo, s10
	s_and_b32 s9, s9, s10
	s_xor_b32 s10, s9, -1
	s_and_saveexec_b32 s11, s10
	s_xor_b32 s10, exec_lo, s11
; %bb.31:
	v_add_nc_u32_e32 v11, v2, v14
	ds_read_u8 v11, v11 offset:1
; %bb.32:
	s_or_saveexec_b32 s10, s10
	v_mov_b32_e32 v12, v10
	s_xor_b32 exec_lo, exec_lo, s10
	s_cbranch_execz .LBB118_34
; %bb.33:
	s_waitcnt lgkmcnt(0)
	v_add_nc_u32_e32 v11, v2, v13
	ds_read_u8 v12, v11 offset:1
	v_mov_b32_e32 v11, v8
.LBB118_34:
	s_or_b32 exec_lo, exec_lo, s10
	v_add_nc_u32_e32 v15, 1, v14
	v_add_nc_u32_e32 v17, 1, v13
	s_waitcnt lgkmcnt(0)
	v_cmp_lt_u16_sdwa s11, v12, v11 src0_sel:BYTE_0 src1_sel:BYTE_0
	v_cndmask_b32_e64 v16, v15, v14, s9
	v_cndmask_b32_e64 v15, v13, v17, s9
                                        ; implicit-def: $vgpr13
	v_cmp_ge_i32_e32 vcc_lo, v16, v3
	v_cmp_lt_i32_e64 s10, v15, v9
	s_or_b32 s11, vcc_lo, s11
	s_and_b32 s10, s10, s11
	s_xor_b32 s11, s10, -1
	s_and_saveexec_b32 s12, s11
	s_xor_b32 s11, exec_lo, s12
; %bb.35:
	v_add_nc_u32_e32 v13, v2, v16
	ds_read_u8 v13, v13 offset:1
; %bb.36:
	s_or_saveexec_b32 s11, s11
	v_mov_b32_e32 v14, v12
	s_xor_b32 exec_lo, exec_lo, s11
	s_cbranch_execz .LBB118_38
; %bb.37:
	s_waitcnt lgkmcnt(0)
	v_add_nc_u32_e32 v13, v2, v15
	ds_read_u8 v14, v13 offset:1
	v_mov_b32_e32 v13, v11
.LBB118_38:
	s_or_b32 exec_lo, exec_lo, s11
	v_add_nc_u32_e32 v17, 1, v16
	v_add_nc_u32_e32 v19, 1, v15
	s_waitcnt lgkmcnt(0)
	v_cmp_lt_u16_sdwa s12, v14, v13 src0_sel:BYTE_0 src1_sel:BYTE_0
	v_cndmask_b32_e64 v18, v17, v16, s10
	v_cndmask_b32_e64 v17, v15, v19, s10
                                        ; implicit-def: $vgpr15
	v_cmp_ge_i32_e32 vcc_lo, v18, v3
	v_cmp_lt_i32_e64 s11, v17, v9
	s_or_b32 s12, vcc_lo, s12
	s_and_b32 s11, s11, s12
	s_xor_b32 s12, s11, -1
	s_and_saveexec_b32 s13, s12
	s_xor_b32 s12, exec_lo, s13
; %bb.39:
	v_add_nc_u32_e32 v15, v2, v18
	ds_read_u8 v15, v15 offset:1
; %bb.40:
	s_or_saveexec_b32 s12, s12
	v_mov_b32_e32 v16, v14
	s_xor_b32 exec_lo, exec_lo, s12
	s_cbranch_execz .LBB118_42
; %bb.41:
	s_waitcnt lgkmcnt(0)
	v_add_nc_u32_e32 v15, v2, v17
	ds_read_u8 v16, v15 offset:1
	v_mov_b32_e32 v15, v13
.LBB118_42:
	s_or_b32 exec_lo, exec_lo, s12
	v_add_nc_u32_e32 v19, 1, v18
	v_add_nc_u32_e32 v21, 1, v17
	s_waitcnt lgkmcnt(0)
	v_cmp_lt_u16_sdwa s13, v16, v15 src0_sel:BYTE_0 src1_sel:BYTE_0
	v_cndmask_b32_e64 v20, v19, v18, s11
	v_cndmask_b32_e64 v19, v17, v21, s11
                                        ; implicit-def: $vgpr17
	v_cmp_ge_i32_e32 vcc_lo, v20, v3
	v_cmp_lt_i32_e64 s12, v19, v9
	s_or_b32 s13, vcc_lo, s13
	s_and_b32 s12, s12, s13
	s_xor_b32 s13, s12, -1
	s_and_saveexec_b32 s14, s13
	s_xor_b32 s13, exec_lo, s14
; %bb.43:
	v_add_nc_u32_e32 v17, v2, v20
	ds_read_u8 v17, v17 offset:1
; %bb.44:
	s_or_saveexec_b32 s13, s13
	v_mov_b32_e32 v18, v16
	s_xor_b32 exec_lo, exec_lo, s13
	s_cbranch_execz .LBB118_46
; %bb.45:
	s_waitcnt lgkmcnt(0)
	v_add_nc_u32_e32 v17, v2, v19
	ds_read_u8 v18, v17 offset:1
	v_mov_b32_e32 v17, v15
.LBB118_46:
	s_or_b32 exec_lo, exec_lo, s13
	v_add_nc_u32_e32 v21, 1, v20
	v_add_nc_u32_e32 v22, 1, v19
	s_waitcnt lgkmcnt(0)
	v_cmp_lt_u16_sdwa s14, v18, v17 src0_sel:BYTE_0 src1_sel:BYTE_0
	v_cndmask_b32_e64 v21, v21, v20, s12
	v_cndmask_b32_e64 v22, v19, v22, s12
                                        ; implicit-def: $vgpr19
	v_cmp_ge_i32_e32 vcc_lo, v21, v3
	v_cmp_lt_i32_e64 s13, v22, v9
	s_or_b32 s14, vcc_lo, s14
	s_and_b32 vcc_lo, s13, s14
	s_xor_b32 s13, vcc_lo, -1
	s_and_saveexec_b32 s14, s13
	s_xor_b32 s13, exec_lo, s14
; %bb.47:
	v_add_nc_u32_e32 v19, v2, v21
	ds_read_u8 v19, v19 offset:1
; %bb.48:
	s_or_saveexec_b32 s13, s13
	v_mov_b32_e32 v20, v18
	s_xor_b32 exec_lo, exec_lo, s13
	s_cbranch_execz .LBB118_50
; %bb.49:
	s_waitcnt lgkmcnt(0)
	v_add_nc_u32_e32 v19, v2, v22
	ds_read_u8 v20, v19 offset:1
	v_mov_b32_e32 v19, v17
.LBB118_50:
	s_or_b32 exec_lo, exec_lo, s13
	v_add_nc_u32_e32 v23, 1, v21
	v_add_nc_u32_e32 v24, 1, v22
	s_waitcnt lgkmcnt(0)
	v_cmp_lt_u16_sdwa s15, v20, v19 src0_sel:BYTE_0 src1_sel:BYTE_0
	v_cndmask_b32_e32 v21, v23, v21, vcc_lo
	v_cndmask_b32_e32 v22, v22, v24, vcc_lo
                                        ; implicit-def: $vgpr23
	v_cmp_ge_i32_e64 s13, v21, v3
	v_cmp_lt_i32_e64 s14, v22, v9
	s_or_b32 s13, s13, s15
	s_and_b32 s13, s14, s13
	s_xor_b32 s14, s13, -1
	s_and_saveexec_b32 s15, s14
	s_xor_b32 s14, exec_lo, s15
; %bb.51:
	v_add_nc_u32_e32 v23, v2, v21
	ds_read_u8 v23, v23 offset:1
; %bb.52:
	s_or_saveexec_b32 s14, s14
	v_mov_b32_e32 v24, v20
	s_xor_b32 exec_lo, exec_lo, s14
	s_cbranch_execz .LBB118_54
; %bb.53:
	s_waitcnt lgkmcnt(0)
	v_add_nc_u32_e32 v23, v2, v22
	ds_read_u8 v24, v23 offset:1
	v_mov_b32_e32 v23, v19
.LBB118_54:
	s_or_b32 exec_lo, exec_lo, s14
	v_and_b32_e32 v25, 0x60, v7
	v_cndmask_b32_e64 v20, v19, v20, s13
	v_add_nc_u32_e32 v27, 1, v21
	v_add_nc_u32_e32 v26, 1, v22
	v_cndmask_b32_e64 v8, v8, v10, s9
	v_min_i32_e32 v19, v6, v25
	v_cndmask_b32_e64 v10, v0, v1, s8
	v_cndmask_b32_e64 v15, v15, v16, s12
	;; [unrolled: 1-line block ×4, first 2 shown]
	v_add_nc_u32_e32 v1, 16, v19
	v_cndmask_b32_e64 v12, v22, v26, s13
	s_waitcnt lgkmcnt(0)
	v_cmp_lt_u16_sdwa s10, v24, v23 src0_sel:BYTE_0 src1_sel:BYTE_0
	v_cmp_ge_i32_e64 s9, v16, v3
	v_cndmask_b32_sdwa v17, v17, v18, vcc_lo dst_sel:BYTE_1 dst_unused:UNUSED_PAD src0_sel:DWORD src1_sel:DWORD
	v_min_i32_e32 v1, v6, v1
	v_cmp_lt_i32_e64 s8, v12, v9
	s_mov_b32 vcc_lo, s11
	s_or_b32 s9, s9, s10
	v_cndmask_b32_sdwa v9, v13, v14, vcc_lo dst_sel:BYTE_1 dst_unused:UNUSED_PAD src0_sel:DWORD src1_sel:DWORD
	v_add_nc_u32_e32 v3, 16, v1
	s_and_b32 vcc_lo, s8, s9
	v_and_b32_e32 v21, 24, v7
	v_cndmask_b32_e32 v12, v23, v24, vcc_lo
	v_lshlrev_b16 v13, 8, v8
	v_min_i32_e32 v3, v6, v3
	v_or_b32_sdwa v9, v11, v9 dst_sel:WORD_1 dst_unused:UNUSED_PAD src0_sel:BYTE_0 src1_sel:DWORD
	v_min_i32_e32 v8, v6, v21
	v_lshlrev_b16 v11, 8, v12
	v_or_b32_sdwa v10, v10, v13 dst_sel:DWORD dst_unused:UNUSED_PAD src0_sel:BYTE_0 src1_sel:DWORD
	v_sub_nc_u32_e32 v14, v3, v1
	v_or_b32_sdwa v12, v15, v17 dst_sel:DWORD dst_unused:UNUSED_PAD src0_sel:BYTE_0 src1_sel:DWORD
	v_sub_nc_u32_e32 v15, v1, v19
	v_or_b32_sdwa v16, v20, v11 dst_sel:WORD_1 dst_unused:UNUSED_PAD src0_sel:BYTE_0 src1_sel:DWORD
	v_add_nc_u32_e32 v0, v2, v5
	v_sub_nc_u32_e32 v13, v8, v14
	v_cmp_ge_i32_e32 vcc_lo, v8, v14
	v_or_b32_sdwa v11, v10, v9 dst_sel:DWORD dst_unused:UNUSED_PAD src0_sel:WORD_0 src1_sel:DWORD
	v_min_i32_e32 v10, v8, v15
	v_or_b32_sdwa v12, v12, v16 dst_sel:DWORD dst_unused:UNUSED_PAD src0_sel:WORD_0 src1_sel:DWORD
	s_mov_b32 s9, 0
	v_cndmask_b32_e32 v9, 0, v13, vcc_lo
	s_mov_b32 s8, exec_lo
	; wave barrier
	ds_write_b64 v0, v[11:12]
	; wave barrier
	v_cmpx_lt_i32_e64 v9, v10
	s_cbranch_execz .LBB118_58
; %bb.55:
	v_add_nc_u32_e32 v11, v2, v19
	v_add3_u32 v12, v2, v1, v8
	.p2align	6
.LBB118_56:                             ; =>This Inner Loop Header: Depth=1
	v_sub_nc_u32_e32 v13, v10, v9
	v_lshrrev_b32_e32 v13, 1, v13
	v_add_nc_u32_e32 v13, v13, v9
	v_add_nc_u32_e32 v14, v11, v13
	v_xad_u32 v15, v13, -1, v12
	v_add_nc_u32_e32 v16, 1, v13
	ds_read_u8 v14, v14
	ds_read_u8 v15, v15
	s_waitcnt lgkmcnt(0)
	v_cmp_lt_u16_e32 vcc_lo, v15, v14
	v_cndmask_b32_e32 v10, v10, v13, vcc_lo
	v_cndmask_b32_e32 v9, v16, v9, vcc_lo
	v_cmp_ge_i32_e32 vcc_lo, v9, v10
	s_or_b32 s9, vcc_lo, s9
	s_andn2_b32 exec_lo, exec_lo, s9
	s_cbranch_execnz .LBB118_56
; %bb.57:
	s_or_b32 exec_lo, exec_lo, s9
.LBB118_58:
	s_or_b32 exec_lo, exec_lo, s8
	v_add_nc_u32_e32 v8, v1, v8
	v_add_nc_u32_e32 v12, v9, v19
                                        ; implicit-def: $vgpr10
	v_sub_nc_u32_e32 v13, v8, v9
	v_add_nc_u32_e32 v11, v2, v12
	v_cmp_le_i32_e32 vcc_lo, v1, v12
	v_add_nc_u32_e32 v14, v2, v13
	v_cmp_gt_i32_e64 s8, v3, v13
	ds_read_u8 v8, v11
	ds_read_u8 v9, v14
	s_waitcnt lgkmcnt(0)
	v_cmp_lt_u16_sdwa s9, v9, v8 src0_sel:BYTE_0 src1_sel:BYTE_0
	s_or_b32 s9, vcc_lo, s9
	s_and_b32 s8, s8, s9
	s_xor_b32 s9, s8, -1
	s_and_saveexec_b32 s10, s9
	s_xor_b32 s9, exec_lo, s10
; %bb.59:
	ds_read_u8 v10, v11 offset:1
                                        ; implicit-def: $vgpr14
; %bb.60:
	s_or_saveexec_b32 s9, s9
	v_mov_b32_e32 v11, v9
	s_xor_b32 exec_lo, exec_lo, s9
	s_cbranch_execz .LBB118_62
; %bb.61:
	ds_read_u8 v11, v14 offset:1
	s_waitcnt lgkmcnt(1)
	v_mov_b32_e32 v10, v8
.LBB118_62:
	s_or_b32 exec_lo, exec_lo, s9
	v_add_nc_u32_e32 v14, 1, v12
	v_add_nc_u32_e32 v16, 1, v13
	s_waitcnt lgkmcnt(0)
	v_cmp_lt_u16_sdwa s10, v11, v10 src0_sel:BYTE_0 src1_sel:BYTE_0
	v_cndmask_b32_e64 v15, v14, v12, s8
	v_cndmask_b32_e64 v14, v13, v16, s8
                                        ; implicit-def: $vgpr12
	v_cmp_ge_i32_e32 vcc_lo, v15, v1
	v_cmp_lt_i32_e64 s9, v14, v3
	s_or_b32 s10, vcc_lo, s10
	s_and_b32 s9, s9, s10
	s_xor_b32 s10, s9, -1
	s_and_saveexec_b32 s11, s10
	s_xor_b32 s10, exec_lo, s11
; %bb.63:
	v_add_nc_u32_e32 v12, v2, v15
	ds_read_u8 v12, v12 offset:1
; %bb.64:
	s_or_saveexec_b32 s10, s10
	v_mov_b32_e32 v13, v11
	s_xor_b32 exec_lo, exec_lo, s10
	s_cbranch_execz .LBB118_66
; %bb.65:
	s_waitcnt lgkmcnt(0)
	v_add_nc_u32_e32 v12, v2, v14
	ds_read_u8 v13, v12 offset:1
	v_mov_b32_e32 v12, v10
.LBB118_66:
	s_or_b32 exec_lo, exec_lo, s10
	v_add_nc_u32_e32 v16, 1, v15
	v_add_nc_u32_e32 v18, 1, v14
	s_waitcnt lgkmcnt(0)
	v_cmp_lt_u16_sdwa s11, v13, v12 src0_sel:BYTE_0 src1_sel:BYTE_0
	v_cndmask_b32_e64 v17, v16, v15, s9
	v_cndmask_b32_e64 v16, v14, v18, s9
                                        ; implicit-def: $vgpr14
	v_cmp_ge_i32_e32 vcc_lo, v17, v1
	v_cmp_lt_i32_e64 s10, v16, v3
	s_or_b32 s11, vcc_lo, s11
	s_and_b32 s10, s10, s11
	s_xor_b32 s11, s10, -1
	s_and_saveexec_b32 s12, s11
	s_xor_b32 s11, exec_lo, s12
; %bb.67:
	v_add_nc_u32_e32 v14, v2, v17
	ds_read_u8 v14, v14 offset:1
; %bb.68:
	s_or_saveexec_b32 s11, s11
	v_mov_b32_e32 v15, v13
	s_xor_b32 exec_lo, exec_lo, s11
	s_cbranch_execz .LBB118_70
; %bb.69:
	s_waitcnt lgkmcnt(0)
	v_add_nc_u32_e32 v14, v2, v16
	ds_read_u8 v15, v14 offset:1
	v_mov_b32_e32 v14, v12
.LBB118_70:
	s_or_b32 exec_lo, exec_lo, s11
	v_add_nc_u32_e32 v18, 1, v17
	v_add_nc_u32_e32 v20, 1, v16
	s_waitcnt lgkmcnt(0)
	v_cmp_lt_u16_sdwa s12, v15, v14 src0_sel:BYTE_0 src1_sel:BYTE_0
	v_cndmask_b32_e64 v19, v18, v17, s10
	v_cndmask_b32_e64 v18, v16, v20, s10
                                        ; implicit-def: $vgpr16
	v_cmp_ge_i32_e32 vcc_lo, v19, v1
	v_cmp_lt_i32_e64 s11, v18, v3
	s_or_b32 s12, vcc_lo, s12
	s_and_b32 s11, s11, s12
	s_xor_b32 s12, s11, -1
	s_and_saveexec_b32 s13, s12
	s_xor_b32 s12, exec_lo, s13
; %bb.71:
	v_add_nc_u32_e32 v16, v2, v19
	ds_read_u8 v16, v16 offset:1
; %bb.72:
	s_or_saveexec_b32 s12, s12
	v_mov_b32_e32 v17, v15
	s_xor_b32 exec_lo, exec_lo, s12
	s_cbranch_execz .LBB118_74
; %bb.73:
	s_waitcnt lgkmcnt(0)
	v_add_nc_u32_e32 v16, v2, v18
	ds_read_u8 v17, v16 offset:1
	v_mov_b32_e32 v16, v14
.LBB118_74:
	s_or_b32 exec_lo, exec_lo, s12
	v_add_nc_u32_e32 v20, 1, v19
	v_add_nc_u32_e32 v22, 1, v18
	s_waitcnt lgkmcnt(0)
	v_cmp_lt_u16_sdwa s13, v17, v16 src0_sel:BYTE_0 src1_sel:BYTE_0
	v_cndmask_b32_e64 v21, v20, v19, s11
	v_cndmask_b32_e64 v20, v18, v22, s11
                                        ; implicit-def: $vgpr18
	v_cmp_ge_i32_e32 vcc_lo, v21, v1
	v_cmp_lt_i32_e64 s12, v20, v3
	s_or_b32 s13, vcc_lo, s13
	s_and_b32 s12, s12, s13
	s_xor_b32 s13, s12, -1
	s_and_saveexec_b32 s14, s13
	s_xor_b32 s13, exec_lo, s14
; %bb.75:
	v_add_nc_u32_e32 v18, v2, v21
	ds_read_u8 v18, v18 offset:1
; %bb.76:
	s_or_saveexec_b32 s13, s13
	v_mov_b32_e32 v19, v17
	s_xor_b32 exec_lo, exec_lo, s13
	s_cbranch_execz .LBB118_78
; %bb.77:
	s_waitcnt lgkmcnt(0)
	v_add_nc_u32_e32 v18, v2, v20
	ds_read_u8 v19, v18 offset:1
	v_mov_b32_e32 v18, v16
.LBB118_78:
	s_or_b32 exec_lo, exec_lo, s13
	v_add_nc_u32_e32 v22, 1, v21
	v_add_nc_u32_e32 v23, 1, v20
	s_waitcnt lgkmcnt(0)
	v_cmp_lt_u16_sdwa s14, v19, v18 src0_sel:BYTE_0 src1_sel:BYTE_0
	v_cndmask_b32_e64 v22, v22, v21, s12
	v_cndmask_b32_e64 v23, v20, v23, s12
                                        ; implicit-def: $vgpr20
	v_cmp_ge_i32_e32 vcc_lo, v22, v1
	v_cmp_lt_i32_e64 s13, v23, v3
	s_or_b32 s14, vcc_lo, s14
	s_and_b32 vcc_lo, s13, s14
	s_xor_b32 s13, vcc_lo, -1
	s_and_saveexec_b32 s14, s13
	s_xor_b32 s13, exec_lo, s14
; %bb.79:
	v_add_nc_u32_e32 v20, v2, v22
	ds_read_u8 v20, v20 offset:1
; %bb.80:
	s_or_saveexec_b32 s13, s13
	v_mov_b32_e32 v21, v19
	s_xor_b32 exec_lo, exec_lo, s13
	s_cbranch_execz .LBB118_82
; %bb.81:
	s_waitcnt lgkmcnt(0)
	v_add_nc_u32_e32 v20, v2, v23
	ds_read_u8 v21, v20 offset:1
	v_mov_b32_e32 v20, v18
.LBB118_82:
	s_or_b32 exec_lo, exec_lo, s13
	v_add_nc_u32_e32 v24, 1, v22
	v_add_nc_u32_e32 v25, 1, v23
	s_waitcnt lgkmcnt(0)
	v_cmp_lt_u16_sdwa s15, v21, v20 src0_sel:BYTE_0 src1_sel:BYTE_0
	v_cndmask_b32_e32 v22, v24, v22, vcc_lo
	v_cndmask_b32_e32 v23, v23, v25, vcc_lo
                                        ; implicit-def: $vgpr24
	v_cmp_ge_i32_e64 s13, v22, v1
	v_cmp_lt_i32_e64 s14, v23, v3
	s_or_b32 s13, s13, s15
	s_and_b32 s13, s14, s13
	s_xor_b32 s14, s13, -1
	s_and_saveexec_b32 s15, s14
	s_xor_b32 s14, exec_lo, s15
; %bb.83:
	v_add_nc_u32_e32 v24, v2, v22
	ds_read_u8 v24, v24 offset:1
; %bb.84:
	s_or_saveexec_b32 s14, s14
	v_mov_b32_e32 v25, v21
	s_xor_b32 exec_lo, exec_lo, s14
	s_cbranch_execz .LBB118_86
; %bb.85:
	s_waitcnt lgkmcnt(0)
	v_add_nc_u32_e32 v24, v2, v23
	ds_read_u8 v25, v24 offset:1
	v_mov_b32_e32 v24, v20
.LBB118_86:
	s_or_b32 exec_lo, exec_lo, s14
	v_and_b32_e32 v26, 64, v7
	v_cndmask_b32_e64 v21, v20, v21, s13
	v_add_nc_u32_e32 v27, 1, v23
	v_cndmask_b32_e64 v10, v10, v11, s9
	v_cndmask_b32_e64 v16, v16, v17, s12
	v_min_i32_e32 v20, v6, v26
	v_add_nc_u32_e32 v26, 1, v22
	v_cndmask_b32_e64 v12, v12, v13, s10
	v_cndmask_b32_e64 v13, v23, v27, s13
	v_cndmask_b32_e64 v9, v8, v9, s8
	v_add_nc_u32_e32 v11, 32, v20
	v_cndmask_b32_e64 v17, v26, v22, s13
	s_waitcnt lgkmcnt(0)
	v_cmp_lt_u16_sdwa s10, v25, v24 src0_sel:BYTE_0 src1_sel:BYTE_0
	v_cmp_lt_i32_e64 s8, v13, v3
	v_and_b32_e32 v7, 56, v7
	v_min_i32_e32 v8, v6, v11
	v_cmp_ge_i32_e64 s9, v17, v1
	v_cndmask_b32_sdwa v11, v18, v19, vcc_lo dst_sel:BYTE_1 dst_unused:UNUSED_PAD src0_sel:DWORD src1_sel:DWORD
	s_mov_b32 vcc_lo, s11
	v_lshlrev_b16 v10, 8, v10
	v_add_nc_u32_e32 v1, 32, v8
	s_or_b32 s9, s9, s10
	v_cndmask_b32_sdwa v13, v14, v15, vcc_lo dst_sel:BYTE_1 dst_unused:UNUSED_PAD src0_sel:DWORD src1_sel:DWORD
	s_and_b32 vcc_lo, s8, s9
	v_min_i32_e32 v3, v6, v7
	v_min_i32_e32 v1, v6, v1
	v_cndmask_b32_e32 v14, v24, v25, vcc_lo
	v_or_b32_sdwa v12, v12, v13 dst_sel:WORD_1 dst_unused:UNUSED_PAD src0_sel:BYTE_0 src1_sel:DWORD
	v_or_b32_sdwa v9, v9, v10 dst_sel:DWORD dst_unused:UNUSED_PAD src0_sel:BYTE_0 src1_sel:DWORD
	v_or_b32_sdwa v11, v16, v11 dst_sel:DWORD dst_unused:UNUSED_PAD src0_sel:BYTE_0 src1_sel:DWORD
	v_sub_nc_u32_e32 v7, v1, v8
	v_lshlrev_b16 v13, 8, v14
	v_sub_nc_u32_e32 v15, v8, v20
	v_or_b32_sdwa v10, v9, v12 dst_sel:DWORD dst_unused:UNUSED_PAD src0_sel:WORD_0 src1_sel:DWORD
	s_mov_b32 s9, 0
	v_sub_nc_u32_e32 v14, v3, v7
	v_or_b32_sdwa v13, v21, v13 dst_sel:WORD_1 dst_unused:UNUSED_PAD src0_sel:BYTE_0 src1_sel:DWORD
	v_cmp_ge_i32_e32 vcc_lo, v3, v7
	v_min_i32_e32 v9, v3, v15
	s_mov_b32 s8, exec_lo
	v_or_b32_sdwa v11, v11, v13 dst_sel:DWORD dst_unused:UNUSED_PAD src0_sel:WORD_0 src1_sel:DWORD
	v_cndmask_b32_e32 v7, 0, v14, vcc_lo
	; wave barrier
	ds_write_b64 v0, v[10:11]
	; wave barrier
	v_cmpx_lt_i32_e64 v7, v9
	s_cbranch_execz .LBB118_90
; %bb.87:
	v_add_nc_u32_e32 v10, v2, v20
	v_add3_u32 v11, v2, v8, v3
	.p2align	6
.LBB118_88:                             ; =>This Inner Loop Header: Depth=1
	v_sub_nc_u32_e32 v12, v9, v7
	v_lshrrev_b32_e32 v12, 1, v12
	v_add_nc_u32_e32 v12, v12, v7
	v_add_nc_u32_e32 v13, v10, v12
	v_xad_u32 v14, v12, -1, v11
	v_add_nc_u32_e32 v15, 1, v12
	ds_read_u8 v13, v13
	ds_read_u8 v14, v14
	s_waitcnt lgkmcnt(0)
	v_cmp_lt_u16_e32 vcc_lo, v14, v13
	v_cndmask_b32_e32 v9, v9, v12, vcc_lo
	v_cndmask_b32_e32 v7, v15, v7, vcc_lo
	v_cmp_ge_i32_e32 vcc_lo, v7, v9
	s_or_b32 s9, vcc_lo, s9
	s_andn2_b32 exec_lo, exec_lo, s9
	s_cbranch_execnz .LBB118_88
; %bb.89:
	s_or_b32 exec_lo, exec_lo, s9
.LBB118_90:
	s_or_b32 exec_lo, exec_lo, s8
	v_add_nc_u32_e32 v9, v8, v3
	v_add_nc_u32_e32 v3, v7, v20
                                        ; implicit-def: $vgpr10
	v_sub_nc_u32_e32 v12, v9, v7
	v_add_nc_u32_e32 v11, v2, v3
	v_cmp_le_i32_e32 vcc_lo, v8, v3
	v_add_nc_u32_e32 v13, v2, v12
	v_cmp_gt_i32_e64 s8, v1, v12
	ds_read_u8 v7, v11
	ds_read_u8 v9, v13
	s_waitcnt lgkmcnt(0)
	v_cmp_lt_u16_sdwa s9, v9, v7 src0_sel:BYTE_0 src1_sel:BYTE_0
	s_or_b32 s9, vcc_lo, s9
	s_and_b32 s8, s8, s9
	s_xor_b32 s9, s8, -1
	s_and_saveexec_b32 s10, s9
	s_xor_b32 s9, exec_lo, s10
; %bb.91:
	ds_read_u8 v10, v11 offset:1
                                        ; implicit-def: $vgpr13
; %bb.92:
	s_or_saveexec_b32 s9, s9
	v_mov_b32_e32 v11, v9
	s_xor_b32 exec_lo, exec_lo, s9
	s_cbranch_execz .LBB118_94
; %bb.93:
	ds_read_u8 v11, v13 offset:1
	s_waitcnt lgkmcnt(1)
	v_mov_b32_e32 v10, v7
.LBB118_94:
	s_or_b32 exec_lo, exec_lo, s9
	v_add_nc_u32_e32 v13, 1, v3
	v_add_nc_u32_e32 v15, 1, v12
	s_waitcnt lgkmcnt(0)
	v_cmp_lt_u16_sdwa s10, v11, v10 src0_sel:BYTE_0 src1_sel:BYTE_0
	v_cndmask_b32_e64 v14, v13, v3, s8
	v_cndmask_b32_e64 v3, v12, v15, s8
                                        ; implicit-def: $vgpr12
	v_cmp_ge_i32_e32 vcc_lo, v14, v8
	v_cmp_lt_i32_e64 s9, v3, v1
	s_or_b32 s10, vcc_lo, s10
	s_and_b32 s9, s9, s10
	s_xor_b32 s10, s9, -1
	s_and_saveexec_b32 s11, s10
	s_xor_b32 s10, exec_lo, s11
; %bb.95:
	v_add_nc_u32_e32 v12, v2, v14
	ds_read_u8 v12, v12 offset:1
; %bb.96:
	s_or_saveexec_b32 s10, s10
	v_mov_b32_e32 v13, v11
	s_xor_b32 exec_lo, exec_lo, s10
	s_cbranch_execz .LBB118_98
; %bb.97:
	s_waitcnt lgkmcnt(0)
	v_add_nc_u32_e32 v12, v2, v3
	ds_read_u8 v13, v12 offset:1
	v_mov_b32_e32 v12, v10
.LBB118_98:
	s_or_b32 exec_lo, exec_lo, s10
	v_add_nc_u32_e32 v15, 1, v14
	v_add_nc_u32_e32 v17, 1, v3
	s_waitcnt lgkmcnt(0)
	v_cmp_lt_u16_sdwa s11, v13, v12 src0_sel:BYTE_0 src1_sel:BYTE_0
	v_cndmask_b32_e64 v16, v15, v14, s9
	v_cndmask_b32_e64 v3, v3, v17, s9
                                        ; implicit-def: $vgpr14
	v_cmp_ge_i32_e32 vcc_lo, v16, v8
	v_cmp_lt_i32_e64 s10, v3, v1
	s_or_b32 s11, vcc_lo, s11
	s_and_b32 s10, s10, s11
	s_xor_b32 s11, s10, -1
	s_and_saveexec_b32 s12, s11
	s_xor_b32 s11, exec_lo, s12
; %bb.99:
	v_add_nc_u32_e32 v14, v2, v16
	ds_read_u8 v14, v14 offset:1
; %bb.100:
	s_or_saveexec_b32 s11, s11
	v_mov_b32_e32 v15, v13
	s_xor_b32 exec_lo, exec_lo, s11
	s_cbranch_execz .LBB118_102
; %bb.101:
	s_waitcnt lgkmcnt(0)
	v_add_nc_u32_e32 v14, v2, v3
	ds_read_u8 v15, v14 offset:1
	v_mov_b32_e32 v14, v12
.LBB118_102:
	s_or_b32 exec_lo, exec_lo, s11
	v_add_nc_u32_e32 v17, 1, v16
	v_add_nc_u32_e32 v19, 1, v3
	s_waitcnt lgkmcnt(0)
	v_cmp_lt_u16_sdwa s12, v15, v14 src0_sel:BYTE_0 src1_sel:BYTE_0
	v_cndmask_b32_e64 v18, v17, v16, s10
	v_cndmask_b32_e64 v17, v3, v19, s10
                                        ; implicit-def: $vgpr3
	v_cmp_ge_i32_e32 vcc_lo, v18, v8
	v_cmp_lt_i32_e64 s11, v17, v1
	s_or_b32 s12, vcc_lo, s12
	s_and_b32 s11, s11, s12
	s_xor_b32 s12, s11, -1
	s_and_saveexec_b32 s13, s12
	s_xor_b32 s12, exec_lo, s13
; %bb.103:
	v_add_nc_u32_e32 v3, v2, v18
	ds_read_u8 v3, v3 offset:1
; %bb.104:
	s_or_saveexec_b32 s12, s12
	v_mov_b32_e32 v16, v15
	s_xor_b32 exec_lo, exec_lo, s12
	s_cbranch_execz .LBB118_106
; %bb.105:
	s_waitcnt lgkmcnt(0)
	v_add_nc_u32_e32 v3, v2, v17
	ds_read_u8 v16, v3 offset:1
	v_mov_b32_e32 v3, v14
.LBB118_106:
	s_or_b32 exec_lo, exec_lo, s12
	v_add_nc_u32_e32 v19, 1, v18
	v_add_nc_u32_e32 v21, 1, v17
	s_waitcnt lgkmcnt(0)
	v_cmp_lt_u16_sdwa s13, v16, v3 src0_sel:BYTE_0 src1_sel:BYTE_0
	v_cndmask_b32_e64 v20, v19, v18, s11
	v_cndmask_b32_e64 v19, v17, v21, s11
                                        ; implicit-def: $vgpr17
	v_cmp_ge_i32_e32 vcc_lo, v20, v8
	v_cmp_lt_i32_e64 s12, v19, v1
	s_or_b32 s13, vcc_lo, s13
	s_and_b32 s12, s12, s13
	s_xor_b32 s13, s12, -1
	s_and_saveexec_b32 s14, s13
	s_xor_b32 s13, exec_lo, s14
; %bb.107:
	v_add_nc_u32_e32 v17, v2, v20
	ds_read_u8 v17, v17 offset:1
; %bb.108:
	s_or_saveexec_b32 s13, s13
	v_mov_b32_e32 v18, v16
	s_xor_b32 exec_lo, exec_lo, s13
	s_cbranch_execz .LBB118_110
; %bb.109:
	s_waitcnt lgkmcnt(0)
	v_add_nc_u32_e32 v17, v2, v19
	ds_read_u8 v18, v17 offset:1
	v_mov_b32_e32 v17, v3
.LBB118_110:
	s_or_b32 exec_lo, exec_lo, s13
	v_add_nc_u32_e32 v21, 1, v20
	v_add_nc_u32_e32 v23, 1, v19
	s_waitcnt lgkmcnt(0)
	v_cmp_lt_u16_sdwa s14, v18, v17 src0_sel:BYTE_0 src1_sel:BYTE_0
	v_cndmask_b32_e64 v22, v21, v20, s12
	v_cndmask_b32_e64 v20, v19, v23, s12
                                        ; implicit-def: $vgpr19
	v_cmp_ge_i32_e32 vcc_lo, v22, v8
	v_cmp_lt_i32_e64 s13, v20, v1
	s_or_b32 s14, vcc_lo, s14
	s_and_b32 vcc_lo, s13, s14
	s_xor_b32 s13, vcc_lo, -1
	s_and_saveexec_b32 s14, s13
	s_xor_b32 s13, exec_lo, s14
; %bb.111:
	v_add_nc_u32_e32 v19, v2, v22
	ds_read_u8 v19, v19 offset:1
; %bb.112:
	s_or_saveexec_b32 s13, s13
	v_mov_b32_e32 v21, v18
	s_xor_b32 exec_lo, exec_lo, s13
	s_cbranch_execz .LBB118_114
; %bb.113:
	s_waitcnt lgkmcnt(0)
	v_add_nc_u32_e32 v19, v2, v20
	ds_read_u8 v21, v19 offset:1
	v_mov_b32_e32 v19, v17
.LBB118_114:
	s_or_b32 exec_lo, exec_lo, s13
	v_add_nc_u32_e32 v23, 1, v22
	v_add_nc_u32_e32 v24, 1, v20
	s_waitcnt lgkmcnt(0)
	v_cmp_lt_u16_sdwa s15, v21, v19 src0_sel:BYTE_0 src1_sel:BYTE_0
	v_cndmask_b32_e32 v22, v23, v22, vcc_lo
	v_cndmask_b32_e32 v24, v20, v24, vcc_lo
                                        ; implicit-def: $vgpr23
	v_cmp_ge_i32_e64 s13, v22, v8
	v_cmp_lt_i32_e64 s14, v24, v1
	s_or_b32 s13, s13, s15
	s_and_b32 s13, s14, s13
	s_xor_b32 s14, s13, -1
	s_and_saveexec_b32 s15, s14
	s_xor_b32 s14, exec_lo, s15
; %bb.115:
	v_add_nc_u32_e32 v20, v2, v22
	ds_read_u8 v23, v20 offset:1
; %bb.116:
	s_or_saveexec_b32 s14, s14
	v_mov_b32_e32 v25, v21
	s_xor_b32 exec_lo, exec_lo, s14
	s_cbranch_execz .LBB118_118
; %bb.117:
	v_add_nc_u32_e32 v20, v2, v24
	s_waitcnt lgkmcnt(0)
	v_mov_b32_e32 v23, v19
	ds_read_u8 v25, v20 offset:1
.LBB118_118:
	s_or_b32 exec_lo, exec_lo, s14
	v_min_i32_e32 v20, 0, v6
	v_cndmask_b32_e64 v19, v19, v21, s13
	v_add_nc_u32_e32 v21, 1, v24
	v_add_nc_u32_e32 v26, 1, v22
	v_cndmask_b32_sdwa v17, v17, v18, vcc_lo dst_sel:BYTE_1 dst_unused:UNUSED_PAD src0_sel:DWORD src1_sel:DWORD
	v_add_nc_u32_e32 v27, 64, v20
	s_mov_b32 vcc_lo, s11
	v_cndmask_b32_e64 v18, v24, v21, s13
	v_cndmask_b32_e64 v21, v26, v22, s13
	;; [unrolled: 1-line block ×3, first 2 shown]
	v_min_i32_e32 v3, v6, v27
	v_cndmask_b32_sdwa v14, v14, v15, vcc_lo dst_sel:BYTE_1 dst_unused:UNUSED_PAD src0_sel:DWORD src1_sel:DWORD
	s_waitcnt lgkmcnt(0)
	v_cmp_lt_u16_sdwa s11, v25, v23 src0_sel:BYTE_0 src1_sel:BYTE_0
	v_cmp_ge_i32_e32 vcc_lo, v21, v8
	v_cndmask_b32_e64 v8, v10, v11, s9
	v_cmp_lt_i32_e64 s9, v18, v1
	v_add_nc_u32_e32 v10, 64, v3
	v_cndmask_b32_e64 v9, v7, v9, s8
	s_or_b32 s8, vcc_lo, s11
	v_lshlrev_b16 v8, 8, v8
	s_and_b32 vcc_lo, s9, s8
	v_min_i32_e32 v7, v6, v10
	v_cndmask_b32_e32 v10, v23, v25, vcc_lo
	v_cndmask_b32_e64 v11, v12, v13, s10
	v_min_i32_e32 v1, v6, v5
	v_or_b32_sdwa v8, v9, v8 dst_sel:DWORD dst_unused:UNUSED_PAD src0_sel:BYTE_0 src1_sel:DWORD
	v_sub_nc_u32_e32 v6, v7, v3
	v_lshlrev_b16 v9, 8, v10
	v_or_b32_sdwa v10, v11, v14 dst_sel:WORD_1 dst_unused:UNUSED_PAD src0_sel:BYTE_0 src1_sel:DWORD
	v_or_b32_sdwa v11, v16, v17 dst_sel:DWORD dst_unused:UNUSED_PAD src0_sel:BYTE_0 src1_sel:DWORD
	v_sub_nc_u32_e32 v13, v3, v20
	v_sub_nc_u32_e32 v12, v1, v6
	v_or_b32_sdwa v14, v19, v9 dst_sel:WORD_1 dst_unused:UNUSED_PAD src0_sel:BYTE_0 src1_sel:DWORD
	v_cmp_ge_i32_e32 vcc_lo, v1, v6
	v_or_b32_sdwa v9, v8, v10 dst_sel:DWORD dst_unused:UNUSED_PAD src0_sel:WORD_0 src1_sel:DWORD
	v_min_i32_e32 v8, v1, v13
	s_mov_b32 s9, 0
	v_or_b32_sdwa v10, v11, v14 dst_sel:DWORD dst_unused:UNUSED_PAD src0_sel:WORD_0 src1_sel:DWORD
	v_cndmask_b32_e32 v6, 0, v12, vcc_lo
	s_mov_b32 s8, exec_lo
	; wave barrier
	ds_write_b64 v0, v[9:10]
	; wave barrier
	v_cmpx_lt_i32_e64 v6, v8
	s_cbranch_execz .LBB118_122
; %bb.119:
	v_add_nc_u32_e32 v0, v2, v20
	v_add3_u32 v9, v2, v3, v1
	.p2align	6
.LBB118_120:                            ; =>This Inner Loop Header: Depth=1
	v_sub_nc_u32_e32 v10, v8, v6
	v_lshrrev_b32_e32 v10, 1, v10
	v_add_nc_u32_e32 v10, v10, v6
	v_add_nc_u32_e32 v11, v0, v10
	v_xad_u32 v12, v10, -1, v9
	v_add_nc_u32_e32 v13, 1, v10
	ds_read_u8 v11, v11
	ds_read_u8 v12, v12
	s_waitcnt lgkmcnt(0)
	v_cmp_lt_u16_e32 vcc_lo, v12, v11
	v_cndmask_b32_e32 v8, v8, v10, vcc_lo
	v_cndmask_b32_e32 v6, v13, v6, vcc_lo
	v_cmp_ge_i32_e32 vcc_lo, v6, v8
	s_or_b32 s9, vcc_lo, s9
	s_andn2_b32 exec_lo, exec_lo, s9
	s_cbranch_execnz .LBB118_120
; %bb.121:
	s_or_b32 exec_lo, exec_lo, s9
.LBB118_122:
	s_or_b32 exec_lo, exec_lo, s8
	v_add_nc_u32_e32 v1, v3, v1
	v_add_nc_u32_e32 v0, v6, v20
                                        ; implicit-def: $vgpr9
	v_sub_nc_u32_e32 v1, v1, v6
	v_add_nc_u32_e32 v10, v2, v0
	v_cmp_le_i32_e32 vcc_lo, v3, v0
	v_add_nc_u32_e32 v11, v2, v1
	v_cmp_gt_i32_e64 s8, v7, v1
	ds_read_u8 v6, v10
	ds_read_u8 v8, v11
	s_waitcnt lgkmcnt(0)
	v_cmp_lt_u16_sdwa s9, v8, v6 src0_sel:BYTE_0 src1_sel:BYTE_0
	s_or_b32 s9, vcc_lo, s9
	s_and_b32 vcc_lo, s8, s9
	s_xor_b32 s8, vcc_lo, -1
	s_and_saveexec_b32 s9, s8
	s_xor_b32 s8, exec_lo, s9
; %bb.123:
	ds_read_u8 v9, v10 offset:1
                                        ; implicit-def: $vgpr11
; %bb.124:
	s_or_saveexec_b32 s8, s8
	v_mov_b32_e32 v10, v8
	s_xor_b32 exec_lo, exec_lo, s8
	s_cbranch_execz .LBB118_126
; %bb.125:
	ds_read_u8 v10, v11 offset:1
	s_waitcnt lgkmcnt(1)
	v_mov_b32_e32 v9, v6
.LBB118_126:
	s_or_b32 exec_lo, exec_lo, s8
	v_add_nc_u32_e32 v11, 1, v0
	v_add_nc_u32_e32 v12, 1, v1
	s_waitcnt lgkmcnt(0)
	v_cmp_lt_u16_sdwa s10, v10, v9 src0_sel:BYTE_0 src1_sel:BYTE_0
	v_cndmask_b32_e32 v13, v11, v0, vcc_lo
	v_cndmask_b32_e32 v0, v1, v12, vcc_lo
                                        ; implicit-def: $vgpr11
	v_cmp_ge_i32_e64 s8, v13, v3
	v_cmp_lt_i32_e64 s9, v0, v7
	s_or_b32 s8, s8, s10
	s_and_b32 s8, s9, s8
	s_xor_b32 s9, s8, -1
	s_and_saveexec_b32 s10, s9
	s_xor_b32 s9, exec_lo, s10
; %bb.127:
	v_add_nc_u32_e32 v1, v2, v13
	ds_read_u8 v11, v1 offset:1
; %bb.128:
	s_or_saveexec_b32 s9, s9
	v_mov_b32_e32 v12, v10
	s_xor_b32 exec_lo, exec_lo, s9
	s_cbranch_execz .LBB118_130
; %bb.129:
	v_add_nc_u32_e32 v1, v2, v0
	s_waitcnt lgkmcnt(0)
	v_mov_b32_e32 v11, v9
	ds_read_u8 v12, v1 offset:1
.LBB118_130:
	s_or_b32 exec_lo, exec_lo, s9
	v_add_nc_u32_e32 v1, 1, v13
	v_add_nc_u32_e32 v14, 1, v0
	s_waitcnt lgkmcnt(0)
	v_cmp_lt_u16_sdwa s11, v12, v11 src0_sel:BYTE_0 src1_sel:BYTE_0
	v_cndmask_b32_e64 v1, v1, v13, s8
	v_cndmask_b32_e64 v0, v0, v14, s8
                                        ; implicit-def: $vgpr13
	v_cmp_ge_i32_e64 s9, v1, v3
	v_cmp_lt_i32_e64 s10, v0, v7
	s_or_b32 s9, s9, s11
	s_and_b32 s9, s10, s9
	s_xor_b32 s10, s9, -1
	s_and_saveexec_b32 s11, s10
	s_xor_b32 s10, exec_lo, s11
; %bb.131:
	v_add_nc_u32_e32 v13, v2, v1
	ds_read_u8 v13, v13 offset:1
; %bb.132:
	s_or_saveexec_b32 s10, s10
	v_mov_b32_e32 v14, v12
	s_xor_b32 exec_lo, exec_lo, s10
	s_cbranch_execz .LBB118_134
; %bb.133:
	s_waitcnt lgkmcnt(0)
	v_add_nc_u32_e32 v13, v2, v0
	ds_read_u8 v14, v13 offset:1
	v_mov_b32_e32 v13, v11
.LBB118_134:
	s_or_b32 exec_lo, exec_lo, s10
	v_add_nc_u32_e32 v15, 1, v1
	v_add_nc_u32_e32 v16, 1, v0
	s_waitcnt lgkmcnt(0)
	v_cmp_lt_u16_sdwa s12, v14, v13 src0_sel:BYTE_0 src1_sel:BYTE_0
	v_cndmask_b32_e64 v1, v15, v1, s9
	v_cndmask_b32_e64 v0, v0, v16, s9
                                        ; implicit-def: $vgpr15
	v_cmp_ge_i32_e64 s10, v1, v3
	v_cmp_lt_i32_e64 s11, v0, v7
	s_or_b32 s10, s10, s12
	s_and_b32 s10, s11, s10
	s_xor_b32 s11, s10, -1
	s_and_saveexec_b32 s12, s11
	s_xor_b32 s11, exec_lo, s12
; %bb.135:
	v_add_nc_u32_e32 v15, v2, v1
	ds_read_u8 v15, v15 offset:1
; %bb.136:
	s_or_saveexec_b32 s11, s11
	v_mov_b32_e32 v16, v14
	s_xor_b32 exec_lo, exec_lo, s11
	s_cbranch_execz .LBB118_138
; %bb.137:
	s_waitcnt lgkmcnt(0)
	v_add_nc_u32_e32 v15, v2, v0
	ds_read_u8 v16, v15 offset:1
	v_mov_b32_e32 v15, v13
.LBB118_138:
	s_or_b32 exec_lo, exec_lo, s11
	v_add_nc_u32_e32 v17, 1, v1
	v_add_nc_u32_e32 v18, 1, v0
	s_waitcnt lgkmcnt(0)
	v_cmp_lt_u16_sdwa s13, v16, v15 src0_sel:BYTE_0 src1_sel:BYTE_0
	v_cndmask_b32_e64 v1, v17, v1, s10
	v_cndmask_b32_e64 v0, v0, v18, s10
                                        ; implicit-def: $vgpr17
	v_cmp_ge_i32_e64 s11, v1, v3
	v_cmp_lt_i32_e64 s12, v0, v7
	s_or_b32 s11, s11, s13
	s_and_b32 s11, s12, s11
	s_xor_b32 s12, s11, -1
	s_and_saveexec_b32 s13, s12
	s_xor_b32 s12, exec_lo, s13
; %bb.139:
	v_add_nc_u32_e32 v17, v2, v1
	ds_read_u8 v17, v17 offset:1
; %bb.140:
	s_or_saveexec_b32 s12, s12
	v_mov_b32_e32 v18, v16
	s_xor_b32 exec_lo, exec_lo, s12
	s_cbranch_execz .LBB118_142
; %bb.141:
	s_waitcnt lgkmcnt(0)
	v_add_nc_u32_e32 v17, v2, v0
	ds_read_u8 v18, v17 offset:1
	v_mov_b32_e32 v17, v15
.LBB118_142:
	s_or_b32 exec_lo, exec_lo, s12
	v_add_nc_u32_e32 v19, 1, v1
	v_add_nc_u32_e32 v20, 1, v0
	s_waitcnt lgkmcnt(0)
	v_cmp_lt_u16_sdwa s14, v18, v17 src0_sel:BYTE_0 src1_sel:BYTE_0
	v_cndmask_b32_e64 v21, v19, v1, s11
	v_cndmask_b32_e64 v1, v0, v20, s11
                                        ; implicit-def: $vgpr19
	v_cmp_ge_i32_e64 s12, v21, v3
	v_cmp_lt_i32_e64 s13, v1, v7
	s_or_b32 s12, s12, s14
	s_and_b32 s12, s13, s12
	s_xor_b32 s13, s12, -1
	s_and_saveexec_b32 s14, s13
	s_xor_b32 s13, exec_lo, s14
; %bb.143:
	v_add_nc_u32_e32 v0, v2, v21
	ds_read_u8 v19, v0 offset:1
; %bb.144:
	s_or_saveexec_b32 s13, s13
	v_mov_b32_e32 v20, v18
	s_xor_b32 exec_lo, exec_lo, s13
	s_cbranch_execz .LBB118_146
; %bb.145:
	v_add_nc_u32_e32 v0, v2, v1
	s_waitcnt lgkmcnt(0)
	v_mov_b32_e32 v19, v17
	ds_read_u8 v20, v0 offset:1
.LBB118_146:
	s_or_b32 exec_lo, exec_lo, s13
	v_add_nc_u32_e32 v0, 1, v21
	v_add_nc_u32_e32 v22, 1, v1
	s_waitcnt lgkmcnt(0)
	v_cmp_lt_u16_sdwa s15, v20, v19 src0_sel:BYTE_0 src1_sel:BYTE_0
                                        ; implicit-def: $vgpr23
	v_cndmask_b32_e64 v0, v0, v21, s12
	v_cndmask_b32_e64 v21, v1, v22, s12
                                        ; implicit-def: $vgpr22
	v_cmp_ge_i32_e64 s13, v0, v3
	v_cmp_lt_i32_e64 s14, v21, v7
	s_or_b32 s13, s13, s15
	s_and_b32 s13, s14, s13
	s_xor_b32 s14, s13, -1
	s_and_saveexec_b32 s15, s14
	s_xor_b32 s14, exec_lo, s15
; %bb.147:
	v_add_nc_u32_e32 v1, v2, v0
	v_add_nc_u32_e32 v23, 1, v0
                                        ; implicit-def: $vgpr2
                                        ; implicit-def: $vgpr0
	ds_read_u8 v22, v1 offset:1
; %bb.148:
	s_or_saveexec_b32 s14, s14
	v_mov_b32_e32 v24, v20
	s_xor_b32 exec_lo, exec_lo, s14
	s_cbranch_execz .LBB118_150
; %bb.149:
	v_add_nc_u32_e32 v1, v2, v21
	v_add_nc_u32_e32 v21, 1, v21
	v_mov_b32_e32 v23, v0
	s_waitcnt lgkmcnt(0)
	v_mov_b32_e32 v22, v19
	ds_read_u8 v24, v1 offset:1
.LBB118_150:
	s_or_b32 exec_lo, exec_lo, s14
	v_add_co_u32 v0, s14, s18, v4
	v_add_co_ci_u32_e64 v1, null, s19, 0, s14
	v_add_co_u32 v0, s14, v0, v5
	v_add_co_ci_u32_e64 v1, null, 0, v1, s14
	s_and_saveexec_b32 s14, s0
	s_cbranch_execnz .LBB118_159
; %bb.151:
	s_or_b32 exec_lo, exec_lo, s14
	s_and_saveexec_b32 s0, s1
	s_cbranch_execnz .LBB118_160
.LBB118_152:
	s_or_b32 exec_lo, exec_lo, s0
	s_and_saveexec_b32 s0, s2
	s_cbranch_execnz .LBB118_161
.LBB118_153:
	s_or_b32 exec_lo, exec_lo, s0
	s_and_saveexec_b32 s0, s3
	s_cbranch_execnz .LBB118_162
.LBB118_154:
	s_or_b32 exec_lo, exec_lo, s0
	s_and_saveexec_b32 s0, s4
	s_cbranch_execnz .LBB118_163
.LBB118_155:
	s_or_b32 exec_lo, exec_lo, s0
	s_and_saveexec_b32 s0, s5
	s_cbranch_execnz .LBB118_164
.LBB118_156:
	s_or_b32 exec_lo, exec_lo, s0
	s_and_saveexec_b32 s0, s6
	s_cbranch_execnz .LBB118_165
.LBB118_157:
	s_or_b32 exec_lo, exec_lo, s0
	s_and_saveexec_b32 s0, s7
	s_cbranch_execnz .LBB118_166
.LBB118_158:
	s_endpgm
.LBB118_159:
	v_cndmask_b32_e32 v2, v6, v8, vcc_lo
	global_store_byte v[0:1], v2, off
	s_or_b32 exec_lo, exec_lo, s14
	s_and_saveexec_b32 s0, s1
	s_cbranch_execz .LBB118_152
.LBB118_160:
	v_cndmask_b32_e64 v2, v9, v10, s8
	global_store_byte v[0:1], v2, off offset:1
	s_or_b32 exec_lo, exec_lo, s0
	s_and_saveexec_b32 s0, s2
	s_cbranch_execz .LBB118_153
.LBB118_161:
	v_cndmask_b32_e64 v2, v11, v12, s9
	global_store_byte v[0:1], v2, off offset:2
	s_or_b32 exec_lo, exec_lo, s0
	s_and_saveexec_b32 s0, s3
	s_cbranch_execz .LBB118_154
.LBB118_162:
	v_cndmask_b32_e64 v2, v13, v14, s10
	global_store_byte v[0:1], v2, off offset:3
	s_or_b32 exec_lo, exec_lo, s0
	s_and_saveexec_b32 s0, s4
	s_cbranch_execz .LBB118_155
.LBB118_163:
	v_cndmask_b32_e64 v2, v15, v16, s11
	global_store_byte v[0:1], v2, off offset:4
	s_or_b32 exec_lo, exec_lo, s0
	s_and_saveexec_b32 s0, s5
	s_cbranch_execz .LBB118_156
.LBB118_164:
	v_cndmask_b32_e64 v2, v17, v18, s12
	global_store_byte v[0:1], v2, off offset:5
	s_or_b32 exec_lo, exec_lo, s0
	s_and_saveexec_b32 s0, s6
	s_cbranch_execz .LBB118_157
.LBB118_165:
	v_cndmask_b32_e64 v2, v19, v20, s13
	global_store_byte v[0:1], v2, off offset:6
	s_or_b32 exec_lo, exec_lo, s0
	s_and_saveexec_b32 s0, s7
	s_cbranch_execz .LBB118_158
.LBB118_166:
	v_cmp_ge_i32_e32 vcc_lo, v23, v3
	s_waitcnt lgkmcnt(0)
	v_cmp_lt_u16_sdwa s1, v24, v22 src0_sel:BYTE_0 src1_sel:BYTE_0
	v_cmp_lt_i32_e64 s0, v21, v7
	s_or_b32 s1, vcc_lo, s1
	s_and_b32 vcc_lo, s0, s1
	v_cndmask_b32_e32 v2, v22, v24, vcc_lo
	global_store_byte v[0:1], v2, off offset:7
	s_endpgm
	.section	.rodata,"a",@progbits
	.p2align	6, 0x0
	.amdhsa_kernel _Z19sort_keys_segmentedILj256ELj16ELj8EhN10test_utils4lessEEvPKT2_PS2_PKjT3_
		.amdhsa_group_segment_fixed_size 2064
		.amdhsa_private_segment_fixed_size 0
		.amdhsa_kernarg_size 28
		.amdhsa_user_sgpr_count 6
		.amdhsa_user_sgpr_private_segment_buffer 1
		.amdhsa_user_sgpr_dispatch_ptr 0
		.amdhsa_user_sgpr_queue_ptr 0
		.amdhsa_user_sgpr_kernarg_segment_ptr 1
		.amdhsa_user_sgpr_dispatch_id 0
		.amdhsa_user_sgpr_flat_scratch_init 0
		.amdhsa_user_sgpr_private_segment_size 0
		.amdhsa_wavefront_size32 1
		.amdhsa_uses_dynamic_stack 0
		.amdhsa_system_sgpr_private_segment_wavefront_offset 0
		.amdhsa_system_sgpr_workgroup_id_x 1
		.amdhsa_system_sgpr_workgroup_id_y 0
		.amdhsa_system_sgpr_workgroup_id_z 0
		.amdhsa_system_sgpr_workgroup_info 0
		.amdhsa_system_vgpr_workitem_id 0
		.amdhsa_next_free_vgpr 28
		.amdhsa_next_free_sgpr 20
		.amdhsa_reserve_vcc 1
		.amdhsa_reserve_flat_scratch 0
		.amdhsa_float_round_mode_32 0
		.amdhsa_float_round_mode_16_64 0
		.amdhsa_float_denorm_mode_32 3
		.amdhsa_float_denorm_mode_16_64 3
		.amdhsa_dx10_clamp 1
		.amdhsa_ieee_mode 1
		.amdhsa_fp16_overflow 0
		.amdhsa_workgroup_processor_mode 1
		.amdhsa_memory_ordered 1
		.amdhsa_forward_progress 1
		.amdhsa_shared_vgpr_count 0
		.amdhsa_exception_fp_ieee_invalid_op 0
		.amdhsa_exception_fp_denorm_src 0
		.amdhsa_exception_fp_ieee_div_zero 0
		.amdhsa_exception_fp_ieee_overflow 0
		.amdhsa_exception_fp_ieee_underflow 0
		.amdhsa_exception_fp_ieee_inexact 0
		.amdhsa_exception_int_div_zero 0
	.end_amdhsa_kernel
	.section	.text._Z19sort_keys_segmentedILj256ELj16ELj8EhN10test_utils4lessEEvPKT2_PS2_PKjT3_,"axG",@progbits,_Z19sort_keys_segmentedILj256ELj16ELj8EhN10test_utils4lessEEvPKT2_PS2_PKjT3_,comdat
.Lfunc_end118:
	.size	_Z19sort_keys_segmentedILj256ELj16ELj8EhN10test_utils4lessEEvPKT2_PS2_PKjT3_, .Lfunc_end118-_Z19sort_keys_segmentedILj256ELj16ELj8EhN10test_utils4lessEEvPKT2_PS2_PKjT3_
                                        ; -- End function
	.set _Z19sort_keys_segmentedILj256ELj16ELj8EhN10test_utils4lessEEvPKT2_PS2_PKjT3_.num_vgpr, 28
	.set _Z19sort_keys_segmentedILj256ELj16ELj8EhN10test_utils4lessEEvPKT2_PS2_PKjT3_.num_agpr, 0
	.set _Z19sort_keys_segmentedILj256ELj16ELj8EhN10test_utils4lessEEvPKT2_PS2_PKjT3_.numbered_sgpr, 20
	.set _Z19sort_keys_segmentedILj256ELj16ELj8EhN10test_utils4lessEEvPKT2_PS2_PKjT3_.num_named_barrier, 0
	.set _Z19sort_keys_segmentedILj256ELj16ELj8EhN10test_utils4lessEEvPKT2_PS2_PKjT3_.private_seg_size, 0
	.set _Z19sort_keys_segmentedILj256ELj16ELj8EhN10test_utils4lessEEvPKT2_PS2_PKjT3_.uses_vcc, 1
	.set _Z19sort_keys_segmentedILj256ELj16ELj8EhN10test_utils4lessEEvPKT2_PS2_PKjT3_.uses_flat_scratch, 0
	.set _Z19sort_keys_segmentedILj256ELj16ELj8EhN10test_utils4lessEEvPKT2_PS2_PKjT3_.has_dyn_sized_stack, 0
	.set _Z19sort_keys_segmentedILj256ELj16ELj8EhN10test_utils4lessEEvPKT2_PS2_PKjT3_.has_recursion, 0
	.set _Z19sort_keys_segmentedILj256ELj16ELj8EhN10test_utils4lessEEvPKT2_PS2_PKjT3_.has_indirect_call, 0
	.section	.AMDGPU.csdata,"",@progbits
; Kernel info:
; codeLenInByte = 7724
; TotalNumSgprs: 22
; NumVgprs: 28
; ScratchSize: 0
; MemoryBound: 0
; FloatMode: 240
; IeeeMode: 1
; LDSByteSize: 2064 bytes/workgroup (compile time only)
; SGPRBlocks: 0
; VGPRBlocks: 3
; NumSGPRsForWavesPerEU: 22
; NumVGPRsForWavesPerEU: 28
; Occupancy: 16
; WaveLimiterHint : 0
; COMPUTE_PGM_RSRC2:SCRATCH_EN: 0
; COMPUTE_PGM_RSRC2:USER_SGPR: 6
; COMPUTE_PGM_RSRC2:TRAP_HANDLER: 0
; COMPUTE_PGM_RSRC2:TGID_X_EN: 1
; COMPUTE_PGM_RSRC2:TGID_Y_EN: 0
; COMPUTE_PGM_RSRC2:TGID_Z_EN: 0
; COMPUTE_PGM_RSRC2:TIDIG_COMP_CNT: 0
	.section	.text._Z20sort_pairs_segmentedILj256ELj16ELj8EhN10test_utils4lessEEvPKT2_PS2_PKjT3_,"axG",@progbits,_Z20sort_pairs_segmentedILj256ELj16ELj8EhN10test_utils4lessEEvPKT2_PS2_PKjT3_,comdat
	.protected	_Z20sort_pairs_segmentedILj256ELj16ELj8EhN10test_utils4lessEEvPKT2_PS2_PKjT3_ ; -- Begin function _Z20sort_pairs_segmentedILj256ELj16ELj8EhN10test_utils4lessEEvPKT2_PS2_PKjT3_
	.globl	_Z20sort_pairs_segmentedILj256ELj16ELj8EhN10test_utils4lessEEvPKT2_PS2_PKjT3_
	.p2align	8
	.type	_Z20sort_pairs_segmentedILj256ELj16ELj8EhN10test_utils4lessEEvPKT2_PS2_PKjT3_,@function
_Z20sort_pairs_segmentedILj256ELj16ELj8EhN10test_utils4lessEEvPKT2_PS2_PKjT3_: ; @_Z20sort_pairs_segmentedILj256ELj16ELj8EhN10test_utils4lessEEvPKT2_PS2_PKjT3_
; %bb.0:
	s_clause 0x1
	s_load_dwordx2 s[0:1], s[4:5], 0x10
	s_load_dwordx4 s[16:19], s[4:5], 0x0
	v_lshrrev_b32_e32 v12, 4, v0
	v_mov_b32_e32 v1, 0
	v_mov_b32_e32 v6, 0
	;; [unrolled: 1-line block ×4, first 2 shown]
	v_lshl_or_b32 v0, s6, 4, v12
	v_mov_b32_e32 v13, 0
	v_mov_b32_e32 v4, 0
	v_lshlrev_b64 v[2:3], 2, v[0:1]
	v_lshlrev_b32_e32 v9, 7, v0
	s_waitcnt lgkmcnt(0)
	v_add_co_u32 v2, vcc_lo, s0, v2
	v_add_co_ci_u32_e64 v3, null, s1, v3, vcc_lo
	v_add_co_u32 v0, s0, s16, v9
	global_load_dword v10, v[2:3], off
	v_mbcnt_lo_u32_b32 v2, -1, 0
	v_add_co_ci_u32_e64 v3, null, s17, 0, s0
	v_lshlrev_b32_e32 v11, 3, v2
	v_and_b32_e32 v8, 0x78, v11
	v_add_co_u32 v2, vcc_lo, v0, v8
	v_add_co_ci_u32_e64 v3, null, 0, v3, vcc_lo
	v_mov_b32_e32 v0, 0
	s_waitcnt vmcnt(0)
	v_cmp_lt_u32_e64 s0, v8, v10
	s_and_saveexec_b32 s1, s0
	s_cbranch_execz .LBB119_2
; %bb.1:
	global_load_ubyte v6, v[2:3], off
	v_mov_b32_e32 v7, 0
	v_mov_b32_e32 v14, 0
	;; [unrolled: 1-line block ×5, first 2 shown]
.LBB119_2:
	s_or_b32 exec_lo, exec_lo, s1
	v_or_b32_e32 v5, 1, v8
	v_mov_b32_e32 v16, v1
	v_cmp_lt_u32_e64 s1, v5, v10
	s_and_saveexec_b32 s2, s1
	s_cbranch_execz .LBB119_4
; %bb.3:
	global_load_ubyte v16, v[2:3], off offset:1
.LBB119_4:
	s_or_b32 exec_lo, exec_lo, s2
	v_or_b32_e32 v15, 2, v8
	v_cmp_lt_u32_e64 s2, v15, v10
	s_and_saveexec_b32 s3, s2
	s_cbranch_execz .LBB119_6
; %bb.5:
	global_load_ubyte v1, v[2:3], off offset:2
.LBB119_6:
	s_or_b32 exec_lo, exec_lo, s3
	v_or_b32_e32 v17, 3, v8
	v_cmp_lt_u32_e64 s3, v17, v10
	s_and_saveexec_b32 s4, s3
	s_cbranch_execz .LBB119_8
; %bb.7:
	global_load_ubyte v7, v[2:3], off offset:3
.LBB119_8:
	s_or_b32 exec_lo, exec_lo, s4
	v_or_b32_e32 v18, 4, v8
	v_cmp_lt_u32_e64 s4, v18, v10
	s_and_saveexec_b32 s5, s4
	s_cbranch_execz .LBB119_10
; %bb.9:
	global_load_ubyte v14, v[2:3], off offset:4
.LBB119_10:
	s_or_b32 exec_lo, exec_lo, s5
	v_or_b32_e32 v19, 5, v8
	v_cmp_lt_u32_e64 s5, v19, v10
	s_and_saveexec_b32 s6, s5
	s_cbranch_execz .LBB119_12
; %bb.11:
	global_load_ubyte v13, v[2:3], off offset:5
.LBB119_12:
	s_or_b32 exec_lo, exec_lo, s6
	v_or_b32_e32 v20, 6, v8
	v_cmp_lt_u32_e64 s6, v20, v10
	s_and_saveexec_b32 s7, s6
	s_cbranch_execz .LBB119_14
; %bb.13:
	global_load_ubyte v4, v[2:3], off offset:6
.LBB119_14:
	s_or_b32 exec_lo, exec_lo, s7
	v_or_b32_e32 v21, 7, v8
	v_cmp_lt_u32_e64 s7, v21, v10
	s_and_saveexec_b32 s8, s7
	s_cbranch_execz .LBB119_16
; %bb.15:
	global_load_ubyte v0, v[2:3], off offset:7
.LBB119_16:
	s_or_b32 exec_lo, exec_lo, s8
	s_waitcnt vmcnt(0)
	v_add_nc_u16 v2, v6, 1
	v_mov_b32_e32 v3, 0xffff
	v_add_nc_u16 v22, v14, 1
	v_perm_b32 v14, v14, v13, 0xc0c0004
	v_lshlrev_b16 v23, 8, v16
	v_lshlrev_b16 v13, 8, v13
	v_and_b32_sdwa v2, v3, v2 dst_sel:DWORD dst_unused:UNUSED_PAD src0_sel:DWORD src1_sel:BYTE_0
	v_perm_b32 v3, v22, 0, 0x3020104
	v_perm_b32 v22, v4, v0, 0xc0c0004
	;; [unrolled: 1-line block ×4, first 2 shown]
	v_cndmask_b32_e64 v2, 0, v2, s0
	v_cndmask_b32_e64 v3, 0, v3, s4
	v_or_b32_e32 v6, 0xffffff00, v6
	v_lshlrev_b32_e32 v24, 16, v24
	v_lshl_or_b32 v22, v22, 16, v14
	v_or_b32_e32 v23, v23, v2
	v_or_b32_sdwa v13, v13, v3 dst_sel:DWORD dst_unused:UNUSED_PAD src0_sel:DWORD src1_sel:BYTE_0
	v_or_b32_e32 v14, 0xff, v14
	v_or_b32_e32 v16, v16, v24
	v_or_b32_sdwa v6, v6, v24 dst_sel:DWORD dst_unused:UNUSED_PAD src0_sel:WORD_0 src1_sel:DWORD
	v_add_nc_u16 v23, 0x100, v23
	v_add_nc_u16 v13, 0x100, v13
	v_and_b32_e32 v14, 0xffff, v14
	v_cmp_lt_i32_e32 vcc_lo, v5, v10
	v_add_nc_u16 v1, v1, 1
	v_and_b32_e32 v23, 0xffff, v23
	v_and_b32_e32 v13, 0xffff, v13
	v_mov_b32_e32 v25, 0xff
	v_cndmask_b32_e32 v5, v6, v16, vcc_lo
	v_and_or_b32 v6, 0xffff0000, v22, v14
	v_cndmask_b32_e64 v23, v2, v23, s1
	v_and_or_b32 v2, 0xffff0000, v3, v13
	v_cmp_lt_i32_e32 vcc_lo, v18, v10
	v_add_nc_u16 v4, v4, 1
	v_or_b32_sdwa v13, v5, v25 dst_sel:WORD_1 dst_unused:UNUSED_PAD src0_sel:WORD_1 src1_sel:DWORD
	v_perm_b32 v1, v1, v23, 0xc0c0304
	v_cndmask_b32_e64 v3, v3, v2, s5
	v_cndmask_b32_e32 v6, v6, v22, vcc_lo
	v_cmp_lt_i32_e64 s8, v15, v10
	v_and_or_b32 v5, 0xffff, v5, v13
	v_lshl_or_b32 v1, v1, 16, v23
	v_perm_b32 v4, v3, v4, 0x7000504
	v_or_b32_e32 v13, 0xffffff00, v6
	v_mov_b32_e32 v2, 0xffffff00
	v_lshlrev_b16 v7, 8, v7
	v_cndmask_b32_e64 v1, v23, v1, s2
	v_cndmask_b32_e64 v3, v3, v4, s6
	;; [unrolled: 1-line block ×3, first 2 shown]
	v_and_b32_e32 v5, 0xffff, v13
	v_lshlrev_b16 v0, 8, v0
	v_and_b32_sdwa v13, v1, v25 dst_sel:DWORD dst_unused:UNUSED_PAD src0_sel:WORD_1 src1_sel:DWORD
	v_and_b32_sdwa v14, v3, v25 dst_sel:DWORD dst_unused:UNUSED_PAD src0_sel:WORD_1 src1_sel:DWORD
	v_cmp_lt_i32_e64 s8, v19, v10
	v_and_or_b32 v5, 0xffff0000, v6, v5
	v_or_b32_sdwa v6, v4, v2 dst_sel:WORD_1 dst_unused:UNUSED_PAD src0_sel:WORD_1 src1_sel:DWORD
	v_or_b32_e32 v7, v7, v13
	v_or_b32_e32 v0, v0, v14
	v_cmp_lt_i32_e64 s9, v17, v10
	v_cndmask_b32_e64 v5, v5, v22, s8
	v_and_or_b32 v4, 0xffff, v4, v6
	v_add_nc_u16 v6, 0x100, v7
	v_add_nc_u16 v0, 0x100, v0
	v_or_b32_sdwa v7, v5, v25 dst_sel:WORD_1 dst_unused:UNUSED_PAD src0_sel:WORD_1 src1_sel:DWORD
	v_cndmask_b32_e64 v4, v4, v16, s9
	v_cmp_lt_i32_e64 s9, v20, v10
	v_lshlrev_b32_e32 v6, 16, v6
	v_lshlrev_b32_e32 v0, 16, v0
	v_and_or_b32 v5, 0xffff, v5, v7
	v_cndmask_b32_e32 v4, v4, v16, vcc_lo
	s_or_b32 vcc_lo, s9, s8
	v_and_or_b32 v6, 0xffff, v1, v6
	v_and_or_b32 v7, 0xffff, v3, v0
	v_cndmask_b32_e64 v5, v5, v22, s9
	v_cndmask_b32_e32 v4, v4, v16, vcc_lo
	v_cmp_lt_i32_e64 s8, v21, v10
	v_cndmask_b32_e64 v0, v1, v6, s3
	v_cndmask_b32_e64 v1, v3, v7, s7
	v_lshrrev_b32_e32 v15, 24, v5
	v_lshrrev_b64 v[6:7], 24, v[4:5]
	v_lshrrev_b32_e32 v13, 16, v5
	v_lshrrev_b32_e32 v14, 8, v5
	;; [unrolled: 1-line block ×4, first 2 shown]
	s_mov_b32 s9, exec_lo
                                        ; implicit-def: $vgpr3
	v_cmpx_ge_i32_e64 v21, v10
	s_cbranch_execz .LBB119_18
; %bb.17:
	v_lshrrev_b32_e32 v14, 8, v5
	v_lshrrev_b32_e32 v13, 16, v5
	;; [unrolled: 1-line block ×3, first 2 shown]
	v_cmp_lt_i32_e32 vcc_lo, v8, v10
	v_lshrrev_b32_e32 v7, 8, v4
	v_lshlrev_b16 v3, 8, v14
	v_or_b32_sdwa v15, v13, v2 dst_sel:WORD_1 dst_unused:UNUSED_PAD src0_sel:DWORD src1_sel:DWORD
	v_perm_b32 v2, v4, v16, 0x7000504
	s_andn2_b32 s8, s8, exec_lo
	s_and_b32 s10, vcc_lo, exec_lo
	v_or_b32_sdwa v3, v5, v3 dst_sel:DWORD dst_unused:UNUSED_PAD src0_sel:BYTE_0 src1_sel:DWORD
	s_or_b32 s8, s8, s10
	v_or_b32_sdwa v3, v3, v15 dst_sel:DWORD dst_unused:UNUSED_PAD src0_sel:WORD_0 src1_sel:DWORD
	v_mov_b32_e32 v15, 0xff
.LBB119_18:
	s_or_b32 exec_lo, exec_lo, s9
	s_and_saveexec_b32 s9, s8
	s_cbranch_execz .LBB119_22
; %bb.19:
	v_perm_b32 v2, v16, v6, 0xc0c0004
	v_perm_b32 v3, 0, v0, 0xc0c0001
	;; [unrolled: 1-line block ×4, first 2 shown]
	v_cmp_lt_u16_sdwa vcc_lo, v7, v4 src0_sel:BYTE_0 src1_sel:BYTE_0
	v_lshlrev_b32_e32 v2, 16, v2
	v_and_or_b32 v3, 0xffff0000, v0, v3
	v_perm_b32 v4, v13, v15, 0xc0c0004
	v_perm_b32 v13, v1, v1, 0x7060405
	v_or_b32_e32 v6, v6, v2
	v_or_b32_e32 v2, v16, v2
	v_cndmask_b32_e32 v0, v0, v3, vcc_lo
	v_perm_b32 v3, v5, v14, 0xc0c0004
	v_cndmask_b32_e32 v2, v2, v6, vcc_lo
	v_lshrrev_b32_e32 v5, 16, v0
	v_lshl_or_b32 v3, v4, 16, v3
	v_lshrrev_b32_e32 v6, 16, v2
	v_perm_b32 v4, 0, v5, 0xc0c0001
	v_lshrrev_b32_e32 v7, 8, v3
	v_perm_b32 v14, v3, v3, 0x7060405
	v_perm_b32 v5, 0, v6, 0xc0c0001
	v_lshlrev_b32_e32 v4, 16, v4
	v_cmp_lt_u16_sdwa vcc_lo, v7, v3 src0_sel:BYTE_0 src1_sel:BYTE_0
	v_cmp_lt_u16_sdwa s8, v2, v6 src0_sel:BYTE_3 src1_sel:BYTE_0
	v_mov_b32_e32 v6, 0xff
	v_lshlrev_b32_e32 v5, 16, v5
	v_and_or_b32 v4, 0xffff, v0, v4
	v_cndmask_b32_e32 v3, v3, v14, vcc_lo
	v_cndmask_b32_e32 v1, v1, v13, vcc_lo
	v_and_or_b32 v5, 0xffff, v2, v5
	v_cndmask_b32_e64 v0, v0, v4, s8
	v_and_b32_sdwa v4, v3, v6 dst_sel:DWORD dst_unused:UNUSED_PAD src0_sel:WORD_1 src1_sel:DWORD
	v_perm_b32 v14, v3, v3, 0x6070504
	v_cndmask_b32_e64 v2, v2, v5, s8
	v_perm_b32 v5, v1, v1, 0x6070504
	v_cmp_lt_u16_sdwa vcc_lo, v3, v4 src0_sel:BYTE_3 src1_sel:DWORD
	v_perm_b32 v4, v0, v0, 0x7050604
	v_and_b32_sdwa v7, v2, v6 dst_sel:DWORD dst_unused:UNUSED_PAD src0_sel:WORD_1 src1_sel:DWORD
	v_lshrrev_b32_e32 v13, 8, v2
	v_perm_b32 v15, v2, v2, 0x7050604
	v_cndmask_b32_e32 v3, v3, v14, vcc_lo
	v_cndmask_b32_e32 v1, v1, v5, vcc_lo
	v_cmp_lt_u16_sdwa s8, v7, v13 src0_sel:DWORD src1_sel:BYTE_0
	v_lshlrev_b16 v5, 8, v3
	v_cndmask_b32_e64 v2, v2, v15, s8
	v_cndmask_b32_e64 v0, v0, v4, s8
	v_lshlrev_b16 v4, 8, v1
	v_and_b32_sdwa v13, v2, v6 dst_sel:DWORD dst_unused:UNUSED_PAD src0_sel:WORD_1 src1_sel:DWORD
	v_and_b32_sdwa v7, v0, v6 dst_sel:DWORD dst_unused:UNUSED_PAD src0_sel:WORD_1 src1_sel:DWORD
	v_cmp_lt_u16_sdwa vcc_lo, v3, v2 src0_sel:BYTE_0 src1_sel:BYTE_3
	v_or_b32_sdwa v5, v13, v5 dst_sel:WORD_1 dst_unused:UNUSED_PAD src0_sel:DWORD src1_sel:DWORD
	v_or_b32_sdwa v4, v7, v4 dst_sel:WORD_1 dst_unused:UNUSED_PAD src0_sel:DWORD src1_sel:DWORD
	v_and_or_b32 v5, 0xffff, v2, v5
	v_and_or_b32 v4, 0xffff, v0, v4
	v_cndmask_b32_e32 v5, v2, v5, vcc_lo
	v_cndmask_b32_e32 v4, v0, v4, vcc_lo
	v_perm_b32 v2, v2, v3, 0x3020107
	v_perm_b32 v0, v0, v1, 0x3020107
	;; [unrolled: 1-line block ×3, first 2 shown]
	v_lshrrev_b32_e32 v14, 8, v5
	v_perm_b32 v7, 0, v4, 0xc0c0001
	v_cndmask_b32_e32 v2, v3, v2, vcc_lo
	v_cndmask_b32_e32 v0, v1, v0, vcc_lo
	v_and_or_b32 v3, 0xffff0000, v5, v13
	v_cmp_lt_u16_sdwa vcc_lo, v14, v5 src0_sel:BYTE_0 src1_sel:BYTE_0
	v_and_or_b32 v1, 0xffff0000, v4, v7
	v_and_b32_sdwa v7, v2, v6 dst_sel:DWORD dst_unused:UNUSED_PAD src0_sel:WORD_1 src1_sel:DWORD
	v_lshrrev_b32_e32 v13, 8, v2
	v_cndmask_b32_e32 v3, v5, v3, vcc_lo
	v_cndmask_b32_e32 v1, v4, v1, vcc_lo
	v_perm_b32 v4, v2, v2, 0x7050604
	v_perm_b32 v5, v0, v0, 0x7050604
	v_cmp_lt_u16_sdwa vcc_lo, v7, v13 src0_sel:DWORD src1_sel:BYTE_0
	v_lshrrev_b32_e32 v13, 16, v3
	v_lshrrev_b32_e32 v7, 16, v1
	v_cndmask_b32_e32 v0, v0, v5, vcc_lo
	v_cndmask_b32_e32 v2, v2, v4, vcc_lo
	v_perm_b32 v5, 0, v13, 0xc0c0001
	v_perm_b32 v4, 0, v7, 0xc0c0001
	v_cmp_lt_u16_sdwa s8, v3, v13 src0_sel:BYTE_3 src1_sel:BYTE_0
	v_perm_b32 v14, v0, v0, 0x7060405
	v_lshrrev_b32_e32 v7, 8, v2
	v_lshlrev_b32_e32 v5, 16, v5
	v_lshlrev_b32_e32 v4, 16, v4
	v_perm_b32 v15, v2, v2, 0x7060405
	v_cmp_lt_u16_sdwa vcc_lo, v7, v2 src0_sel:BYTE_0 src1_sel:BYTE_0
	v_and_or_b32 v5, 0xffff, v3, v5
	v_and_or_b32 v4, 0xffff, v1, v4
	v_cndmask_b32_e32 v2, v2, v15, vcc_lo
	v_cndmask_b32_e64 v3, v3, v5, s8
	v_cndmask_b32_e64 v1, v1, v4, s8
	v_cndmask_b32_e32 v0, v0, v14, vcc_lo
	v_and_b32_sdwa v4, v2, v6 dst_sel:DWORD dst_unused:UNUSED_PAD src0_sel:WORD_1 src1_sel:DWORD
	v_and_b32_sdwa v7, v3, v6 dst_sel:DWORD dst_unused:UNUSED_PAD src0_sel:WORD_1 src1_sel:DWORD
	v_lshrrev_b32_e32 v13, 8, v3
	v_perm_b32 v14, v2, v2, 0x6070504
	v_perm_b32 v15, v3, v3, 0x7050604
	v_cmp_lt_u16_sdwa vcc_lo, v2, v4 src0_sel:BYTE_3 src1_sel:DWORD
	v_perm_b32 v5, v0, v0, 0x6070504
	v_cmp_lt_u16_sdwa s8, v7, v13 src0_sel:DWORD src1_sel:BYTE_0
	v_perm_b32 v4, v1, v1, 0x7050604
	v_cndmask_b32_e32 v2, v2, v14, vcc_lo
	v_cndmask_b32_e32 v0, v0, v5, vcc_lo
	v_cndmask_b32_e64 v3, v3, v15, s8
	v_cndmask_b32_e64 v1, v1, v4, s8
	v_lshlrev_b16 v5, 8, v2
	v_lshlrev_b16 v4, 8, v0
	v_and_b32_sdwa v13, v3, v6 dst_sel:DWORD dst_unused:UNUSED_PAD src0_sel:WORD_1 src1_sel:DWORD
	v_and_b32_sdwa v7, v1, v6 dst_sel:DWORD dst_unused:UNUSED_PAD src0_sel:WORD_1 src1_sel:DWORD
	v_cmp_lt_u16_sdwa vcc_lo, v2, v3 src0_sel:BYTE_0 src1_sel:BYTE_3
	v_or_b32_sdwa v5, v13, v5 dst_sel:WORD_1 dst_unused:UNUSED_PAD src0_sel:DWORD src1_sel:DWORD
	v_or_b32_sdwa v4, v7, v4 dst_sel:WORD_1 dst_unused:UNUSED_PAD src0_sel:DWORD src1_sel:DWORD
	v_and_or_b32 v5, 0xffff, v3, v5
	v_and_or_b32 v4, 0xffff, v1, v4
	v_cndmask_b32_e32 v5, v3, v5, vcc_lo
	v_cndmask_b32_e32 v4, v1, v4, vcc_lo
	v_perm_b32 v3, v3, v2, 0x3020107
	v_perm_b32 v1, v1, v0, 0x3020107
	;; [unrolled: 1-line block ×3, first 2 shown]
	v_lshrrev_b32_e32 v14, 8, v5
	v_perm_b32 v7, 0, v4, 0xc0c0001
	v_cndmask_b32_e32 v2, v2, v3, vcc_lo
	v_cndmask_b32_e32 v0, v0, v1, vcc_lo
	v_and_or_b32 v3, 0xffff0000, v5, v13
	v_cmp_lt_u16_sdwa vcc_lo, v14, v5 src0_sel:BYTE_0 src1_sel:BYTE_0
	v_and_or_b32 v1, 0xffff0000, v4, v7
	v_and_b32_sdwa v7, v2, v6 dst_sel:DWORD dst_unused:UNUSED_PAD src0_sel:WORD_1 src1_sel:DWORD
	v_lshrrev_b32_e32 v13, 8, v2
	v_cndmask_b32_e32 v3, v5, v3, vcc_lo
	v_cndmask_b32_e32 v1, v4, v1, vcc_lo
	v_perm_b32 v4, v2, v2, 0x7050604
	v_perm_b32 v5, v0, v0, 0x7050604
	v_cmp_lt_u16_sdwa vcc_lo, v7, v13 src0_sel:DWORD src1_sel:BYTE_0
	v_lshrrev_b32_e32 v13, 16, v3
	v_lshrrev_b32_e32 v7, 16, v1
	v_cndmask_b32_e32 v0, v0, v5, vcc_lo
	v_cndmask_b32_e32 v2, v2, v4, vcc_lo
	v_perm_b32 v5, 0, v13, 0xc0c0001
	v_perm_b32 v4, 0, v7, 0xc0c0001
	v_cmp_lt_u16_sdwa s8, v3, v13 src0_sel:BYTE_3 src1_sel:BYTE_0
	v_perm_b32 v14, v0, v0, 0x7060405
	v_lshrrev_b32_e32 v7, 8, v2
	v_lshlrev_b32_e32 v5, 16, v5
	v_lshlrev_b32_e32 v4, 16, v4
	v_perm_b32 v15, v2, v2, 0x7060405
	v_cmp_lt_u16_sdwa vcc_lo, v7, v2 src0_sel:BYTE_0 src1_sel:BYTE_0
	v_and_or_b32 v5, 0xffff, v3, v5
	v_and_or_b32 v4, 0xffff, v1, v4
	v_cndmask_b32_e32 v2, v2, v15, vcc_lo
	v_cndmask_b32_e64 v3, v3, v5, s8
	v_cndmask_b32_e64 v1, v1, v4, s8
	v_cndmask_b32_e32 v0, v0, v14, vcc_lo
	v_and_b32_sdwa v4, v2, v6 dst_sel:DWORD dst_unused:UNUSED_PAD src0_sel:WORD_1 src1_sel:DWORD
	v_and_b32_sdwa v7, v3, v6 dst_sel:DWORD dst_unused:UNUSED_PAD src0_sel:WORD_1 src1_sel:DWORD
	v_lshrrev_b32_e32 v13, 8, v3
	v_perm_b32 v14, v2, v2, 0x6070504
	v_perm_b32 v15, v3, v3, 0x7050604
	v_cmp_lt_u16_sdwa vcc_lo, v2, v4 src0_sel:BYTE_3 src1_sel:DWORD
	v_perm_b32 v5, v0, v0, 0x6070504
	v_cmp_lt_u16_sdwa s8, v7, v13 src0_sel:DWORD src1_sel:BYTE_0
	v_perm_b32 v4, v1, v1, 0x7050604
	v_cndmask_b32_e32 v2, v2, v14, vcc_lo
	v_cndmask_b32_e32 v0, v0, v5, vcc_lo
	v_cndmask_b32_e64 v3, v3, v15, s8
	v_cndmask_b32_e64 v1, v1, v4, s8
	v_lshlrev_b16 v5, 8, v2
	v_lshlrev_b16 v4, 8, v0
	v_and_b32_sdwa v13, v3, v6 dst_sel:DWORD dst_unused:UNUSED_PAD src0_sel:WORD_1 src1_sel:DWORD
	v_and_b32_sdwa v7, v1, v6 dst_sel:DWORD dst_unused:UNUSED_PAD src0_sel:WORD_1 src1_sel:DWORD
	v_cmp_lt_u16_sdwa vcc_lo, v2, v3 src0_sel:BYTE_0 src1_sel:BYTE_3
	v_or_b32_sdwa v5, v13, v5 dst_sel:WORD_1 dst_unused:UNUSED_PAD src0_sel:DWORD src1_sel:DWORD
	v_or_b32_sdwa v4, v7, v4 dst_sel:WORD_1 dst_unused:UNUSED_PAD src0_sel:DWORD src1_sel:DWORD
	v_and_or_b32 v5, 0xffff, v3, v5
	v_and_or_b32 v4, 0xffff, v1, v4
	v_cndmask_b32_e32 v5, v3, v5, vcc_lo
	v_cndmask_b32_e32 v4, v1, v4, vcc_lo
	v_perm_b32 v3, v3, v2, 0x3020107
	v_perm_b32 v1, v1, v0, 0x3020107
	;; [unrolled: 1-line block ×3, first 2 shown]
	v_lshrrev_b32_e32 v14, 8, v5
	v_perm_b32 v7, 0, v4, 0xc0c0001
	v_cndmask_b32_e32 v2, v2, v3, vcc_lo
	v_cndmask_b32_e32 v0, v0, v1, vcc_lo
	v_and_or_b32 v3, 0xffff0000, v5, v13
	v_cmp_lt_u16_sdwa vcc_lo, v14, v5 src0_sel:BYTE_0 src1_sel:BYTE_0
	v_and_or_b32 v1, 0xffff0000, v4, v7
	v_and_b32_sdwa v7, v2, v6 dst_sel:DWORD dst_unused:UNUSED_PAD src0_sel:WORD_1 src1_sel:DWORD
	v_lshrrev_b32_e32 v13, 8, v2
	v_cndmask_b32_e32 v3, v5, v3, vcc_lo
	v_cndmask_b32_e32 v1, v4, v1, vcc_lo
	v_perm_b32 v4, v2, v2, 0x7050604
	v_perm_b32 v5, v0, v0, 0x7050604
	v_cmp_lt_u16_sdwa vcc_lo, v7, v13 src0_sel:DWORD src1_sel:BYTE_0
	v_lshrrev_b32_e32 v13, 16, v3
	v_lshrrev_b32_e32 v7, 16, v1
	v_cndmask_b32_e32 v0, v0, v5, vcc_lo
	v_cndmask_b32_e32 v2, v2, v4, vcc_lo
	v_perm_b32 v5, 0, v13, 0xc0c0001
	v_perm_b32 v4, 0, v7, 0xc0c0001
	v_cmp_lt_u16_sdwa s8, v3, v13 src0_sel:BYTE_3 src1_sel:BYTE_0
	v_perm_b32 v14, v0, v0, 0x7060405
	v_lshrrev_b32_e32 v7, 8, v2
	v_lshlrev_b32_e32 v5, 16, v5
	v_lshlrev_b32_e32 v4, 16, v4
	v_perm_b32 v15, v2, v2, 0x7060405
	v_cmp_lt_u16_sdwa vcc_lo, v7, v2 src0_sel:BYTE_0 src1_sel:BYTE_0
	v_and_or_b32 v5, 0xffff, v3, v5
	v_and_or_b32 v4, 0xffff, v1, v4
	v_cndmask_b32_e32 v2, v2, v15, vcc_lo
	v_cndmask_b32_e64 v3, v3, v5, s8
	v_cndmask_b32_e32 v0, v0, v14, vcc_lo
	v_cndmask_b32_e64 v1, v1, v4, s8
	v_and_b32_sdwa v5, v2, v6 dst_sel:DWORD dst_unused:UNUSED_PAD src0_sel:WORD_1 src1_sel:DWORD
	v_and_b32_sdwa v7, v3, v6 dst_sel:DWORD dst_unused:UNUSED_PAD src0_sel:WORD_1 src1_sel:DWORD
	v_lshrrev_b32_e32 v13, 8, v3
	v_perm_b32 v4, v0, v0, 0x6070504
	v_perm_b32 v14, v1, v1, 0x7050604
	v_cmp_lt_u16_sdwa vcc_lo, v2, v5 src0_sel:BYTE_3 src1_sel:DWORD
	v_perm_b32 v5, v3, v3, 0x7050604
	v_cmp_lt_u16_sdwa s8, v7, v13 src0_sel:DWORD src1_sel:BYTE_0
	v_cndmask_b32_e32 v0, v0, v4, vcc_lo
	v_perm_b32 v4, v2, v2, 0x6070504
	v_cndmask_b32_e64 v1, v1, v14, s8
	v_cndmask_b32_e64 v5, v3, v5, s8
	v_lshlrev_b16 v7, 8, v0
	v_cndmask_b32_e32 v2, v2, v4, vcc_lo
	v_and_b32_sdwa v13, v1, v6 dst_sel:DWORD dst_unused:UNUSED_PAD src0_sel:WORD_1 src1_sel:DWORD
	v_lshlrev_b16 v4, 8, v2
	v_or_b32_sdwa v3, v13, v7 dst_sel:WORD_1 dst_unused:UNUSED_PAD src0_sel:DWORD src1_sel:DWORD
	v_and_b32_sdwa v7, v5, v6 dst_sel:DWORD dst_unused:UNUSED_PAD src0_sel:WORD_1 src1_sel:DWORD
	v_perm_b32 v13, v5, v2, 0x3020107
	v_cmp_lt_u16_sdwa vcc_lo, v2, v5 src0_sel:BYTE_0 src1_sel:BYTE_3
	v_and_or_b32 v3, 0xffff, v1, v3
	v_or_b32_sdwa v7, v7, v4 dst_sel:WORD_1 dst_unused:UNUSED_PAD src0_sel:DWORD src1_sel:DWORD
	v_cndmask_b32_e32 v4, v1, v3, vcc_lo
	v_cndmask_b32_e32 v3, v2, v13, vcc_lo
	v_and_or_b32 v2, 0xffff, v5, v7
	v_perm_b32 v1, v1, v0, 0x3020107
	v_and_b32_sdwa v6, v3, v6 dst_sel:DWORD dst_unused:UNUSED_PAD src0_sel:WORD_1 src1_sel:DWORD
	v_lshrrev_b32_e32 v7, 8, v3
	v_cndmask_b32_e32 v5, v5, v2, vcc_lo
	v_cndmask_b32_e32 v1, v0, v1, vcc_lo
	v_perm_b32 v0, v4, v4, 0x3020104
	v_cmp_lt_u16_sdwa s10, v6, v7 src0_sel:DWORD src1_sel:BYTE_0
	v_perm_b32 v2, v5, v5, 0x3020104
	s_and_saveexec_b32 s8, s10
; %bb.20:
	v_perm_b32 v1, v1, v1, 0x7050604
	v_perm_b32 v3, v3, v3, 0x7050604
	;; [unrolled: 1-line block ×4, first 2 shown]
; %bb.21:
	s_or_b32 exec_lo, exec_lo, s8
.LBB119_22:
	s_or_b32 exec_lo, exec_lo, s9
	v_and_b32_e32 v4, 0x70, v11
	v_and_b32_e32 v13, 8, v11
	v_mad_u32_u24 v16, 0x81, v12, v8
	s_mov_b32 s9, 0
	s_mov_b32 s8, exec_lo
	v_min_i32_e32 v7, v10, v4
	v_min_i32_e32 v13, v10, v13
	; wave barrier
	ds_write_b64 v16, v[2:3]
	v_add_nc_u32_e32 v4, 8, v7
	; wave barrier
	v_min_i32_e32 v6, v10, v4
	v_add_nc_u32_e32 v4, 8, v6
	v_sub_nc_u32_e32 v15, v6, v7
	v_min_i32_e32 v5, v10, v4
	v_min_i32_e32 v15, v13, v15
	v_sub_nc_u32_e32 v4, v5, v6
	v_sub_nc_u32_e32 v14, v13, v4
	v_cmp_ge_i32_e32 vcc_lo, v13, v4
	v_mul_u32_u24_e32 v4, 0x81, v12
	v_cndmask_b32_e32 v14, 0, v14, vcc_lo
	v_cmpx_lt_i32_e64 v14, v15
	s_cbranch_execz .LBB119_26
; %bb.23:
	v_add_nc_u32_e32 v2, v4, v7
	v_add3_u32 v3, v4, v6, v13
	.p2align	6
.LBB119_24:                             ; =>This Inner Loop Header: Depth=1
	v_sub_nc_u32_e32 v12, v15, v14
	v_lshrrev_b32_e32 v12, 1, v12
	v_add_nc_u32_e32 v12, v12, v14
	v_add_nc_u32_e32 v16, v2, v12
	v_xad_u32 v17, v12, -1, v3
	v_add_nc_u32_e32 v18, 1, v12
	ds_read_u8 v16, v16
	ds_read_u8 v17, v17
	s_waitcnt lgkmcnt(0)
	v_cmp_lt_u16_e32 vcc_lo, v17, v16
	v_cndmask_b32_e32 v15, v15, v12, vcc_lo
	v_cndmask_b32_e32 v14, v18, v14, vcc_lo
	v_cmp_ge_i32_e32 vcc_lo, v14, v15
	s_or_b32 s9, vcc_lo, s9
	s_andn2_b32 exec_lo, exec_lo, s9
	s_cbranch_execnz .LBB119_24
; %bb.25:
	s_or_b32 exec_lo, exec_lo, s9
.LBB119_26:
	s_or_b32 exec_lo, exec_lo, s8
	v_add_nc_u32_e32 v3, v6, v13
	v_add_nc_u32_e32 v2, v14, v7
                                        ; implicit-def: $vgpr13
	v_sub_nc_u32_e32 v3, v3, v14
	v_add_nc_u32_e32 v14, v4, v2
	v_cmp_le_i32_e32 vcc_lo, v6, v2
	v_add_nc_u32_e32 v15, v4, v3
	v_cmp_gt_i32_e64 s8, v5, v3
	ds_read_u8 v7, v14
	ds_read_u8 v12, v15
	s_waitcnt lgkmcnt(0)
	v_cmp_lt_u16_sdwa s9, v12, v7 src0_sel:BYTE_0 src1_sel:BYTE_0
	s_or_b32 s9, vcc_lo, s9
	s_and_b32 s8, s8, s9
	s_xor_b32 s9, s8, -1
	s_and_saveexec_b32 s10, s9
	s_xor_b32 s9, exec_lo, s10
; %bb.27:
	ds_read_u8 v13, v14 offset:1
                                        ; implicit-def: $vgpr15
; %bb.28:
	s_or_saveexec_b32 s9, s9
	v_mov_b32_e32 v14, v12
	s_xor_b32 exec_lo, exec_lo, s9
	s_cbranch_execz .LBB119_30
; %bb.29:
	ds_read_u8 v14, v15 offset:1
	s_waitcnt lgkmcnt(1)
	v_mov_b32_e32 v13, v7
.LBB119_30:
	s_or_b32 exec_lo, exec_lo, s9
	v_add_nc_u32_e32 v15, 1, v2
	v_add_nc_u32_e32 v16, 1, v3
	s_waitcnt lgkmcnt(0)
	v_cmp_lt_u16_sdwa s10, v14, v13 src0_sel:BYTE_0 src1_sel:BYTE_0
                                        ; implicit-def: $vgpr17
	v_cndmask_b32_e64 v15, v15, v2, s8
	v_cndmask_b32_e64 v16, v3, v16, s8
	v_cmp_ge_i32_e32 vcc_lo, v15, v6
	v_cmp_lt_i32_e64 s9, v16, v5
	s_or_b32 s10, vcc_lo, s10
	s_and_b32 s9, s9, s10
	s_xor_b32 s10, s9, -1
	s_and_saveexec_b32 s11, s10
	s_xor_b32 s10, exec_lo, s11
; %bb.31:
	v_add_nc_u32_e32 v17, v4, v15
	ds_read_u8 v17, v17 offset:1
; %bb.32:
	s_or_saveexec_b32 s10, s10
	v_mov_b32_e32 v18, v14
	s_xor_b32 exec_lo, exec_lo, s10
	s_cbranch_execz .LBB119_34
; %bb.33:
	s_waitcnt lgkmcnt(0)
	v_add_nc_u32_e32 v17, v4, v16
	ds_read_u8 v18, v17 offset:1
	v_mov_b32_e32 v17, v13
.LBB119_34:
	s_or_b32 exec_lo, exec_lo, s10
	v_add_nc_u32_e32 v19, 1, v15
	v_add_nc_u32_e32 v20, 1, v16
	s_waitcnt lgkmcnt(0)
	v_cmp_lt_u16_sdwa s11, v18, v17 src0_sel:BYTE_0 src1_sel:BYTE_0
                                        ; implicit-def: $vgpr21
	v_cndmask_b32_e64 v19, v19, v15, s9
	v_cndmask_b32_e64 v20, v16, v20, s9
	v_cmp_ge_i32_e32 vcc_lo, v19, v6
	v_cmp_lt_i32_e64 s10, v20, v5
	s_or_b32 s11, vcc_lo, s11
	s_and_b32 s10, s10, s11
	s_xor_b32 s11, s10, -1
	s_and_saveexec_b32 s12, s11
	s_xor_b32 s11, exec_lo, s12
; %bb.35:
	v_add_nc_u32_e32 v21, v4, v19
	ds_read_u8 v21, v21 offset:1
; %bb.36:
	s_or_saveexec_b32 s11, s11
	v_mov_b32_e32 v22, v18
	s_xor_b32 exec_lo, exec_lo, s11
	s_cbranch_execz .LBB119_38
; %bb.37:
	s_waitcnt lgkmcnt(0)
	v_add_nc_u32_e32 v21, v4, v20
	ds_read_u8 v22, v21 offset:1
	v_mov_b32_e32 v21, v17
.LBB119_38:
	s_or_b32 exec_lo, exec_lo, s11
	v_add_nc_u32_e32 v23, 1, v19
	v_add_nc_u32_e32 v24, 1, v20
	s_waitcnt lgkmcnt(0)
	v_cmp_lt_u16_sdwa s12, v22, v21 src0_sel:BYTE_0 src1_sel:BYTE_0
                                        ; implicit-def: $vgpr25
	v_cndmask_b32_e64 v23, v23, v19, s10
	v_cndmask_b32_e64 v24, v20, v24, s10
	v_cmp_ge_i32_e32 vcc_lo, v23, v6
	v_cmp_lt_i32_e64 s11, v24, v5
	s_or_b32 s12, vcc_lo, s12
	s_and_b32 s11, s11, s12
	s_xor_b32 s12, s11, -1
	s_and_saveexec_b32 s13, s12
	s_xor_b32 s12, exec_lo, s13
; %bb.39:
	v_add_nc_u32_e32 v25, v4, v23
	ds_read_u8 v25, v25 offset:1
; %bb.40:
	s_or_saveexec_b32 s12, s12
	v_mov_b32_e32 v26, v22
	s_xor_b32 exec_lo, exec_lo, s12
	s_cbranch_execz .LBB119_42
; %bb.41:
	s_waitcnt lgkmcnt(0)
	v_add_nc_u32_e32 v25, v4, v24
	ds_read_u8 v26, v25 offset:1
	v_mov_b32_e32 v25, v21
.LBB119_42:
	s_or_b32 exec_lo, exec_lo, s12
	v_add_nc_u32_e32 v27, 1, v23
	v_add_nc_u32_e32 v28, 1, v24
	s_waitcnt lgkmcnt(0)
	v_cmp_lt_u16_sdwa s13, v26, v25 src0_sel:BYTE_0 src1_sel:BYTE_0
                                        ; implicit-def: $vgpr29
	v_cndmask_b32_e64 v27, v27, v23, s11
	v_cndmask_b32_e64 v28, v24, v28, s11
	v_cmp_ge_i32_e32 vcc_lo, v27, v6
	v_cmp_lt_i32_e64 s12, v28, v5
	s_or_b32 s13, vcc_lo, s13
	s_and_b32 s12, s12, s13
	s_xor_b32 s13, s12, -1
	s_and_saveexec_b32 s14, s13
	s_xor_b32 s13, exec_lo, s14
; %bb.43:
	v_add_nc_u32_e32 v29, v4, v27
	ds_read_u8 v29, v29 offset:1
; %bb.44:
	s_or_saveexec_b32 s13, s13
	v_mov_b32_e32 v30, v26
	s_xor_b32 exec_lo, exec_lo, s13
	s_cbranch_execz .LBB119_46
; %bb.45:
	s_waitcnt lgkmcnt(0)
	v_add_nc_u32_e32 v29, v4, v28
	ds_read_u8 v30, v29 offset:1
	v_mov_b32_e32 v29, v25
.LBB119_46:
	s_or_b32 exec_lo, exec_lo, s13
	v_add_nc_u32_e32 v31, 1, v27
	v_add_nc_u32_e32 v33, 1, v28
	s_waitcnt lgkmcnt(0)
	v_cmp_lt_u16_sdwa s14, v30, v29 src0_sel:BYTE_0 src1_sel:BYTE_0
                                        ; implicit-def: $vgpr35
	v_cndmask_b32_e64 v32, v31, v27, s12
	v_cndmask_b32_e64 v33, v28, v33, s12
	v_cmp_ge_i32_e32 vcc_lo, v32, v6
	v_cmp_lt_i32_e64 s13, v33, v5
	s_or_b32 s14, vcc_lo, s14
	s_and_b32 vcc_lo, s13, s14
	s_xor_b32 s13, vcc_lo, -1
	s_and_saveexec_b32 s14, s13
	s_xor_b32 s13, exec_lo, s14
; %bb.47:
	v_add_nc_u32_e32 v31, v4, v32
	ds_read_u8 v35, v31 offset:1
; %bb.48:
	s_or_saveexec_b32 s13, s13
	v_mov_b32_e32 v36, v30
	s_xor_b32 exec_lo, exec_lo, s13
	s_cbranch_execz .LBB119_50
; %bb.49:
	v_add_nc_u32_e32 v31, v4, v33
	s_waitcnt lgkmcnt(0)
	v_mov_b32_e32 v35, v29
	ds_read_u8 v36, v31 offset:1
.LBB119_50:
	s_or_b32 exec_lo, exec_lo, s13
	v_add_nc_u32_e32 v31, 1, v32
	v_add_nc_u32_e32 v34, 1, v33
	s_waitcnt lgkmcnt(0)
	v_cmp_lt_u16_sdwa s15, v36, v35 src0_sel:BYTE_0 src1_sel:BYTE_0
	v_cndmask_b32_e32 v37, v31, v32, vcc_lo
	v_cndmask_b32_e32 v38, v33, v34, vcc_lo
                                        ; implicit-def: $vgpr31
	v_cmp_ge_i32_e64 s13, v37, v6
	v_cmp_lt_i32_e64 s14, v38, v5
	s_or_b32 s13, s13, s15
	s_and_b32 s13, s14, s13
	s_xor_b32 s14, s13, -1
	s_and_saveexec_b32 s15, s14
	s_xor_b32 s14, exec_lo, s15
; %bb.51:
	v_add_nc_u32_e32 v31, v4, v37
	ds_read_u8 v31, v31 offset:1
; %bb.52:
	s_or_saveexec_b32 s14, s14
	v_mov_b32_e32 v34, v36
	s_xor_b32 exec_lo, exec_lo, s14
	s_cbranch_execz .LBB119_54
; %bb.53:
	s_waitcnt lgkmcnt(0)
	v_add_nc_u32_e32 v31, v4, v38
	ds_read_u8 v34, v31 offset:1
	v_mov_b32_e32 v31, v35
.LBB119_54:
	s_or_b32 exec_lo, exec_lo, s14
	v_add_nc_u32_e32 v39, 1, v38
	v_add_nc_u32_e32 v40, 1, v37
	v_cndmask_b32_e64 v35, v35, v36, s13
	v_cndmask_b32_sdwa v29, v29, v30, vcc_lo dst_sel:BYTE_1 dst_unused:UNUSED_PAD src0_sel:DWORD src1_sel:DWORD
	v_cndmask_b32_e32 v30, v32, v33, vcc_lo
	v_cndmask_b32_e64 v36, v38, v39, s13
	v_cndmask_b32_e64 v39, v40, v37, s13
	;; [unrolled: 1-line block ×4, first 2 shown]
	v_add_nc_u32_e32 v2, v4, v8
	v_cmp_ge_i32_e32 vcc_lo, v39, v6
	v_cndmask_b32_e64 v6, v15, v16, s9
	v_cmp_lt_i32_e64 s9, v36, v5
	v_and_b32_e32 v5, 0x60, v11
	; wave barrier
	ds_write_b64 v2, v[0:1]
	v_cndmask_b32_e64 v18, v17, v18, s10
	v_cndmask_b32_e64 v17, v19, v20, s10
	v_min_i32_e32 v16, v10, v5
	s_waitcnt lgkmcnt(1)
	v_cmp_lt_u16_sdwa s10, v34, v31 src0_sel:BYTE_0 src1_sel:BYTE_0
	v_add_nc_u32_e32 v1, v4, v3
	v_add_nc_u32_e32 v3, v4, v6
	v_cndmask_b32_e64 v21, v21, v22, s11
	v_add_nc_u32_e32 v0, 16, v16
	s_or_b32 s10, vcc_lo, s10
	v_cndmask_b32_e64 v22, v23, v24, s11
	s_and_b32 vcc_lo, s9, s10
	v_cndmask_b32_e64 v25, v25, v26, s12
	v_min_i32_e32 v6, v10, v0
	v_cndmask_b32_e64 v26, v27, v28, s12
	v_cndmask_b32_e64 v37, v37, v38, s13
	v_cndmask_b32_e32 v5, v39, v36, vcc_lo
	v_cndmask_b32_e64 v19, v7, v12, s8
	v_add_nc_u32_e32 v0, 16, v6
	v_add_nc_u32_e32 v7, v4, v17
	;; [unrolled: 1-line block ×4, first 2 shown]
	; wave barrier
	v_add_nc_u32_e32 v17, v4, v30
	v_add_nc_u32_e32 v22, v4, v37
	;; [unrolled: 1-line block ×3, first 2 shown]
	v_lshlrev_b16 v24, 8, v13
	v_min_i32_e32 v15, v10, v0
	ds_read_u8 v0, v1
	ds_read_u8 v1, v3
	;; [unrolled: 1-line block ×8, first 2 shown]
	v_cndmask_b32_e32 v20, v31, v34, vcc_lo
	v_and_b32_e32 v26, 24, v11
	v_lshlrev_b16 v21, 8, v21
	v_sub_nc_u32_e32 v22, v15, v6
	v_or_b32_sdwa v19, v19, v24 dst_sel:DWORD dst_unused:UNUSED_PAD src0_sel:BYTE_0 src1_sel:DWORD
	v_lshlrev_b16 v20, 8, v20
	v_min_i32_e32 v17, v10, v26
	v_or_b32_sdwa v18, v18, v21 dst_sel:WORD_1 dst_unused:UNUSED_PAD src0_sel:BYTE_0 src1_sel:DWORD
	v_or_b32_sdwa v21, v25, v29 dst_sel:DWORD dst_unused:UNUSED_PAD src0_sel:BYTE_0 src1_sel:DWORD
	v_sub_nc_u32_e32 v24, v6, v16
	v_or_b32_sdwa v25, v35, v20 dst_sel:WORD_1 dst_unused:UNUSED_PAD src0_sel:BYTE_0 src1_sel:DWORD
	v_sub_nc_u32_e32 v23, v17, v22
	v_cmp_ge_i32_e32 vcc_lo, v17, v22
	v_or_b32_sdwa v20, v19, v18 dst_sel:DWORD dst_unused:UNUSED_PAD src0_sel:WORD_0 src1_sel:DWORD
	v_min_i32_e32 v19, v17, v24
	v_or_b32_sdwa v21, v21, v25 dst_sel:DWORD dst_unused:UNUSED_PAD src0_sel:WORD_0 src1_sel:DWORD
	s_mov_b32 s9, 0
	v_cndmask_b32_e32 v18, 0, v23, vcc_lo
	s_mov_b32 s8, exec_lo
	; wave barrier
	ds_write_b64 v2, v[20:21]
	; wave barrier
	v_cmpx_lt_i32_e64 v18, v19
	s_cbranch_execz .LBB119_58
; %bb.55:
	v_add_nc_u32_e32 v20, v4, v16
	v_add3_u32 v21, v4, v6, v17
	.p2align	6
.LBB119_56:                             ; =>This Inner Loop Header: Depth=1
	v_sub_nc_u32_e32 v22, v19, v18
	v_lshrrev_b32_e32 v22, 1, v22
	v_add_nc_u32_e32 v22, v22, v18
	v_add_nc_u32_e32 v23, v20, v22
	v_xad_u32 v24, v22, -1, v21
	v_add_nc_u32_e32 v25, 1, v22
	ds_read_u8 v23, v23
	ds_read_u8 v24, v24
	s_waitcnt lgkmcnt(0)
	v_cmp_lt_u16_e32 vcc_lo, v24, v23
	v_cndmask_b32_e32 v19, v19, v22, vcc_lo
	v_cndmask_b32_e32 v18, v25, v18, vcc_lo
	v_cmp_ge_i32_e32 vcc_lo, v18, v19
	s_or_b32 s9, vcc_lo, s9
	s_andn2_b32 exec_lo, exec_lo, s9
	s_cbranch_execnz .LBB119_56
; %bb.57:
	s_or_b32 exec_lo, exec_lo, s9
.LBB119_58:
	s_or_b32 exec_lo, exec_lo, s8
	v_add_nc_u32_e32 v17, v6, v17
	v_add_nc_u32_e32 v16, v18, v16
                                        ; implicit-def: $vgpr20
	v_sub_nc_u32_e32 v17, v17, v18
	v_add_nc_u32_e32 v21, v4, v16
	v_cmp_le_i32_e32 vcc_lo, v6, v16
	v_add_nc_u32_e32 v22, v4, v17
	v_cmp_gt_i32_e64 s8, v15, v17
	ds_read_u8 v18, v21
	ds_read_u8 v19, v22
	s_waitcnt lgkmcnt(0)
	v_cmp_lt_u16_sdwa s9, v19, v18 src0_sel:BYTE_0 src1_sel:BYTE_0
	s_or_b32 s9, vcc_lo, s9
	s_and_b32 s8, s8, s9
	s_xor_b32 s9, s8, -1
	s_and_saveexec_b32 s10, s9
	s_xor_b32 s9, exec_lo, s10
; %bb.59:
	ds_read_u8 v20, v21 offset:1
                                        ; implicit-def: $vgpr22
; %bb.60:
	s_or_saveexec_b32 s9, s9
	v_mov_b32_e32 v21, v19
	s_xor_b32 exec_lo, exec_lo, s9
	s_cbranch_execz .LBB119_62
; %bb.61:
	ds_read_u8 v21, v22 offset:1
	s_waitcnt lgkmcnt(1)
	v_mov_b32_e32 v20, v18
.LBB119_62:
	s_or_b32 exec_lo, exec_lo, s9
	v_add_nc_u32_e32 v22, 1, v16
	v_add_nc_u32_e32 v23, 1, v17
	s_waitcnt lgkmcnt(0)
	v_cmp_lt_u16_sdwa s10, v21, v20 src0_sel:BYTE_0 src1_sel:BYTE_0
                                        ; implicit-def: $vgpr24
	v_cndmask_b32_e64 v22, v22, v16, s8
	v_cndmask_b32_e64 v23, v17, v23, s8
	v_cmp_ge_i32_e32 vcc_lo, v22, v6
	v_cmp_lt_i32_e64 s9, v23, v15
	s_or_b32 s10, vcc_lo, s10
	s_and_b32 s9, s9, s10
	s_xor_b32 s10, s9, -1
	s_and_saveexec_b32 s11, s10
	s_xor_b32 s10, exec_lo, s11
; %bb.63:
	v_add_nc_u32_e32 v24, v4, v22
	ds_read_u8 v24, v24 offset:1
; %bb.64:
	s_or_saveexec_b32 s10, s10
	v_mov_b32_e32 v25, v21
	s_xor_b32 exec_lo, exec_lo, s10
	s_cbranch_execz .LBB119_66
; %bb.65:
	s_waitcnt lgkmcnt(0)
	v_add_nc_u32_e32 v24, v4, v23
	ds_read_u8 v25, v24 offset:1
	v_mov_b32_e32 v24, v20
.LBB119_66:
	s_or_b32 exec_lo, exec_lo, s10
	v_add_nc_u32_e32 v26, 1, v22
	v_add_nc_u32_e32 v27, 1, v23
	s_waitcnt lgkmcnt(0)
	v_cmp_lt_u16_sdwa s11, v25, v24 src0_sel:BYTE_0 src1_sel:BYTE_0
                                        ; implicit-def: $vgpr28
	v_cndmask_b32_e64 v26, v26, v22, s9
	v_cndmask_b32_e64 v27, v23, v27, s9
	v_cmp_ge_i32_e32 vcc_lo, v26, v6
	v_cmp_lt_i32_e64 s10, v27, v15
	s_or_b32 s11, vcc_lo, s11
	s_and_b32 s10, s10, s11
	s_xor_b32 s11, s10, -1
	s_and_saveexec_b32 s12, s11
	s_xor_b32 s11, exec_lo, s12
; %bb.67:
	v_add_nc_u32_e32 v28, v4, v26
	ds_read_u8 v28, v28 offset:1
; %bb.68:
	s_or_saveexec_b32 s11, s11
	v_mov_b32_e32 v29, v25
	s_xor_b32 exec_lo, exec_lo, s11
	s_cbranch_execz .LBB119_70
; %bb.69:
	s_waitcnt lgkmcnt(0)
	v_add_nc_u32_e32 v28, v4, v27
	ds_read_u8 v29, v28 offset:1
	v_mov_b32_e32 v28, v24
.LBB119_70:
	s_or_b32 exec_lo, exec_lo, s11
	v_add_nc_u32_e32 v30, 1, v26
	v_add_nc_u32_e32 v31, 1, v27
	s_waitcnt lgkmcnt(0)
	v_cmp_lt_u16_sdwa s12, v29, v28 src0_sel:BYTE_0 src1_sel:BYTE_0
                                        ; implicit-def: $vgpr32
	v_cndmask_b32_e64 v30, v30, v26, s10
	v_cndmask_b32_e64 v31, v27, v31, s10
	v_cmp_ge_i32_e32 vcc_lo, v30, v6
	v_cmp_lt_i32_e64 s11, v31, v15
	s_or_b32 s12, vcc_lo, s12
	s_and_b32 s11, s11, s12
	s_xor_b32 s12, s11, -1
	s_and_saveexec_b32 s13, s12
	s_xor_b32 s12, exec_lo, s13
; %bb.71:
	v_add_nc_u32_e32 v32, v4, v30
	ds_read_u8 v32, v32 offset:1
; %bb.72:
	s_or_saveexec_b32 s12, s12
	v_mov_b32_e32 v33, v29
	s_xor_b32 exec_lo, exec_lo, s12
	s_cbranch_execz .LBB119_74
; %bb.73:
	s_waitcnt lgkmcnt(0)
	v_add_nc_u32_e32 v32, v4, v31
	ds_read_u8 v33, v32 offset:1
	v_mov_b32_e32 v32, v28
.LBB119_74:
	s_or_b32 exec_lo, exec_lo, s12
	v_add_nc_u32_e32 v34, 1, v30
	v_add_nc_u32_e32 v35, 1, v31
	s_waitcnt lgkmcnt(0)
	v_cmp_lt_u16_sdwa s13, v33, v32 src0_sel:BYTE_0 src1_sel:BYTE_0
                                        ; implicit-def: $vgpr36
	v_cndmask_b32_e64 v34, v34, v30, s11
	v_cndmask_b32_e64 v35, v31, v35, s11
	v_cmp_ge_i32_e32 vcc_lo, v34, v6
	v_cmp_lt_i32_e64 s12, v35, v15
	s_or_b32 s13, vcc_lo, s13
	s_and_b32 s12, s12, s13
	s_xor_b32 s13, s12, -1
	s_and_saveexec_b32 s14, s13
	s_xor_b32 s13, exec_lo, s14
; %bb.75:
	v_add_nc_u32_e32 v36, v4, v34
	ds_read_u8 v36, v36 offset:1
; %bb.76:
	s_or_saveexec_b32 s13, s13
	v_mov_b32_e32 v38, v33
	s_xor_b32 exec_lo, exec_lo, s13
	s_cbranch_execz .LBB119_78
; %bb.77:
	s_waitcnt lgkmcnt(0)
	v_add_nc_u32_e32 v36, v4, v35
	ds_read_u8 v38, v36 offset:1
	v_mov_b32_e32 v36, v32
.LBB119_78:
	s_or_b32 exec_lo, exec_lo, s13
	v_add_nc_u32_e32 v37, 1, v34
	v_add_nc_u32_e32 v39, 1, v35
	s_waitcnt lgkmcnt(0)
	v_cmp_lt_u16_sdwa s14, v38, v36 src0_sel:BYTE_0 src1_sel:BYTE_0
                                        ; implicit-def: $vgpr42
	v_cndmask_b32_e64 v40, v37, v34, s12
	v_cndmask_b32_e64 v41, v35, v39, s12
	v_cmp_ge_i32_e32 vcc_lo, v40, v6
	v_cmp_lt_i32_e64 s13, v41, v15
	s_or_b32 s14, vcc_lo, s14
	s_and_b32 vcc_lo, s13, s14
	s_xor_b32 s13, vcc_lo, -1
	s_and_saveexec_b32 s14, s13
	s_xor_b32 s13, exec_lo, s14
; %bb.79:
	v_add_nc_u32_e32 v37, v4, v40
	ds_read_u8 v42, v37 offset:1
; %bb.80:
	s_or_saveexec_b32 s13, s13
	v_mov_b32_e32 v43, v38
	s_xor_b32 exec_lo, exec_lo, s13
	s_cbranch_execz .LBB119_82
; %bb.81:
	v_add_nc_u32_e32 v37, v4, v41
	s_waitcnt lgkmcnt(0)
	v_mov_b32_e32 v42, v36
	ds_read_u8 v43, v37 offset:1
.LBB119_82:
	s_or_b32 exec_lo, exec_lo, s13
	v_add_nc_u32_e32 v37, 1, v40
	v_add_nc_u32_e32 v39, 1, v41
	s_waitcnt lgkmcnt(0)
	v_cmp_lt_u16_sdwa s15, v43, v42 src0_sel:BYTE_0 src1_sel:BYTE_0
	v_cndmask_b32_e32 v44, v37, v40, vcc_lo
	v_cndmask_b32_e32 v45, v41, v39, vcc_lo
                                        ; implicit-def: $vgpr37
	v_cmp_ge_i32_e64 s13, v44, v6
	v_cmp_lt_i32_e64 s14, v45, v15
	s_or_b32 s13, s13, s15
	s_and_b32 s13, s14, s13
	s_xor_b32 s14, s13, -1
	s_and_saveexec_b32 s15, s14
	s_xor_b32 s14, exec_lo, s15
; %bb.83:
	v_add_nc_u32_e32 v37, v4, v44
	ds_read_u8 v37, v37 offset:1
; %bb.84:
	s_or_saveexec_b32 s14, s14
	v_mov_b32_e32 v39, v43
	s_xor_b32 exec_lo, exec_lo, s14
	s_cbranch_execz .LBB119_86
; %bb.85:
	s_waitcnt lgkmcnt(0)
	v_add_nc_u32_e32 v37, v4, v45
	ds_read_u8 v39, v37 offset:1
	v_mov_b32_e32 v37, v42
.LBB119_86:
	s_or_b32 exec_lo, exec_lo, s14
	v_add_nc_u32_e32 v46, 1, v45
	v_add_nc_u32_e32 v47, 1, v44
	v_cndmask_b32_e64 v42, v42, v43, s13
	v_perm_b32 v7, v7, v12, 0xc0c0004
	v_perm_b32 v12, v13, v14, 0xc0c0004
	v_cndmask_b32_e64 v43, v45, v46, s13
	v_perm_b32 v0, v0, v1, 0xc0c0004
	v_perm_b32 v3, v3, v5, 0xc0c0004
	v_and_b32_e32 v5, 64, v11
	v_cndmask_b32_e64 v46, v47, v44, s13
	v_cndmask_b32_e64 v18, v18, v19, s8
	;; [unrolled: 1-line block ×3, first 2 shown]
	v_cmp_lt_i32_e64 s8, v43, v15
	v_lshl_or_b32 v1, v12, 16, v7
	v_lshl_or_b32 v0, v3, 16, v0
	v_min_i32_e32 v15, v10, v5
	v_cndmask_b32_sdwa v36, v36, v38, vcc_lo dst_sel:BYTE_1 dst_unused:UNUSED_PAD src0_sel:DWORD src1_sel:DWORD
	v_cndmask_b32_e32 v38, v40, v41, vcc_lo
	v_cmp_ge_i32_e32 vcc_lo, v46, v6
	v_cndmask_b32_e64 v6, v22, v23, s9
	; wave barrier
	ds_write_b64 v2, v[0:1]
	v_add_nc_u32_e32 v0, 32, v15
	v_cndmask_b32_e64 v24, v24, v25, s10
	v_cndmask_b32_e64 v25, v26, v27, s10
	s_waitcnt lgkmcnt(1)
	v_cmp_lt_u16_sdwa s10, v39, v37 src0_sel:BYTE_0 src1_sel:BYTE_0
	v_add_nc_u32_e32 v5, v4, v6
	v_min_i32_e32 v6, v10, v0
	v_cndmask_b32_e64 v20, v20, v21, s9
	v_cndmask_b32_e64 v28, v28, v29, s11
	s_or_b32 s9, vcc_lo, s10
	v_cndmask_b32_e64 v29, v30, v31, s11
	s_and_b32 vcc_lo, s8, s9
	v_cndmask_b32_e64 v32, v32, v33, s12
	v_cndmask_b32_e64 v33, v34, v35, s12
	;; [unrolled: 1-line block ×3, first 2 shown]
	v_cndmask_b32_e32 v3, v46, v43, vcc_lo
	v_add_nc_u32_e32 v1, v4, v16
	v_add_nc_u32_e32 v0, 32, v6
	;; [unrolled: 1-line block ×5, first 2 shown]
	; wave barrier
	v_add_nc_u32_e32 v16, v4, v38
	v_add_nc_u32_e32 v19, v4, v44
	;; [unrolled: 1-line block ×3, first 2 shown]
	v_and_b32_e32 v22, 56, v11
	v_min_i32_e32 v14, v10, v0
	ds_read_u8 v0, v1
	ds_read_u8 v1, v5
	;; [unrolled: 1-line block ×8, first 2 shown]
	v_cndmask_b32_e32 v17, v37, v39, vcc_lo
	v_lshlrev_b16 v20, 8, v20
	v_lshlrev_b16 v19, 8, v28
	v_min_i32_e32 v16, v10, v22
	v_sub_nc_u32_e32 v21, v14, v6
	v_lshlrev_b16 v17, 8, v17
	v_or_b32_sdwa v18, v18, v20 dst_sel:DWORD dst_unused:UNUSED_PAD src0_sel:BYTE_0 src1_sel:DWORD
	v_or_b32_sdwa v19, v24, v19 dst_sel:WORD_1 dst_unused:UNUSED_PAD src0_sel:BYTE_0 src1_sel:DWORD
	v_or_b32_sdwa v20, v32, v36 dst_sel:DWORD dst_unused:UNUSED_PAD src0_sel:BYTE_0 src1_sel:DWORD
	v_sub_nc_u32_e32 v22, v16, v21
	v_sub_nc_u32_e32 v23, v6, v15
	v_or_b32_sdwa v24, v42, v17 dst_sel:WORD_1 dst_unused:UNUSED_PAD src0_sel:BYTE_0 src1_sel:DWORD
	v_cmp_ge_i32_e32 vcc_lo, v16, v21
	v_or_b32_sdwa v19, v18, v19 dst_sel:DWORD dst_unused:UNUSED_PAD src0_sel:WORD_0 src1_sel:DWORD
	s_mov_b32 s9, 0
	v_min_i32_e32 v18, v16, v23
	v_or_b32_sdwa v20, v20, v24 dst_sel:DWORD dst_unused:UNUSED_PAD src0_sel:WORD_0 src1_sel:DWORD
	v_cndmask_b32_e32 v17, 0, v22, vcc_lo
	s_mov_b32 s8, exec_lo
	; wave barrier
	ds_write_b64 v2, v[19:20]
	; wave barrier
	v_cmpx_lt_i32_e64 v17, v18
	s_cbranch_execz .LBB119_90
; %bb.87:
	v_add_nc_u32_e32 v19, v4, v15
	v_add3_u32 v20, v4, v6, v16
	.p2align	6
.LBB119_88:                             ; =>This Inner Loop Header: Depth=1
	v_sub_nc_u32_e32 v21, v18, v17
	v_lshrrev_b32_e32 v21, 1, v21
	v_add_nc_u32_e32 v21, v21, v17
	v_add_nc_u32_e32 v22, v19, v21
	v_xad_u32 v23, v21, -1, v20
	v_add_nc_u32_e32 v24, 1, v21
	ds_read_u8 v22, v22
	ds_read_u8 v23, v23
	s_waitcnt lgkmcnt(0)
	v_cmp_lt_u16_e32 vcc_lo, v23, v22
	v_cndmask_b32_e32 v18, v18, v21, vcc_lo
	v_cndmask_b32_e32 v17, v24, v17, vcc_lo
	v_cmp_ge_i32_e32 vcc_lo, v17, v18
	s_or_b32 s9, vcc_lo, s9
	s_andn2_b32 exec_lo, exec_lo, s9
	s_cbranch_execnz .LBB119_88
; %bb.89:
	s_or_b32 exec_lo, exec_lo, s9
.LBB119_90:
	s_or_b32 exec_lo, exec_lo, s8
	v_add_nc_u32_e32 v16, v6, v16
	v_add_nc_u32_e32 v15, v17, v15
                                        ; implicit-def: $vgpr19
	v_sub_nc_u32_e32 v16, v16, v17
	v_add_nc_u32_e32 v20, v4, v15
	v_cmp_le_i32_e32 vcc_lo, v6, v15
	v_add_nc_u32_e32 v21, v4, v16
	v_cmp_gt_i32_e64 s8, v14, v16
	ds_read_u8 v17, v20
	ds_read_u8 v18, v21
	s_waitcnt lgkmcnt(0)
	v_cmp_lt_u16_sdwa s9, v18, v17 src0_sel:BYTE_0 src1_sel:BYTE_0
	s_or_b32 s9, vcc_lo, s9
	s_and_b32 s8, s8, s9
	s_xor_b32 s9, s8, -1
	s_and_saveexec_b32 s10, s9
	s_xor_b32 s9, exec_lo, s10
; %bb.91:
	ds_read_u8 v19, v20 offset:1
                                        ; implicit-def: $vgpr21
; %bb.92:
	s_or_saveexec_b32 s9, s9
	v_mov_b32_e32 v20, v18
	s_xor_b32 exec_lo, exec_lo, s9
	s_cbranch_execz .LBB119_94
; %bb.93:
	ds_read_u8 v20, v21 offset:1
	s_waitcnt lgkmcnt(1)
	v_mov_b32_e32 v19, v17
.LBB119_94:
	s_or_b32 exec_lo, exec_lo, s9
	v_add_nc_u32_e32 v21, 1, v15
	v_add_nc_u32_e32 v22, 1, v16
	s_waitcnt lgkmcnt(0)
	v_cmp_lt_u16_sdwa s10, v20, v19 src0_sel:BYTE_0 src1_sel:BYTE_0
                                        ; implicit-def: $vgpr23
	v_cndmask_b32_e64 v21, v21, v15, s8
	v_cndmask_b32_e64 v22, v16, v22, s8
	v_cmp_ge_i32_e32 vcc_lo, v21, v6
	v_cmp_lt_i32_e64 s9, v22, v14
	s_or_b32 s10, vcc_lo, s10
	s_and_b32 s9, s9, s10
	s_xor_b32 s10, s9, -1
	s_and_saveexec_b32 s11, s10
	s_xor_b32 s10, exec_lo, s11
; %bb.95:
	v_add_nc_u32_e32 v23, v4, v21
	ds_read_u8 v23, v23 offset:1
; %bb.96:
	s_or_saveexec_b32 s10, s10
	v_mov_b32_e32 v24, v20
	s_xor_b32 exec_lo, exec_lo, s10
	s_cbranch_execz .LBB119_98
; %bb.97:
	s_waitcnt lgkmcnt(0)
	v_add_nc_u32_e32 v23, v4, v22
	ds_read_u8 v24, v23 offset:1
	v_mov_b32_e32 v23, v19
.LBB119_98:
	s_or_b32 exec_lo, exec_lo, s10
	v_add_nc_u32_e32 v25, 1, v21
	v_add_nc_u32_e32 v26, 1, v22
	s_waitcnt lgkmcnt(0)
	v_cmp_lt_u16_sdwa s11, v24, v23 src0_sel:BYTE_0 src1_sel:BYTE_0
                                        ; implicit-def: $vgpr27
	v_cndmask_b32_e64 v25, v25, v21, s9
	v_cndmask_b32_e64 v26, v22, v26, s9
	v_cmp_ge_i32_e32 vcc_lo, v25, v6
	v_cmp_lt_i32_e64 s10, v26, v14
	s_or_b32 s11, vcc_lo, s11
	s_and_b32 s10, s10, s11
	s_xor_b32 s11, s10, -1
	s_and_saveexec_b32 s12, s11
	s_xor_b32 s11, exec_lo, s12
; %bb.99:
	v_add_nc_u32_e32 v27, v4, v25
	ds_read_u8 v27, v27 offset:1
; %bb.100:
	s_or_saveexec_b32 s11, s11
	v_mov_b32_e32 v28, v24
	s_xor_b32 exec_lo, exec_lo, s11
	s_cbranch_execz .LBB119_102
; %bb.101:
	s_waitcnt lgkmcnt(0)
	v_add_nc_u32_e32 v27, v4, v26
	ds_read_u8 v28, v27 offset:1
	v_mov_b32_e32 v27, v23
.LBB119_102:
	s_or_b32 exec_lo, exec_lo, s11
	v_add_nc_u32_e32 v29, 1, v25
	v_add_nc_u32_e32 v30, 1, v26
	s_waitcnt lgkmcnt(0)
	v_cmp_lt_u16_sdwa s12, v28, v27 src0_sel:BYTE_0 src1_sel:BYTE_0
                                        ; implicit-def: $vgpr31
	v_cndmask_b32_e64 v29, v29, v25, s10
	v_cndmask_b32_e64 v30, v26, v30, s10
	v_cmp_ge_i32_e32 vcc_lo, v29, v6
	v_cmp_lt_i32_e64 s11, v30, v14
	s_or_b32 s12, vcc_lo, s12
	s_and_b32 s11, s11, s12
	s_xor_b32 s12, s11, -1
	s_and_saveexec_b32 s13, s12
	s_xor_b32 s12, exec_lo, s13
; %bb.103:
	v_add_nc_u32_e32 v31, v4, v29
	ds_read_u8 v31, v31 offset:1
; %bb.104:
	s_or_saveexec_b32 s12, s12
	v_mov_b32_e32 v32, v28
	s_xor_b32 exec_lo, exec_lo, s12
	s_cbranch_execz .LBB119_106
; %bb.105:
	s_waitcnt lgkmcnt(0)
	v_add_nc_u32_e32 v31, v4, v30
	ds_read_u8 v32, v31 offset:1
	v_mov_b32_e32 v31, v27
.LBB119_106:
	s_or_b32 exec_lo, exec_lo, s12
	v_add_nc_u32_e32 v33, 1, v29
	v_add_nc_u32_e32 v34, 1, v30
	s_waitcnt lgkmcnt(0)
	v_cmp_lt_u16_sdwa s13, v32, v31 src0_sel:BYTE_0 src1_sel:BYTE_0
                                        ; implicit-def: $vgpr35
	v_cndmask_b32_e64 v33, v33, v29, s11
	v_cndmask_b32_e64 v34, v30, v34, s11
	v_cmp_ge_i32_e32 vcc_lo, v33, v6
	v_cmp_lt_i32_e64 s12, v34, v14
	s_or_b32 s13, vcc_lo, s13
	s_and_b32 s12, s12, s13
	s_xor_b32 s13, s12, -1
	s_and_saveexec_b32 s14, s13
	s_xor_b32 s13, exec_lo, s14
; %bb.107:
	v_add_nc_u32_e32 v35, v4, v33
	ds_read_u8 v35, v35 offset:1
; %bb.108:
	s_or_saveexec_b32 s13, s13
	v_mov_b32_e32 v36, v32
	s_xor_b32 exec_lo, exec_lo, s13
	s_cbranch_execz .LBB119_110
; %bb.109:
	s_waitcnt lgkmcnt(0)
	v_add_nc_u32_e32 v35, v4, v34
	ds_read_u8 v36, v35 offset:1
	v_mov_b32_e32 v35, v31
.LBB119_110:
	s_or_b32 exec_lo, exec_lo, s13
	v_add_nc_u32_e32 v37, 1, v33
	v_add_nc_u32_e32 v38, 1, v34
	s_waitcnt lgkmcnt(0)
	v_cmp_lt_u16_sdwa s14, v36, v35 src0_sel:BYTE_0 src1_sel:BYTE_0
                                        ; implicit-def: $vgpr39
	v_cndmask_b32_e64 v37, v37, v33, s12
	v_cndmask_b32_e64 v38, v34, v38, s12
	v_cmp_ge_i32_e32 vcc_lo, v37, v6
	v_cmp_lt_i32_e64 s13, v38, v14
	s_or_b32 s14, vcc_lo, s14
	s_and_b32 vcc_lo, s13, s14
	s_xor_b32 s13, vcc_lo, -1
	s_and_saveexec_b32 s14, s13
	s_xor_b32 s13, exec_lo, s14
; %bb.111:
	v_add_nc_u32_e32 v39, v4, v37
	ds_read_u8 v39, v39 offset:1
; %bb.112:
	s_or_saveexec_b32 s13, s13
	v_mov_b32_e32 v41, v36
	s_xor_b32 exec_lo, exec_lo, s13
	s_cbranch_execz .LBB119_114
; %bb.113:
	s_waitcnt lgkmcnt(0)
	v_add_nc_u32_e32 v39, v4, v38
	ds_read_u8 v41, v39 offset:1
	v_mov_b32_e32 v39, v35
.LBB119_114:
	s_or_b32 exec_lo, exec_lo, s13
	v_add_nc_u32_e32 v40, 1, v37
	v_add_nc_u32_e32 v42, 1, v38
	s_waitcnt lgkmcnt(0)
	v_cmp_lt_u16_sdwa s15, v41, v39 src0_sel:BYTE_0 src1_sel:BYTE_0
	v_cndmask_b32_e32 v43, v40, v37, vcc_lo
	v_cndmask_b32_e32 v44, v38, v42, vcc_lo
                                        ; implicit-def: $vgpr40
	v_cmp_ge_i32_e64 s13, v43, v6
	v_cmp_lt_i32_e64 s14, v44, v14
	s_or_b32 s13, s13, s15
	s_and_b32 s13, s14, s13
	s_xor_b32 s14, s13, -1
	s_and_saveexec_b32 s15, s14
	s_xor_b32 s14, exec_lo, s15
; %bb.115:
	v_add_nc_u32_e32 v40, v4, v43
	ds_read_u8 v40, v40 offset:1
; %bb.116:
	s_or_saveexec_b32 s14, s14
	v_mov_b32_e32 v42, v41
	s_xor_b32 exec_lo, exec_lo, s14
	s_cbranch_execz .LBB119_118
; %bb.117:
	s_waitcnt lgkmcnt(0)
	v_add_nc_u32_e32 v40, v4, v44
	ds_read_u8 v42, v40 offset:1
	v_mov_b32_e32 v40, v39
.LBB119_118:
	s_or_b32 exec_lo, exec_lo, s14
	v_add_nc_u32_e32 v45, 1, v44
	v_add_nc_u32_e32 v46, 1, v43
	v_cndmask_b32_e64 v39, v39, v41, s13
	v_perm_b32 v7, v7, v11, 0xc0c0004
	v_perm_b32 v11, v12, v13, 0xc0c0004
	v_cndmask_b32_e64 v41, v44, v45, s13
	v_cndmask_b32_e64 v45, v46, v43, s13
	v_perm_b32 v0, v0, v1, 0xc0c0004
	v_perm_b32 v3, v3, v5, 0xc0c0004
	v_cndmask_b32_sdwa v35, v35, v36, vcc_lo dst_sel:BYTE_1 dst_unused:UNUSED_PAD src0_sel:DWORD src1_sel:DWORD
	v_cndmask_b32_e32 v36, v37, v38, vcc_lo
	v_cndmask_b32_e64 v23, v23, v24, s10
	v_cndmask_b32_e64 v24, v25, v26, s10
	v_cmp_ge_i32_e32 vcc_lo, v45, v6
	s_waitcnt lgkmcnt(0)
	v_cmp_lt_u16_sdwa s10, v42, v40 src0_sel:BYTE_0 src1_sel:BYTE_0
	v_cndmask_b32_e64 v16, v15, v16, s8
	v_min_i32_e32 v15, 0, v10
	v_cndmask_b32_e64 v17, v17, v18, s8
	v_cmp_lt_i32_e64 s8, v41, v14
	v_lshl_or_b32 v1, v11, 16, v7
	v_lshl_or_b32 v0, v3, 16, v0
	v_cndmask_b32_e64 v19, v19, v20, s9
	v_cndmask_b32_e64 v6, v21, v22, s9
	s_or_b32 s9, vcc_lo, s10
	v_add_nc_u32_e32 v5, 64, v15
	v_cndmask_b32_e64 v27, v27, v28, s11
	v_cndmask_b32_e64 v28, v29, v30, s11
	s_and_b32 vcc_lo, s8, s9
	v_cndmask_b32_e64 v43, v43, v44, s13
	v_cndmask_b32_e64 v31, v31, v32, s12
	;; [unrolled: 1-line block ×3, first 2 shown]
	v_cndmask_b32_e32 v3, v45, v41, vcc_lo
	; wave barrier
	ds_write_b64 v2, v[0:1]
	v_add_nc_u32_e32 v1, v4, v16
	v_min_i32_e32 v14, v10, v5
	v_add_nc_u32_e32 v5, v4, v6
	v_add_nc_u32_e32 v6, v4, v24
	;; [unrolled: 1-line block ×6, first 2 shown]
	; wave barrier
	v_add_nc_u32_e32 v16, v4, v3
	ds_read_u8 v1, v1
	ds_read_u8 v3, v5
	;; [unrolled: 1-line block ×8, first 2 shown]
	v_add_nc_u32_e32 v0, 64, v14
	v_cndmask_b32_e32 v18, v40, v42, vcc_lo
	v_lshlrev_b16 v19, 8, v19
	v_lshlrev_b16 v16, 8, v27
	v_sub_nc_u32_e32 v22, v14, v15
	v_min_i32_e32 v0, v10, v0
	v_min_i32_e32 v10, v10, v8
	v_lshlrev_b16 v18, 8, v18
	v_or_b32_sdwa v17, v17, v19 dst_sel:DWORD dst_unused:UNUSED_PAD src0_sel:BYTE_0 src1_sel:DWORD
	v_or_b32_sdwa v16, v23, v16 dst_sel:WORD_1 dst_unused:UNUSED_PAD src0_sel:BYTE_0 src1_sel:DWORD
	v_sub_nc_u32_e32 v20, v0, v14
	v_or_b32_sdwa v19, v31, v35 dst_sel:DWORD dst_unused:UNUSED_PAD src0_sel:BYTE_0 src1_sel:DWORD
	v_or_b32_sdwa v23, v39, v18 dst_sel:WORD_1 dst_unused:UNUSED_PAD src0_sel:BYTE_0 src1_sel:DWORD
	s_mov_b32 s9, 0
	v_or_b32_sdwa v18, v17, v16 dst_sel:DWORD dst_unused:UNUSED_PAD src0_sel:WORD_0 src1_sel:DWORD
	v_sub_nc_u32_e32 v21, v10, v20
	v_cmp_ge_i32_e32 vcc_lo, v10, v20
	v_min_i32_e32 v17, v10, v22
	v_or_b32_sdwa v19, v19, v23 dst_sel:DWORD dst_unused:UNUSED_PAD src0_sel:WORD_0 src1_sel:DWORD
	s_mov_b32 s8, exec_lo
	v_cndmask_b32_e32 v16, 0, v21, vcc_lo
	; wave barrier
	ds_write_b64 v2, v[18:19]
	; wave barrier
	v_cmpx_lt_i32_e64 v16, v17
	s_cbranch_execz .LBB119_122
; %bb.119:
	v_add_nc_u32_e32 v18, v4, v15
	v_add3_u32 v19, v4, v14, v10
	.p2align	6
.LBB119_120:                            ; =>This Inner Loop Header: Depth=1
	v_sub_nc_u32_e32 v20, v17, v16
	v_lshrrev_b32_e32 v20, 1, v20
	v_add_nc_u32_e32 v20, v20, v16
	v_add_nc_u32_e32 v21, v18, v20
	v_xad_u32 v22, v20, -1, v19
	v_add_nc_u32_e32 v23, 1, v20
	ds_read_u8 v21, v21
	ds_read_u8 v22, v22
	s_waitcnt lgkmcnt(0)
	v_cmp_lt_u16_e32 vcc_lo, v22, v21
	v_cndmask_b32_e32 v17, v17, v20, vcc_lo
	v_cndmask_b32_e32 v16, v23, v16, vcc_lo
	v_cmp_ge_i32_e32 vcc_lo, v16, v17
	s_or_b32 s9, vcc_lo, s9
	s_andn2_b32 exec_lo, exec_lo, s9
	s_cbranch_execnz .LBB119_120
; %bb.121:
	s_or_b32 exec_lo, exec_lo, s9
.LBB119_122:
	s_or_b32 exec_lo, exec_lo, s8
	v_add_nc_u32_e32 v17, v14, v10
	v_add_nc_u32_e32 v10, v16, v15
                                        ; implicit-def: $vgpr20
	v_sub_nc_u32_e32 v15, v17, v16
	v_add_nc_u32_e32 v17, v4, v10
	v_cmp_le_i32_e32 vcc_lo, v14, v10
	v_add_nc_u32_e32 v16, v4, v15
	v_cmp_gt_i32_e64 s8, v0, v15
	ds_read_u8 v18, v17
	ds_read_u8 v19, v16
	s_waitcnt lgkmcnt(0)
	v_cmp_lt_u16_sdwa s9, v19, v18 src0_sel:BYTE_0 src1_sel:BYTE_0
	s_or_b32 s9, vcc_lo, s9
	s_and_b32 s8, s8, s9
	s_xor_b32 s9, s8, -1
	s_and_saveexec_b32 s10, s9
	s_xor_b32 s9, exec_lo, s10
; %bb.123:
	ds_read_u8 v20, v17 offset:1
                                        ; implicit-def: $vgpr16
; %bb.124:
	s_or_saveexec_b32 s9, s9
	v_mov_b32_e32 v21, v19
	s_xor_b32 exec_lo, exec_lo, s9
	s_cbranch_execz .LBB119_126
; %bb.125:
	ds_read_u8 v21, v16 offset:1
	s_waitcnt lgkmcnt(1)
	v_mov_b32_e32 v20, v18
.LBB119_126:
	s_or_b32 exec_lo, exec_lo, s9
	v_add_nc_u32_e32 v16, 1, v10
	v_add_nc_u32_e32 v17, 1, v15
	s_waitcnt lgkmcnt(0)
	v_cmp_lt_u16_sdwa s10, v21, v20 src0_sel:BYTE_0 src1_sel:BYTE_0
                                        ; implicit-def: $vgpr22
	v_cndmask_b32_e64 v16, v16, v10, s8
	v_cndmask_b32_e64 v17, v15, v17, s8
	v_cmp_ge_i32_e32 vcc_lo, v16, v14
	v_cmp_lt_i32_e64 s9, v17, v0
	s_or_b32 s10, vcc_lo, s10
	s_and_b32 vcc_lo, s9, s10
	s_xor_b32 s9, vcc_lo, -1
	s_and_saveexec_b32 s10, s9
	s_xor_b32 s9, exec_lo, s10
; %bb.127:
	v_add_nc_u32_e32 v22, v4, v16
	ds_read_u8 v22, v22 offset:1
; %bb.128:
	s_or_saveexec_b32 s9, s9
	v_mov_b32_e32 v23, v21
	s_xor_b32 exec_lo, exec_lo, s9
	s_cbranch_execz .LBB119_130
; %bb.129:
	s_waitcnt lgkmcnt(0)
	v_add_nc_u32_e32 v22, v4, v17
	ds_read_u8 v23, v22 offset:1
	v_mov_b32_e32 v22, v20
.LBB119_130:
	s_or_b32 exec_lo, exec_lo, s9
	v_add_nc_u32_e32 v24, 1, v16
	v_add_nc_u32_e32 v25, 1, v17
	s_waitcnt lgkmcnt(0)
	v_cmp_lt_u16_sdwa s11, v23, v22 src0_sel:BYTE_0 src1_sel:BYTE_0
                                        ; implicit-def: $vgpr26
	v_cndmask_b32_e32 v24, v24, v16, vcc_lo
	v_cndmask_b32_e32 v25, v17, v25, vcc_lo
	v_cmp_ge_i32_e64 s9, v24, v14
	v_cmp_lt_i32_e64 s10, v25, v0
	s_or_b32 s9, s9, s11
	s_and_b32 s9, s10, s9
	s_xor_b32 s10, s9, -1
	s_and_saveexec_b32 s11, s10
	s_xor_b32 s10, exec_lo, s11
; %bb.131:
	v_add_nc_u32_e32 v26, v4, v24
	ds_read_u8 v26, v26 offset:1
; %bb.132:
	s_or_saveexec_b32 s10, s10
	v_mov_b32_e32 v27, v23
	s_xor_b32 exec_lo, exec_lo, s10
	s_cbranch_execz .LBB119_134
; %bb.133:
	s_waitcnt lgkmcnt(0)
	v_add_nc_u32_e32 v26, v4, v25
	ds_read_u8 v27, v26 offset:1
	v_mov_b32_e32 v26, v22
.LBB119_134:
	s_or_b32 exec_lo, exec_lo, s10
	v_add_nc_u32_e32 v28, 1, v24
	v_add_nc_u32_e32 v29, 1, v25
	s_waitcnt lgkmcnt(0)
	v_cmp_lt_u16_sdwa s12, v27, v26 src0_sel:BYTE_0 src1_sel:BYTE_0
                                        ; implicit-def: $vgpr30
	v_cndmask_b32_e64 v28, v28, v24, s9
	v_cndmask_b32_e64 v29, v25, v29, s9
	v_cmp_ge_i32_e64 s10, v28, v14
	v_cmp_lt_i32_e64 s11, v29, v0
	s_or_b32 s10, s10, s12
	s_and_b32 s10, s11, s10
	s_xor_b32 s11, s10, -1
	s_and_saveexec_b32 s12, s11
	s_xor_b32 s11, exec_lo, s12
; %bb.135:
	v_add_nc_u32_e32 v30, v4, v28
	ds_read_u8 v30, v30 offset:1
; %bb.136:
	s_or_saveexec_b32 s11, s11
	v_mov_b32_e32 v31, v27
	s_xor_b32 exec_lo, exec_lo, s11
	s_cbranch_execz .LBB119_138
; %bb.137:
	s_waitcnt lgkmcnt(0)
	v_add_nc_u32_e32 v30, v4, v29
	ds_read_u8 v31, v30 offset:1
	v_mov_b32_e32 v30, v26
.LBB119_138:
	s_or_b32 exec_lo, exec_lo, s11
	v_add_nc_u32_e32 v32, 1, v28
	v_add_nc_u32_e32 v33, 1, v29
	s_waitcnt lgkmcnt(0)
	v_cmp_lt_u16_sdwa s13, v31, v30 src0_sel:BYTE_0 src1_sel:BYTE_0
                                        ; implicit-def: $vgpr34
	v_cndmask_b32_e64 v32, v32, v28, s10
	v_cndmask_b32_e64 v33, v29, v33, s10
	v_cmp_ge_i32_e64 s11, v32, v14
	v_cmp_lt_i32_e64 s12, v33, v0
	s_or_b32 s11, s11, s13
	s_and_b32 s11, s12, s11
	s_xor_b32 s12, s11, -1
	s_and_saveexec_b32 s13, s12
	s_xor_b32 s12, exec_lo, s13
; %bb.139:
	v_add_nc_u32_e32 v34, v4, v32
	ds_read_u8 v34, v34 offset:1
; %bb.140:
	s_or_saveexec_b32 s12, s12
	v_mov_b32_e32 v35, v31
	s_xor_b32 exec_lo, exec_lo, s12
	s_cbranch_execz .LBB119_142
; %bb.141:
	s_waitcnt lgkmcnt(0)
	v_add_nc_u32_e32 v34, v4, v33
	ds_read_u8 v35, v34 offset:1
	v_mov_b32_e32 v34, v30
.LBB119_142:
	s_or_b32 exec_lo, exec_lo, s12
	v_add_nc_u32_e32 v36, 1, v32
	v_add_nc_u32_e32 v38, 1, v33
	s_waitcnt lgkmcnt(0)
	v_cmp_lt_u16_sdwa s14, v35, v34 src0_sel:BYTE_0 src1_sel:BYTE_0
                                        ; implicit-def: $vgpr42
	v_cndmask_b32_e64 v37, v36, v32, s11
	v_cndmask_b32_e64 v38, v33, v38, s11
	v_cmp_ge_i32_e64 s12, v37, v14
	v_cmp_lt_i32_e64 s13, v38, v0
	s_or_b32 s12, s12, s14
	s_and_b32 s12, s13, s12
	s_xor_b32 s13, s12, -1
	s_and_saveexec_b32 s14, s13
	s_xor_b32 s13, exec_lo, s14
; %bb.143:
	v_add_nc_u32_e32 v36, v4, v37
	ds_read_u8 v42, v36 offset:1
; %bb.144:
	s_or_saveexec_b32 s13, s13
	v_mov_b32_e32 v44, v35
	s_xor_b32 exec_lo, exec_lo, s13
	s_cbranch_execz .LBB119_146
; %bb.145:
	v_add_nc_u32_e32 v36, v4, v38
	s_waitcnt lgkmcnt(0)
	v_mov_b32_e32 v42, v34
	ds_read_u8 v44, v36 offset:1
.LBB119_146:
	s_or_b32 exec_lo, exec_lo, s13
	v_add_nc_u32_e32 v36, 1, v37
	v_add_nc_u32_e32 v39, 1, v38
	s_waitcnt lgkmcnt(0)
	v_cmp_lt_u16_sdwa s15, v44, v42 src0_sel:BYTE_0 src1_sel:BYTE_0
                                        ; implicit-def: $vgpr41
	v_cndmask_b32_e64 v45, v36, v37, s12
	v_cndmask_b32_e64 v36, v38, v39, s12
                                        ; implicit-def: $vgpr39
	v_cmp_ge_i32_e64 s13, v45, v14
	v_cmp_lt_i32_e64 s14, v36, v0
	s_or_b32 s13, s13, s15
	s_and_b32 s13, s14, s13
	s_xor_b32 s14, s13, -1
	s_and_saveexec_b32 s15, s14
	s_xor_b32 s14, exec_lo, s15
; %bb.147:
	v_add_nc_u32_e32 v39, v4, v45
	ds_read_u8 v41, v39 offset:1
	v_add_nc_u32_e32 v39, 1, v45
; %bb.148:
	s_or_saveexec_b32 s14, s14
	v_mov_b32_e32 v40, v45
	v_mov_b32_e32 v43, v44
	s_xor_b32 exec_lo, exec_lo, s14
	s_cbranch_execz .LBB119_150
; %bb.149:
	v_add_nc_u32_e32 v39, v4, v36
	s_waitcnt lgkmcnt(0)
	v_add_nc_u32_e32 v41, 1, v36
	v_mov_b32_e32 v40, v36
	ds_read_u8 v43, v39 offset:1
	v_mov_b32_e32 v39, v45
	v_mov_b32_e32 v36, v41
	;; [unrolled: 1-line block ×3, first 2 shown]
.LBB119_150:
	s_or_b32 exec_lo, exec_lo, s14
	v_perm_b32 v7, v7, v11, 0xc0c0004
	v_perm_b32 v11, v12, v13, 0xc0c0004
	;; [unrolled: 1-line block ×4, first 2 shown]
	v_cndmask_b32_e64 v6, v10, v15, s8
	v_cndmask_b32_e64 v18, v18, v19, s8
	v_cmp_lt_i32_e64 s8, v36, v0
	v_lshl_or_b32 v1, v11, 16, v7
	v_lshl_or_b32 v0, v5, 16, v3
	v_add_nc_u32_e32 v3, v4, v6
	; wave barrier
	v_cndmask_b32_sdwa v19, v20, v21, vcc_lo dst_sel:BYTE_1 dst_unused:UNUSED_PAD src0_sel:DWORD src1_sel:DWORD
	ds_write_b64 v2, v[0:1]
	; wave barrier
	ds_read_u8 v0, v3
	v_cndmask_b32_e64 v20, v22, v23, s9
	v_cndmask_b32_e64 v21, v26, v27, s10
	;; [unrolled: 1-line block ×4, first 2 shown]
	v_cmp_ge_i32_e64 s9, v39, v14
	s_waitcnt lgkmcnt(2)
	v_cmp_lt_u16_sdwa s10, v43, v41 src0_sel:BYTE_0 src1_sel:BYTE_0
	v_cndmask_b32_e64 v22, v30, v31, s11
	v_cndmask_b32_e64 v30, v32, v33, s11
	v_cndmask_b32_e32 v1, v16, v17, vcc_lo
	v_cndmask_b32_e64 v27, v37, v38, s12
	s_or_b32 s9, s9, s10
	v_add_nc_u32_e32 v6, v4, v24
	s_and_b32 vcc_lo, s8, s9
	v_add_nc_u32_e32 v7, v4, v30
	v_cndmask_b32_e32 v5, v39, v36, vcc_lo
	v_add_nc_u32_e32 v1, v4, v1
	v_add_nc_u32_e32 v10, v4, v28
	v_cndmask_b32_e64 v23, v34, v35, s12
	v_cndmask_b32_e32 v2, v41, v43, vcc_lo
	v_lshlrev_b16 v3, 8, v21
	v_add_nc_u32_e32 v11, v4, v27
	v_add_nc_u32_e32 v12, v4, v40
	;; [unrolled: 1-line block ×3, first 2 shown]
	s_waitcnt lgkmcnt(0)
	v_add_nc_u16 v0, v0, v18
	ds_read_u8 v5, v7
	ds_read_u8 v1, v1
	;; [unrolled: 1-line block ×7, first 2 shown]
	v_cndmask_b32_e64 v26, v42, v44, s13
	v_lshlrev_b16 v12, 8, v23
	v_lshlrev_b16 v2, 8, v2
	v_or_b32_sdwa v13, v18, v19 dst_sel:DWORD dst_unused:UNUSED_PAD src0_sel:BYTE_0 src1_sel:DWORD
	v_or_b32_sdwa v3, v20, v3 dst_sel:WORD_1 dst_unused:UNUSED_PAD src0_sel:BYTE_0 src1_sel:DWORD
	v_or_b32_sdwa v0, v0, v19 dst_sel:DWORD dst_unused:UNUSED_PAD src0_sel:BYTE_0 src1_sel:DWORD
	v_or_b32_sdwa v12, v22, v12 dst_sel:DWORD dst_unused:UNUSED_PAD src0_sel:BYTE_0 src1_sel:DWORD
	v_or_b32_sdwa v2, v26, v2 dst_sel:WORD_1 dst_unused:UNUSED_PAD src0_sel:BYTE_0 src1_sel:DWORD
	v_or_b32_sdwa v13, v13, v3 dst_sel:DWORD dst_unused:UNUSED_PAD src0_sel:WORD_0 src1_sel:DWORD
	v_or_b32_sdwa v0, v0, v3 dst_sel:DWORD dst_unused:UNUSED_PAD src0_sel:WORD_0 src1_sel:DWORD
	;; [unrolled: 1-line block ×3, first 2 shown]
	s_waitcnt lgkmcnt(6)
	v_add_nc_u16 v3, v12, v5
	v_cndmask_b32_e64 v0, v13, v0, s0
	v_perm_b32 v3, v3, v2, 0x3020104
	v_lshrrev_b32_e32 v5, 8, v0
	v_cndmask_b32_e64 v2, v2, v3, s4
	s_waitcnt lgkmcnt(5)
	v_add_nc_u16 v1, v5, v1
	v_mov_b32_e32 v5, 0xff
	v_lshrrev_b32_e32 v3, 8, v2
	v_lshlrev_b16 v1, 8, v1
	s_waitcnt lgkmcnt(2)
	v_add_nc_u16 v3, v3, v10
	v_or_b32_sdwa v1, v0, v1 dst_sel:DWORD dst_unused:UNUSED_PAD src0_sel:BYTE_0 src1_sel:DWORD
	v_lshlrev_b16 v3, 8, v3
	v_and_b32_e32 v1, 0xffff, v1
	v_or_b32_sdwa v3, v2, v3 dst_sel:DWORD dst_unused:UNUSED_PAD src0_sel:BYTE_0 src1_sel:DWORD
	v_and_or_b32 v1, 0xffff0000, v0, v1
	v_and_b32_e32 v3, 0xffff, v3
	v_cndmask_b32_e64 v0, v0, v1, s1
	v_and_or_b32 v1, 0xffff0000, v2, v3
	v_lshrrev_b32_e32 v3, 16, v0
	v_cndmask_b32_e64 v1, v2, v1, s5
	v_add_nc_u16 v2, v3, v6
	v_lshrrev_b32_e32 v3, 16, v1
	v_perm_b32 v2, v2, v0, 0xc0c0304
	s_waitcnt lgkmcnt(1)
	v_add_nc_u16 v3, v3, v11
	v_lshlrev_b32_e32 v2, 16, v2
	v_perm_b32 v3, v1, v3, 0x7000504
	v_and_or_b32 v2, 0xffff, v0, v2
	v_cndmask_b32_e64 v1, v1, v3, s6
	v_cndmask_b32_e64 v0, v0, v2, s2
	v_lshrrev_b32_e32 v2, 24, v1
	v_lshrrev_b32_e32 v3, 24, v0
	s_waitcnt lgkmcnt(0)
	v_add_nc_u16 v2, v2, v4
	v_and_b32_sdwa v4, v1, v5 dst_sel:DWORD dst_unused:UNUSED_PAD src0_sel:WORD_1 src1_sel:DWORD
	v_add_nc_u16 v3, v3, v7
	v_and_b32_sdwa v5, v0, v5 dst_sel:DWORD dst_unused:UNUSED_PAD src0_sel:WORD_1 src1_sel:DWORD
	v_lshlrev_b16 v2, 8, v2
	v_lshlrev_b16 v3, 8, v3
	v_or_b32_sdwa v2, v4, v2 dst_sel:WORD_1 dst_unused:UNUSED_PAD src0_sel:DWORD src1_sel:DWORD
	v_add_co_u32 v4, s8, s18, v9
	v_or_b32_sdwa v3, v5, v3 dst_sel:WORD_1 dst_unused:UNUSED_PAD src0_sel:DWORD src1_sel:DWORD
	v_add_co_ci_u32_e64 v5, null, s19, 0, s8
	v_and_or_b32 v2, 0xffff, v1, v2
	v_and_or_b32 v3, 0xffff, v0, v3
	v_cndmask_b32_e64 v2, v1, v2, s7
	v_cndmask_b32_e64 v3, v0, v3, s3
	v_add_co_u32 v0, vcc_lo, v4, v8
	v_add_co_ci_u32_e64 v1, null, 0, v5, vcc_lo
	s_and_saveexec_b32 s8, s0
	s_cbranch_execnz .LBB119_159
; %bb.151:
	s_or_b32 exec_lo, exec_lo, s8
	s_and_saveexec_b32 s0, s1
	s_cbranch_execnz .LBB119_160
.LBB119_152:
	s_or_b32 exec_lo, exec_lo, s0
	s_and_saveexec_b32 s0, s2
	s_cbranch_execnz .LBB119_161
.LBB119_153:
	s_or_b32 exec_lo, exec_lo, s0
	s_and_saveexec_b32 s0, s3
	s_cbranch_execnz .LBB119_162
.LBB119_154:
	s_or_b32 exec_lo, exec_lo, s0
	s_and_saveexec_b32 s0, s4
	s_cbranch_execnz .LBB119_163
.LBB119_155:
	s_or_b32 exec_lo, exec_lo, s0
	s_and_saveexec_b32 s0, s5
	s_cbranch_execnz .LBB119_164
.LBB119_156:
	s_or_b32 exec_lo, exec_lo, s0
	s_and_saveexec_b32 s0, s6
	s_cbranch_execnz .LBB119_165
.LBB119_157:
	s_or_b32 exec_lo, exec_lo, s0
	s_and_saveexec_b32 s0, s7
	s_cbranch_execnz .LBB119_166
.LBB119_158:
	s_endpgm
.LBB119_159:
	global_store_byte v[0:1], v3, off
	s_or_b32 exec_lo, exec_lo, s8
	s_and_saveexec_b32 s0, s1
	s_cbranch_execz .LBB119_152
.LBB119_160:
	v_lshrrev_b32_e32 v4, 8, v3
	global_store_byte v[0:1], v4, off offset:1
	s_or_b32 exec_lo, exec_lo, s0
	s_and_saveexec_b32 s0, s2
	s_cbranch_execz .LBB119_153
.LBB119_161:
	global_store_byte_d16_hi v[0:1], v3, off offset:2
	s_or_b32 exec_lo, exec_lo, s0
	s_and_saveexec_b32 s0, s3
	s_cbranch_execz .LBB119_154
.LBB119_162:
	v_lshrrev_b32_e32 v3, 24, v3
	global_store_byte v[0:1], v3, off offset:3
	s_or_b32 exec_lo, exec_lo, s0
	s_and_saveexec_b32 s0, s4
	s_cbranch_execz .LBB119_155
.LBB119_163:
	global_store_byte v[0:1], v2, off offset:4
	s_or_b32 exec_lo, exec_lo, s0
	s_and_saveexec_b32 s0, s5
	s_cbranch_execz .LBB119_156
.LBB119_164:
	v_lshrrev_b32_e32 v3, 8, v2
	global_store_byte v[0:1], v3, off offset:5
	s_or_b32 exec_lo, exec_lo, s0
	s_and_saveexec_b32 s0, s6
	s_cbranch_execz .LBB119_157
.LBB119_165:
	global_store_byte_d16_hi v[0:1], v2, off offset:6
	s_or_b32 exec_lo, exec_lo, s0
	s_and_saveexec_b32 s0, s7
	s_cbranch_execz .LBB119_158
.LBB119_166:
	v_lshrrev_b32_e32 v2, 24, v2
	global_store_byte v[0:1], v2, off offset:7
	s_endpgm
	.section	.rodata,"a",@progbits
	.p2align	6, 0x0
	.amdhsa_kernel _Z20sort_pairs_segmentedILj256ELj16ELj8EhN10test_utils4lessEEvPKT2_PS2_PKjT3_
		.amdhsa_group_segment_fixed_size 2064
		.amdhsa_private_segment_fixed_size 0
		.amdhsa_kernarg_size 28
		.amdhsa_user_sgpr_count 6
		.amdhsa_user_sgpr_private_segment_buffer 1
		.amdhsa_user_sgpr_dispatch_ptr 0
		.amdhsa_user_sgpr_queue_ptr 0
		.amdhsa_user_sgpr_kernarg_segment_ptr 1
		.amdhsa_user_sgpr_dispatch_id 0
		.amdhsa_user_sgpr_flat_scratch_init 0
		.amdhsa_user_sgpr_private_segment_size 0
		.amdhsa_wavefront_size32 1
		.amdhsa_uses_dynamic_stack 0
		.amdhsa_system_sgpr_private_segment_wavefront_offset 0
		.amdhsa_system_sgpr_workgroup_id_x 1
		.amdhsa_system_sgpr_workgroup_id_y 0
		.amdhsa_system_sgpr_workgroup_id_z 0
		.amdhsa_system_sgpr_workgroup_info 0
		.amdhsa_system_vgpr_workitem_id 0
		.amdhsa_next_free_vgpr 48
		.amdhsa_next_free_sgpr 20
		.amdhsa_reserve_vcc 1
		.amdhsa_reserve_flat_scratch 0
		.amdhsa_float_round_mode_32 0
		.amdhsa_float_round_mode_16_64 0
		.amdhsa_float_denorm_mode_32 3
		.amdhsa_float_denorm_mode_16_64 3
		.amdhsa_dx10_clamp 1
		.amdhsa_ieee_mode 1
		.amdhsa_fp16_overflow 0
		.amdhsa_workgroup_processor_mode 1
		.amdhsa_memory_ordered 1
		.amdhsa_forward_progress 1
		.amdhsa_shared_vgpr_count 0
		.amdhsa_exception_fp_ieee_invalid_op 0
		.amdhsa_exception_fp_denorm_src 0
		.amdhsa_exception_fp_ieee_div_zero 0
		.amdhsa_exception_fp_ieee_overflow 0
		.amdhsa_exception_fp_ieee_underflow 0
		.amdhsa_exception_fp_ieee_inexact 0
		.amdhsa_exception_int_div_zero 0
	.end_amdhsa_kernel
	.section	.text._Z20sort_pairs_segmentedILj256ELj16ELj8EhN10test_utils4lessEEvPKT2_PS2_PKjT3_,"axG",@progbits,_Z20sort_pairs_segmentedILj256ELj16ELj8EhN10test_utils4lessEEvPKT2_PS2_PKjT3_,comdat
.Lfunc_end119:
	.size	_Z20sort_pairs_segmentedILj256ELj16ELj8EhN10test_utils4lessEEvPKT2_PS2_PKjT3_, .Lfunc_end119-_Z20sort_pairs_segmentedILj256ELj16ELj8EhN10test_utils4lessEEvPKT2_PS2_PKjT3_
                                        ; -- End function
	.set _Z20sort_pairs_segmentedILj256ELj16ELj8EhN10test_utils4lessEEvPKT2_PS2_PKjT3_.num_vgpr, 48
	.set _Z20sort_pairs_segmentedILj256ELj16ELj8EhN10test_utils4lessEEvPKT2_PS2_PKjT3_.num_agpr, 0
	.set _Z20sort_pairs_segmentedILj256ELj16ELj8EhN10test_utils4lessEEvPKT2_PS2_PKjT3_.numbered_sgpr, 20
	.set _Z20sort_pairs_segmentedILj256ELj16ELj8EhN10test_utils4lessEEvPKT2_PS2_PKjT3_.num_named_barrier, 0
	.set _Z20sort_pairs_segmentedILj256ELj16ELj8EhN10test_utils4lessEEvPKT2_PS2_PKjT3_.private_seg_size, 0
	.set _Z20sort_pairs_segmentedILj256ELj16ELj8EhN10test_utils4lessEEvPKT2_PS2_PKjT3_.uses_vcc, 1
	.set _Z20sort_pairs_segmentedILj256ELj16ELj8EhN10test_utils4lessEEvPKT2_PS2_PKjT3_.uses_flat_scratch, 0
	.set _Z20sort_pairs_segmentedILj256ELj16ELj8EhN10test_utils4lessEEvPKT2_PS2_PKjT3_.has_dyn_sized_stack, 0
	.set _Z20sort_pairs_segmentedILj256ELj16ELj8EhN10test_utils4lessEEvPKT2_PS2_PKjT3_.has_recursion, 0
	.set _Z20sort_pairs_segmentedILj256ELj16ELj8EhN10test_utils4lessEEvPKT2_PS2_PKjT3_.has_indirect_call, 0
	.section	.AMDGPU.csdata,"",@progbits
; Kernel info:
; codeLenInByte = 9784
; TotalNumSgprs: 22
; NumVgprs: 48
; ScratchSize: 0
; MemoryBound: 0
; FloatMode: 240
; IeeeMode: 1
; LDSByteSize: 2064 bytes/workgroup (compile time only)
; SGPRBlocks: 0
; VGPRBlocks: 5
; NumSGPRsForWavesPerEU: 22
; NumVGPRsForWavesPerEU: 48
; Occupancy: 16
; WaveLimiterHint : 0
; COMPUTE_PGM_RSRC2:SCRATCH_EN: 0
; COMPUTE_PGM_RSRC2:USER_SGPR: 6
; COMPUTE_PGM_RSRC2:TRAP_HANDLER: 0
; COMPUTE_PGM_RSRC2:TGID_X_EN: 1
; COMPUTE_PGM_RSRC2:TGID_Y_EN: 0
; COMPUTE_PGM_RSRC2:TGID_Z_EN: 0
; COMPUTE_PGM_RSRC2:TIDIG_COMP_CNT: 0
	.section	.text._Z9sort_keysILj256ELj32ELj1EhN10test_utils4lessEEvPKT2_PS2_T3_,"axG",@progbits,_Z9sort_keysILj256ELj32ELj1EhN10test_utils4lessEEvPKT2_PS2_T3_,comdat
	.protected	_Z9sort_keysILj256ELj32ELj1EhN10test_utils4lessEEvPKT2_PS2_T3_ ; -- Begin function _Z9sort_keysILj256ELj32ELj1EhN10test_utils4lessEEvPKT2_PS2_T3_
	.globl	_Z9sort_keysILj256ELj32ELj1EhN10test_utils4lessEEvPKT2_PS2_T3_
	.p2align	8
	.type	_Z9sort_keysILj256ELj32ELj1EhN10test_utils4lessEEvPKT2_PS2_T3_,@function
_Z9sort_keysILj256ELj32ELj1EhN10test_utils4lessEEvPKT2_PS2_T3_: ; @_Z9sort_keysILj256ELj32ELj1EhN10test_utils4lessEEvPKT2_PS2_T3_
; %bb.0:
	s_load_dwordx4 s[0:3], s[4:5], 0x0
	s_lshl_b32 s4, s6, 8
	v_mbcnt_lo_u32_b32 v1, -1, 0
	v_lshrrev_b32_e32 v9, 5, v0
	v_mov_b32_e32 v7, 0
	v_and_b32_e32 v5, 30, v1
	v_and_b32_e32 v6, 1, v1
	v_mad_u32_u24 v3, v9, 33, v1
	v_or_b32_e32 v4, 1, v5
	v_sub_nc_u32_e32 v2, v4, v5
	s_waitcnt lgkmcnt(0)
	s_add_u32 s0, s0, s4
	s_addc_u32 s1, s1, 0
	v_min_i32_e32 v10, v6, v2
	global_load_ubyte v8, v0, s[0:1]
	v_mul_u32_u24_e32 v2, 33, v9
	s_mov_b32 s0, 0
	s_mov_b32 s1, exec_lo
	; wave barrier
	s_waitcnt vmcnt(0)
	ds_write_b8 v3, v8
	; wave barrier
	v_cmpx_lt_i32_e32 0, v10
	s_cbranch_execz .LBB120_4
; %bb.1:
	v_add_nc_u32_e32 v8, v2, v5
	v_mov_b32_e32 v9, 1
	v_mov_b32_e32 v7, 0
	v_add_nc_u32_e32 v10, v8, v6
	.p2align	6
.LBB120_2:                              ; =>This Inner Loop Header: Depth=1
	v_sub_nc_u32_e32 v11, v9, v7
	v_lshrrev_b32_e32 v11, 1, v11
	v_add_nc_u32_e32 v11, v11, v7
	v_add_nc_u32_e32 v12, v8, v11
	v_sub_nc_u32_e32 v13, v10, v11
	v_add_nc_u32_e32 v14, 1, v11
	ds_read_u8 v12, v12
	ds_read_u8 v13, v13
	s_waitcnt lgkmcnt(0)
	v_cmp_lt_u16_e32 vcc_lo, v13, v12
	v_cndmask_b32_e32 v9, v9, v11, vcc_lo
	v_cndmask_b32_e32 v7, v14, v7, vcc_lo
	v_cmp_ge_i32_e32 vcc_lo, v7, v9
	s_or_b32 s0, vcc_lo, s0
	s_andn2_b32 exec_lo, exec_lo, s0
	s_cbranch_execnz .LBB120_2
; %bb.3:
	s_or_b32 exec_lo, exec_lo, s0
.LBB120_4:
	s_or_b32 exec_lo, exec_lo, s1
	v_add_nc_u32_e32 v8, v5, v6
	v_add3_u32 v5, v2, v7, v5
	v_cmp_lt_i32_e32 vcc_lo, 0, v7
	v_sub_nc_u32_e32 v8, v8, v7
	v_add_nc_u32_e32 v8, v2, v8
	ds_read_u8 v9, v5
	ds_read_u8 v10, v8 offset:1
	v_add_nc_u32_e32 v8, v4, v6
	v_and_b32_e32 v5, 28, v1
	; wave barrier
	v_sub_nc_u32_e32 v11, v8, v7
	v_or_b32_e32 v6, 2, v5
	v_and_b32_e32 v8, 3, v1
	v_cmp_ge_i32_e64 s0, v4, v11
	v_sub_nc_u32_e32 v12, v6, v5
	v_sub_nc_u32_e64 v7, v8, 2 clamp
	v_min_i32_e32 v4, v8, v12
	s_waitcnt lgkmcnt(0)
	v_cmp_lt_u16_sdwa s1, v10, v9 src0_sel:BYTE_0 src1_sel:BYTE_0
	s_or_b32 s1, vcc_lo, s1
	s_and_b32 vcc_lo, s0, s1
	s_mov_b32 s0, 0
	v_cndmask_b32_e32 v9, v9, v10, vcc_lo
	s_mov_b32 s1, exec_lo
	ds_write_b8 v3, v9
	; wave barrier
	v_cmpx_lt_i32_e64 v7, v4
	s_cbranch_execz .LBB120_8
; %bb.5:
	v_add_nc_u32_e32 v9, v2, v5
	v_add_nc_u32_e32 v10, v9, v8
	.p2align	6
.LBB120_6:                              ; =>This Inner Loop Header: Depth=1
	v_sub_nc_u32_e32 v11, v4, v7
	v_lshrrev_b32_e32 v11, 1, v11
	v_add_nc_u32_e32 v11, v11, v7
	v_add_nc_u32_e32 v12, v9, v11
	v_xad_u32 v13, v11, -1, v10
	v_add_nc_u32_e32 v14, 1, v11
	ds_read_u8 v12, v12
	ds_read_u8 v13, v13 offset:2
	s_waitcnt lgkmcnt(0)
	v_cmp_lt_u16_e32 vcc_lo, v13, v12
	v_cndmask_b32_e32 v4, v4, v11, vcc_lo
	v_cndmask_b32_e32 v7, v14, v7, vcc_lo
	v_cmp_ge_i32_e32 vcc_lo, v7, v4
	s_or_b32 s0, vcc_lo, s0
	s_andn2_b32 exec_lo, exec_lo, s0
	s_cbranch_execnz .LBB120_6
; %bb.7:
	s_or_b32 exec_lo, exec_lo, s0
.LBB120_8:
	s_or_b32 exec_lo, exec_lo, s1
	v_add_nc_u32_e32 v4, v5, v8
	v_add3_u32 v9, v2, v7, v5
	v_add_nc_u32_e32 v6, v6, v8
	v_add_nc_u32_e32 v8, 4, v5
	v_cmp_lt_i32_e32 vcc_lo, 1, v7
	v_sub_nc_u32_e32 v4, v4, v7
	v_sub_nc_u32_e32 v6, v6, v7
	v_and_b32_e32 v7, 7, v1
	v_add_nc_u32_e32 v4, v2, v4
	ds_read_u8 v9, v9
	ds_read_u8 v10, v4 offset:2
	v_and_b32_e32 v4, 24, v1
	v_cmp_gt_i32_e64 s0, v8, v6
	v_sub_nc_u32_e64 v6, v7, 4 clamp
	; wave barrier
	v_or_b32_e32 v5, 4, v4
	v_sub_nc_u32_e32 v11, v5, v4
	v_min_i32_e32 v8, v7, v11
	s_waitcnt lgkmcnt(0)
	v_cmp_lt_u16_sdwa s1, v10, v9 src0_sel:BYTE_0 src1_sel:BYTE_0
	s_or_b32 s1, vcc_lo, s1
	s_and_b32 vcc_lo, s0, s1
	s_mov_b32 s0, exec_lo
	v_cndmask_b32_e32 v9, v9, v10, vcc_lo
	ds_write_b8 v3, v9
	; wave barrier
	v_cmpx_lt_i32_e64 v6, v8
	s_cbranch_execz .LBB120_12
; %bb.9:
	v_add_nc_u32_e32 v9, v2, v4
	s_mov_b32 s1, 0
	v_add_nc_u32_e32 v10, v9, v7
	.p2align	6
.LBB120_10:                             ; =>This Inner Loop Header: Depth=1
	v_sub_nc_u32_e32 v11, v8, v6
	v_lshrrev_b32_e32 v11, 1, v11
	v_add_nc_u32_e32 v11, v11, v6
	v_add_nc_u32_e32 v12, v9, v11
	v_xad_u32 v13, v11, -1, v10
	v_add_nc_u32_e32 v14, 1, v11
	ds_read_u8 v12, v12
	ds_read_u8 v13, v13 offset:4
	s_waitcnt lgkmcnt(0)
	v_cmp_lt_u16_e32 vcc_lo, v13, v12
	v_cndmask_b32_e32 v8, v8, v11, vcc_lo
	v_cndmask_b32_e32 v6, v14, v6, vcc_lo
	v_cmp_ge_i32_e32 vcc_lo, v6, v8
	s_or_b32 s1, vcc_lo, s1
	s_andn2_b32 exec_lo, exec_lo, s1
	s_cbranch_execnz .LBB120_10
; %bb.11:
	s_or_b32 exec_lo, exec_lo, s1
.LBB120_12:
	s_or_b32 exec_lo, exec_lo, s0
	v_add_nc_u32_e32 v8, v4, v7
	v_add3_u32 v9, v2, v6, v4
	v_add_nc_u32_e32 v5, v5, v7
	v_add_nc_u32_e32 v7, 8, v4
	v_cmp_lt_i32_e32 vcc_lo, 3, v6
	v_sub_nc_u32_e32 v8, v8, v6
	v_sub_nc_u32_e32 v11, v5, v6
	v_and_b32_e32 v5, 15, v1
	v_add_nc_u32_e32 v8, v2, v8
	ds_read_u8 v9, v9
	ds_read_u8 v10, v8 offset:4
	v_and_b32_e32 v8, 16, v1
	v_cmp_gt_i32_e64 s0, v7, v11
	v_sub_nc_u32_e64 v6, v5, 8 clamp
	; wave barrier
	v_or_b32_e32 v4, 8, v8
	v_sub_nc_u32_e32 v12, v4, v8
	v_min_i32_e32 v7, v5, v12
	s_waitcnt lgkmcnt(0)
	v_cmp_lt_u16_sdwa s1, v10, v9 src0_sel:BYTE_0 src1_sel:BYTE_0
	s_or_b32 s1, vcc_lo, s1
	s_and_b32 vcc_lo, s0, s1
	s_mov_b32 s0, exec_lo
	v_cndmask_b32_e32 v9, v9, v10, vcc_lo
	ds_write_b8 v3, v9
	; wave barrier
	v_cmpx_lt_i32_e64 v6, v7
	s_cbranch_execz .LBB120_16
; %bb.13:
	v_add_nc_u32_e32 v9, v2, v8
	s_mov_b32 s1, 0
	v_add_nc_u32_e32 v10, v9, v5
	.p2align	6
.LBB120_14:                             ; =>This Inner Loop Header: Depth=1
	v_sub_nc_u32_e32 v11, v7, v6
	v_lshrrev_b32_e32 v11, 1, v11
	v_add_nc_u32_e32 v11, v11, v6
	v_add_nc_u32_e32 v12, v9, v11
	v_xad_u32 v13, v11, -1, v10
	v_add_nc_u32_e32 v14, 1, v11
	ds_read_u8 v12, v12
	ds_read_u8 v13, v13 offset:8
	s_waitcnt lgkmcnt(0)
	v_cmp_lt_u16_e32 vcc_lo, v13, v12
	v_cndmask_b32_e32 v7, v7, v11, vcc_lo
	v_cndmask_b32_e32 v6, v14, v6, vcc_lo
	v_cmp_ge_i32_e32 vcc_lo, v6, v7
	s_or_b32 s1, vcc_lo, s1
	s_andn2_b32 exec_lo, exec_lo, s1
	s_cbranch_execnz .LBB120_14
; %bb.15:
	s_or_b32 exec_lo, exec_lo, s1
.LBB120_16:
	s_or_b32 exec_lo, exec_lo, s0
	v_add_nc_u32_e32 v7, v8, v5
	v_add3_u32 v9, v2, v6, v8
	v_add_nc_u32_e32 v4, v4, v5
	v_add_nc_u32_e32 v5, 16, v8
	v_cmp_lt_i32_e32 vcc_lo, 7, v6
	v_sub_nc_u32_e32 v7, v7, v6
	v_sub_nc_u32_e32 v4, v4, v6
	v_add_nc_u32_e32 v6, v2, v1
	v_add_nc_u32_e32 v7, v2, v7
	ds_read_u8 v9, v9
	ds_read_u8 v7, v7 offset:8
	v_cmp_gt_i32_e64 s0, v5, v4
	v_sub_nc_u32_e64 v4, v1, 16 clamp
	v_min_u32_e32 v5, 16, v1
	; wave barrier
	s_waitcnt lgkmcnt(0)
	v_cmp_lt_u16_sdwa s1, v7, v9 src0_sel:BYTE_0 src1_sel:BYTE_0
	s_or_b32 s1, vcc_lo, s1
	s_and_b32 vcc_lo, s0, s1
	s_mov_b32 s0, exec_lo
	v_cndmask_b32_e32 v7, v9, v7, vcc_lo
	ds_write_b8 v6, v7
	; wave barrier
	v_cmpx_lt_u32_e64 v4, v5
	s_cbranch_execz .LBB120_20
; %bb.17:
	s_mov_b32 s1, 0
	.p2align	6
.LBB120_18:                             ; =>This Inner Loop Header: Depth=1
	v_sub_nc_u32_e32 v6, v5, v4
	v_lshrrev_b32_e32 v6, 1, v6
	v_add_nc_u32_e32 v6, v6, v4
	v_add_nc_u32_e32 v7, v2, v6
	v_xad_u32 v8, v6, -1, v3
	v_add_nc_u32_e32 v9, 1, v6
	ds_read_u8 v7, v7
	ds_read_u8 v8, v8 offset:16
	s_waitcnt lgkmcnt(0)
	v_cmp_lt_u16_e32 vcc_lo, v8, v7
	v_cndmask_b32_e32 v5, v5, v6, vcc_lo
	v_cndmask_b32_e32 v4, v9, v4, vcc_lo
	v_cmp_ge_i32_e32 vcc_lo, v4, v5
	s_or_b32 s1, vcc_lo, s1
	s_andn2_b32 exec_lo, exec_lo, s1
	s_cbranch_execnz .LBB120_18
; %bb.19:
	s_or_b32 exec_lo, exec_lo, s1
.LBB120_20:
	s_or_b32 exec_lo, exec_lo, s0
	v_sub_nc_u32_e32 v1, v1, v4
	v_add_nc_u32_e32 v3, v2, v4
	v_cmp_lt_i32_e32 vcc_lo, 15, v4
	v_add_nc_u32_e32 v2, v2, v1
	v_add_nc_u32_e32 v1, 16, v1
	ds_read_u8 v3, v3
	ds_read_u8 v2, v2 offset:16
	v_cmp_gt_i32_e64 s0, 32, v1
	s_waitcnt lgkmcnt(0)
	v_cmp_lt_u16_sdwa s1, v2, v3 src0_sel:BYTE_0 src1_sel:BYTE_0
	s_or_b32 s1, vcc_lo, s1
	s_and_b32 vcc_lo, s0, s1
	s_add_u32 s0, s2, s4
	s_addc_u32 s1, s3, 0
	v_add_co_u32 v0, s0, s0, v0
	v_cndmask_b32_e32 v2, v3, v2, vcc_lo
	v_add_co_ci_u32_e64 v1, null, s1, 0, s0
	global_store_byte v[0:1], v2, off
	s_endpgm
	.section	.rodata,"a",@progbits
	.p2align	6, 0x0
	.amdhsa_kernel _Z9sort_keysILj256ELj32ELj1EhN10test_utils4lessEEvPKT2_PS2_T3_
		.amdhsa_group_segment_fixed_size 264
		.amdhsa_private_segment_fixed_size 0
		.amdhsa_kernarg_size 20
		.amdhsa_user_sgpr_count 6
		.amdhsa_user_sgpr_private_segment_buffer 1
		.amdhsa_user_sgpr_dispatch_ptr 0
		.amdhsa_user_sgpr_queue_ptr 0
		.amdhsa_user_sgpr_kernarg_segment_ptr 1
		.amdhsa_user_sgpr_dispatch_id 0
		.amdhsa_user_sgpr_flat_scratch_init 0
		.amdhsa_user_sgpr_private_segment_size 0
		.amdhsa_wavefront_size32 1
		.amdhsa_uses_dynamic_stack 0
		.amdhsa_system_sgpr_private_segment_wavefront_offset 0
		.amdhsa_system_sgpr_workgroup_id_x 1
		.amdhsa_system_sgpr_workgroup_id_y 0
		.amdhsa_system_sgpr_workgroup_id_z 0
		.amdhsa_system_sgpr_workgroup_info 0
		.amdhsa_system_vgpr_workitem_id 0
		.amdhsa_next_free_vgpr 15
		.amdhsa_next_free_sgpr 7
		.amdhsa_reserve_vcc 1
		.amdhsa_reserve_flat_scratch 0
		.amdhsa_float_round_mode_32 0
		.amdhsa_float_round_mode_16_64 0
		.amdhsa_float_denorm_mode_32 3
		.amdhsa_float_denorm_mode_16_64 3
		.amdhsa_dx10_clamp 1
		.amdhsa_ieee_mode 1
		.amdhsa_fp16_overflow 0
		.amdhsa_workgroup_processor_mode 1
		.amdhsa_memory_ordered 1
		.amdhsa_forward_progress 1
		.amdhsa_shared_vgpr_count 0
		.amdhsa_exception_fp_ieee_invalid_op 0
		.amdhsa_exception_fp_denorm_src 0
		.amdhsa_exception_fp_ieee_div_zero 0
		.amdhsa_exception_fp_ieee_overflow 0
		.amdhsa_exception_fp_ieee_underflow 0
		.amdhsa_exception_fp_ieee_inexact 0
		.amdhsa_exception_int_div_zero 0
	.end_amdhsa_kernel
	.section	.text._Z9sort_keysILj256ELj32ELj1EhN10test_utils4lessEEvPKT2_PS2_T3_,"axG",@progbits,_Z9sort_keysILj256ELj32ELj1EhN10test_utils4lessEEvPKT2_PS2_T3_,comdat
.Lfunc_end120:
	.size	_Z9sort_keysILj256ELj32ELj1EhN10test_utils4lessEEvPKT2_PS2_T3_, .Lfunc_end120-_Z9sort_keysILj256ELj32ELj1EhN10test_utils4lessEEvPKT2_PS2_T3_
                                        ; -- End function
	.set _Z9sort_keysILj256ELj32ELj1EhN10test_utils4lessEEvPKT2_PS2_T3_.num_vgpr, 15
	.set _Z9sort_keysILj256ELj32ELj1EhN10test_utils4lessEEvPKT2_PS2_T3_.num_agpr, 0
	.set _Z9sort_keysILj256ELj32ELj1EhN10test_utils4lessEEvPKT2_PS2_T3_.numbered_sgpr, 7
	.set _Z9sort_keysILj256ELj32ELj1EhN10test_utils4lessEEvPKT2_PS2_T3_.num_named_barrier, 0
	.set _Z9sort_keysILj256ELj32ELj1EhN10test_utils4lessEEvPKT2_PS2_T3_.private_seg_size, 0
	.set _Z9sort_keysILj256ELj32ELj1EhN10test_utils4lessEEvPKT2_PS2_T3_.uses_vcc, 1
	.set _Z9sort_keysILj256ELj32ELj1EhN10test_utils4lessEEvPKT2_PS2_T3_.uses_flat_scratch, 0
	.set _Z9sort_keysILj256ELj32ELj1EhN10test_utils4lessEEvPKT2_PS2_T3_.has_dyn_sized_stack, 0
	.set _Z9sort_keysILj256ELj32ELj1EhN10test_utils4lessEEvPKT2_PS2_T3_.has_recursion, 0
	.set _Z9sort_keysILj256ELj32ELj1EhN10test_utils4lessEEvPKT2_PS2_T3_.has_indirect_call, 0
	.section	.AMDGPU.csdata,"",@progbits
; Kernel info:
; codeLenInByte = 1340
; TotalNumSgprs: 9
; NumVgprs: 15
; ScratchSize: 0
; MemoryBound: 0
; FloatMode: 240
; IeeeMode: 1
; LDSByteSize: 264 bytes/workgroup (compile time only)
; SGPRBlocks: 0
; VGPRBlocks: 1
; NumSGPRsForWavesPerEU: 9
; NumVGPRsForWavesPerEU: 15
; Occupancy: 16
; WaveLimiterHint : 0
; COMPUTE_PGM_RSRC2:SCRATCH_EN: 0
; COMPUTE_PGM_RSRC2:USER_SGPR: 6
; COMPUTE_PGM_RSRC2:TRAP_HANDLER: 0
; COMPUTE_PGM_RSRC2:TGID_X_EN: 1
; COMPUTE_PGM_RSRC2:TGID_Y_EN: 0
; COMPUTE_PGM_RSRC2:TGID_Z_EN: 0
; COMPUTE_PGM_RSRC2:TIDIG_COMP_CNT: 0
	.section	.text._Z10sort_pairsILj256ELj32ELj1EhN10test_utils4lessEEvPKT2_PS2_T3_,"axG",@progbits,_Z10sort_pairsILj256ELj32ELj1EhN10test_utils4lessEEvPKT2_PS2_T3_,comdat
	.protected	_Z10sort_pairsILj256ELj32ELj1EhN10test_utils4lessEEvPKT2_PS2_T3_ ; -- Begin function _Z10sort_pairsILj256ELj32ELj1EhN10test_utils4lessEEvPKT2_PS2_T3_
	.globl	_Z10sort_pairsILj256ELj32ELj1EhN10test_utils4lessEEvPKT2_PS2_T3_
	.p2align	8
	.type	_Z10sort_pairsILj256ELj32ELj1EhN10test_utils4lessEEvPKT2_PS2_T3_,@function
_Z10sort_pairsILj256ELj32ELj1EhN10test_utils4lessEEvPKT2_PS2_T3_: ; @_Z10sort_pairsILj256ELj32ELj1EhN10test_utils4lessEEvPKT2_PS2_T3_
; %bb.0:
	s_load_dwordx4 s[0:3], s[4:5], 0x0
	s_lshl_b32 s4, s6, 8
	v_mbcnt_lo_u32_b32 v2, -1, 0
	v_lshrrev_b32_e32 v9, 5, v0
	v_mov_b32_e32 v8, 0
	v_and_b32_e32 v7, 30, v2
	v_and_b32_e32 v6, 1, v2
	v_mad_u32_u24 v3, v9, 33, v2
	v_or_b32_e32 v5, 1, v7
	v_sub_nc_u32_e32 v1, v5, v7
	s_waitcnt lgkmcnt(0)
	s_add_u32 s0, s0, s4
	s_addc_u32 s1, s1, 0
	v_min_i32_e32 v10, v6, v1
	global_load_ubyte v4, v0, s[0:1]
	v_mul_u32_u24_e32 v1, 33, v9
	s_mov_b32 s0, 0
	s_mov_b32 s1, exec_lo
	; wave barrier
	s_waitcnt vmcnt(0)
	ds_write_b8 v3, v4
	; wave barrier
	v_cmpx_lt_i32_e32 0, v10
	s_cbranch_execz .LBB121_4
; %bb.1:
	v_add_nc_u32_e32 v9, v1, v7
	v_mov_b32_e32 v10, 1
	v_mov_b32_e32 v8, 0
	v_add_nc_u32_e32 v11, v9, v6
	.p2align	6
.LBB121_2:                              ; =>This Inner Loop Header: Depth=1
	v_sub_nc_u32_e32 v12, v10, v8
	v_lshrrev_b32_e32 v12, 1, v12
	v_add_nc_u32_e32 v12, v12, v8
	v_add_nc_u32_e32 v13, v9, v12
	v_sub_nc_u32_e32 v14, v11, v12
	v_add_nc_u32_e32 v15, 1, v12
	ds_read_u8 v13, v13
	ds_read_u8 v14, v14
	s_waitcnt lgkmcnt(0)
	v_cmp_lt_u16_e32 vcc_lo, v14, v13
	v_cndmask_b32_e32 v10, v10, v12, vcc_lo
	v_cndmask_b32_e32 v8, v15, v8, vcc_lo
	v_cmp_ge_i32_e32 vcc_lo, v8, v10
	s_or_b32 s0, vcc_lo, s0
	s_andn2_b32 exec_lo, exec_lo, s0
	s_cbranch_execnz .LBB121_2
; %bb.3:
	s_or_b32 exec_lo, exec_lo, s0
.LBB121_4:
	s_or_b32 exec_lo, exec_lo, s1
	v_add_nc_u32_e32 v9, v7, v6
	v_add_nc_u32_e32 v7, v8, v7
	;; [unrolled: 1-line block ×3, first 2 shown]
	v_cmp_lt_i32_e32 vcc_lo, 0, v8
	v_add_nc_u16 v4, v4, 1
	v_sub_nc_u32_e32 v9, v9, v8
	v_add_nc_u32_e32 v10, v1, v7
	v_sub_nc_u32_e32 v6, v6, v8
	v_and_b32_e32 v8, 3, v2
	v_add_nc_u32_e32 v9, v1, v9
	ds_read_u8 v10, v10
	ds_read_u8 v9, v9 offset:1
	v_cmp_ge_i32_e64 s0, v5, v6
	v_and_b32_e32 v5, 28, v2
	; wave barrier
	ds_write_b8 v3, v4
	; wave barrier
	s_waitcnt lgkmcnt(1)
	v_cmp_lt_u16_sdwa s1, v9, v10 src0_sel:BYTE_0 src1_sel:BYTE_0
	s_or_b32 s1, vcc_lo, s1
	s_and_b32 vcc_lo, s0, s1
	s_mov_b32 s0, 0
	v_cndmask_b32_e32 v6, v7, v6, vcc_lo
	v_or_b32_e32 v7, 2, v5
	v_cndmask_b32_e32 v10, v10, v9, vcc_lo
	s_mov_b32 s1, exec_lo
	v_add_nc_u32_e32 v6, v1, v6
	v_sub_nc_u32_e32 v9, v7, v5
	ds_read_u8 v4, v6
	v_sub_nc_u32_e64 v6, v8, 2 clamp
	v_min_i32_e32 v9, v8, v9
	; wave barrier
	ds_write_b8 v3, v10
	; wave barrier
	v_cmpx_lt_i32_e64 v6, v9
	s_cbranch_execz .LBB121_8
; %bb.5:
	v_add_nc_u32_e32 v10, v1, v5
	v_add_nc_u32_e32 v11, v10, v8
	.p2align	6
.LBB121_6:                              ; =>This Inner Loop Header: Depth=1
	v_sub_nc_u32_e32 v12, v9, v6
	v_lshrrev_b32_e32 v12, 1, v12
	v_add_nc_u32_e32 v12, v12, v6
	v_add_nc_u32_e32 v13, v10, v12
	v_xad_u32 v14, v12, -1, v11
	v_add_nc_u32_e32 v15, 1, v12
	ds_read_u8 v13, v13
	ds_read_u8 v14, v14 offset:2
	s_waitcnt lgkmcnt(0)
	v_cmp_lt_u16_e32 vcc_lo, v14, v13
	v_cndmask_b32_e32 v9, v9, v12, vcc_lo
	v_cndmask_b32_e32 v6, v15, v6, vcc_lo
	v_cmp_ge_i32_e32 vcc_lo, v6, v9
	s_or_b32 s0, vcc_lo, s0
	s_andn2_b32 exec_lo, exec_lo, s0
	s_cbranch_execnz .LBB121_6
; %bb.7:
	s_or_b32 exec_lo, exec_lo, s0
.LBB121_8:
	s_or_b32 exec_lo, exec_lo, s1
	v_add_nc_u32_e32 v9, v5, v8
	v_add_nc_u32_e32 v10, v6, v5
	;; [unrolled: 1-line block ×4, first 2 shown]
	v_cmp_lt_i32_e32 vcc_lo, 1, v6
	v_sub_nc_u32_e32 v9, v9, v6
	v_add_nc_u32_e32 v11, v1, v10
	v_sub_nc_u32_e32 v7, v7, v6
	v_and_b32_e32 v8, 7, v2
	v_add_nc_u32_e32 v9, v1, v9
	ds_read_u8 v11, v11
	ds_read_u8 v9, v9 offset:2
	v_cmp_gt_i32_e64 s0, v5, v7
	v_and_b32_e32 v5, 24, v2
	; wave barrier
	s_waitcnt lgkmcnt(3)
	ds_write_b8 v3, v4
	; wave barrier
	s_waitcnt lgkmcnt(1)
	v_cmp_lt_u16_sdwa s1, v9, v11 src0_sel:BYTE_0 src1_sel:BYTE_0
	s_or_b32 s1, vcc_lo, s1
	s_and_b32 vcc_lo, s0, s1
	s_mov_b32 s0, exec_lo
	v_cndmask_b32_e32 v6, v10, v7, vcc_lo
	v_or_b32_e32 v7, 4, v5
	v_cndmask_b32_e32 v11, v11, v9, vcc_lo
	v_add_nc_u32_e32 v6, v1, v6
	v_sub_nc_u32_e32 v9, v7, v5
	ds_read_u8 v4, v6
	v_sub_nc_u32_e64 v6, v8, 4 clamp
	v_min_i32_e32 v9, v8, v9
	; wave barrier
	ds_write_b8 v3, v11
	; wave barrier
	v_cmpx_lt_i32_e64 v6, v9
	s_cbranch_execz .LBB121_12
; %bb.9:
	v_add_nc_u32_e32 v10, v1, v5
	s_mov_b32 s1, 0
	v_add_nc_u32_e32 v11, v10, v8
	.p2align	6
.LBB121_10:                             ; =>This Inner Loop Header: Depth=1
	v_sub_nc_u32_e32 v12, v9, v6
	v_lshrrev_b32_e32 v12, 1, v12
	v_add_nc_u32_e32 v12, v12, v6
	v_add_nc_u32_e32 v13, v10, v12
	v_xad_u32 v14, v12, -1, v11
	v_add_nc_u32_e32 v15, 1, v12
	ds_read_u8 v13, v13
	ds_read_u8 v14, v14 offset:4
	s_waitcnt lgkmcnt(0)
	v_cmp_lt_u16_e32 vcc_lo, v14, v13
	v_cndmask_b32_e32 v9, v9, v12, vcc_lo
	v_cndmask_b32_e32 v6, v15, v6, vcc_lo
	v_cmp_ge_i32_e32 vcc_lo, v6, v9
	s_or_b32 s1, vcc_lo, s1
	s_andn2_b32 exec_lo, exec_lo, s1
	s_cbranch_execnz .LBB121_10
; %bb.11:
	s_or_b32 exec_lo, exec_lo, s1
.LBB121_12:
	s_or_b32 exec_lo, exec_lo, s0
	v_add_nc_u32_e32 v9, v5, v8
	v_add_nc_u32_e32 v10, v6, v5
	;; [unrolled: 1-line block ×4, first 2 shown]
	v_cmp_lt_i32_e32 vcc_lo, 3, v6
	v_sub_nc_u32_e32 v9, v9, v6
	v_add_nc_u32_e32 v11, v1, v10
	v_sub_nc_u32_e32 v7, v7, v6
	v_and_b32_e32 v6, 16, v2
	v_and_b32_e32 v8, 15, v2
	v_add_nc_u32_e32 v9, v1, v9
	ds_read_u8 v11, v11
	ds_read_u8 v9, v9 offset:4
	v_cmp_gt_i32_e64 s0, v5, v7
	; wave barrier
	s_waitcnt lgkmcnt(3)
	ds_write_b8 v3, v4
	; wave barrier
	v_sub_nc_u32_e64 v4, v8, 8 clamp
	s_waitcnt lgkmcnt(1)
	v_cmp_lt_u16_sdwa s1, v9, v11 src0_sel:BYTE_0 src1_sel:BYTE_0
	s_or_b32 s1, vcc_lo, s1
	s_and_b32 vcc_lo, s0, s1
	s_mov_b32 s0, exec_lo
	v_cndmask_b32_e32 v5, v10, v7, vcc_lo
	v_or_b32_e32 v7, 8, v6
	v_cndmask_b32_e32 v11, v11, v9, vcc_lo
	v_add_nc_u32_e32 v5, v1, v5
	v_sub_nc_u32_e32 v9, v7, v6
	ds_read_u8 v5, v5
	v_min_i32_e32 v9, v8, v9
	; wave barrier
	ds_write_b8 v3, v11
	; wave barrier
	v_cmpx_lt_i32_e64 v4, v9
	s_cbranch_execz .LBB121_16
; %bb.13:
	v_add_nc_u32_e32 v10, v1, v6
	s_mov_b32 s1, 0
	v_add_nc_u32_e32 v11, v10, v8
	.p2align	6
.LBB121_14:                             ; =>This Inner Loop Header: Depth=1
	v_sub_nc_u32_e32 v12, v9, v4
	v_lshrrev_b32_e32 v12, 1, v12
	v_add_nc_u32_e32 v12, v12, v4
	v_add_nc_u32_e32 v13, v10, v12
	v_xad_u32 v14, v12, -1, v11
	v_add_nc_u32_e32 v15, 1, v12
	ds_read_u8 v13, v13
	ds_read_u8 v14, v14 offset:8
	s_waitcnt lgkmcnt(0)
	v_cmp_lt_u16_e32 vcc_lo, v14, v13
	v_cndmask_b32_e32 v9, v9, v12, vcc_lo
	v_cndmask_b32_e32 v4, v15, v4, vcc_lo
	v_cmp_ge_i32_e32 vcc_lo, v4, v9
	s_or_b32 s1, vcc_lo, s1
	s_andn2_b32 exec_lo, exec_lo, s1
	s_cbranch_execnz .LBB121_14
; %bb.15:
	s_or_b32 exec_lo, exec_lo, s1
.LBB121_16:
	s_or_b32 exec_lo, exec_lo, s0
	v_add_nc_u32_e32 v9, v6, v8
	v_add_nc_u32_e32 v10, v4, v6
	;; [unrolled: 1-line block ×4, first 2 shown]
	v_cmp_lt_i32_e32 vcc_lo, 7, v4
	v_sub_nc_u32_e32 v9, v9, v4
	v_add_nc_u32_e32 v11, v1, v10
	v_sub_nc_u32_e32 v7, v7, v4
	v_add_nc_u32_e32 v4, v1, v2
	v_add_nc_u32_e32 v9, v1, v9
	ds_read_u8 v11, v11
	ds_read_u8 v9, v9 offset:8
	v_cmp_gt_i32_e64 s0, v6, v7
	; wave barrier
	s_waitcnt lgkmcnt(3)
	ds_write_b8 v4, v5
	; wave barrier
	s_waitcnt lgkmcnt(1)
	v_cmp_lt_u16_sdwa s1, v9, v11 src0_sel:BYTE_0 src1_sel:BYTE_0
	s_or_b32 s1, vcc_lo, s1
	s_and_b32 vcc_lo, s0, s1
	s_mov_b32 s0, exec_lo
	v_cndmask_b32_e32 v6, v10, v7, vcc_lo
	v_cndmask_b32_e32 v8, v11, v9, vcc_lo
	v_min_u32_e32 v7, 16, v2
	v_add_nc_u32_e32 v6, v1, v6
	ds_read_u8 v5, v6
	v_sub_nc_u32_e64 v6, v2, 16 clamp
	; wave barrier
	ds_write_b8 v4, v8
	; wave barrier
	v_cmpx_lt_u32_e64 v6, v7
	s_cbranch_execz .LBB121_20
; %bb.17:
	s_mov_b32 s1, 0
	.p2align	6
.LBB121_18:                             ; =>This Inner Loop Header: Depth=1
	v_sub_nc_u32_e32 v8, v7, v6
	v_lshrrev_b32_e32 v8, 1, v8
	v_add_nc_u32_e32 v8, v8, v6
	v_add_nc_u32_e32 v9, v1, v8
	v_xad_u32 v10, v8, -1, v3
	v_add_nc_u32_e32 v11, 1, v8
	ds_read_u8 v9, v9
	ds_read_u8 v10, v10 offset:16
	s_waitcnt lgkmcnt(0)
	v_cmp_lt_u16_e32 vcc_lo, v10, v9
	v_cndmask_b32_e32 v7, v7, v8, vcc_lo
	v_cndmask_b32_e32 v6, v11, v6, vcc_lo
	v_cmp_ge_i32_e32 vcc_lo, v6, v7
	s_or_b32 s1, vcc_lo, s1
	s_andn2_b32 exec_lo, exec_lo, s1
	s_cbranch_execnz .LBB121_18
; %bb.19:
	s_or_b32 exec_lo, exec_lo, s1
.LBB121_20:
	s_or_b32 exec_lo, exec_lo, s0
	v_sub_nc_u32_e32 v2, v2, v6
	v_add_nc_u32_e32 v3, v1, v6
	v_cmp_lt_i32_e32 vcc_lo, 15, v6
	v_add_nc_u32_e32 v7, v1, v2
	v_add_nc_u32_e32 v2, 16, v2
	ds_read_u8 v3, v3
	ds_read_u8 v7, v7 offset:16
	v_cmp_gt_i32_e64 s0, 32, v2
	; wave barrier
	s_waitcnt lgkmcnt(3)
	ds_write_b8 v4, v5
	; wave barrier
	s_waitcnt lgkmcnt(1)
	v_cmp_lt_u16_sdwa s1, v7, v3 src0_sel:BYTE_0 src1_sel:BYTE_0
	s_or_b32 s1, vcc_lo, s1
	s_and_b32 vcc_lo, s0, s1
	s_add_u32 s0, s2, s4
	v_cndmask_b32_e32 v2, v6, v2, vcc_lo
	v_cndmask_b32_e32 v3, v3, v7, vcc_lo
	s_addc_u32 s1, s3, 0
	v_add_co_u32 v0, s0, s0, v0
	v_add_nc_u32_e32 v1, v1, v2
	ds_read_u8 v1, v1
	s_waitcnt lgkmcnt(0)
	v_add_nc_u16 v2, v1, v3
	v_add_co_ci_u32_e64 v1, null, s1, 0, s0
	global_store_byte v[0:1], v2, off
	s_endpgm
	.section	.rodata,"a",@progbits
	.p2align	6, 0x0
	.amdhsa_kernel _Z10sort_pairsILj256ELj32ELj1EhN10test_utils4lessEEvPKT2_PS2_T3_
		.amdhsa_group_segment_fixed_size 264
		.amdhsa_private_segment_fixed_size 0
		.amdhsa_kernarg_size 20
		.amdhsa_user_sgpr_count 6
		.amdhsa_user_sgpr_private_segment_buffer 1
		.amdhsa_user_sgpr_dispatch_ptr 0
		.amdhsa_user_sgpr_queue_ptr 0
		.amdhsa_user_sgpr_kernarg_segment_ptr 1
		.amdhsa_user_sgpr_dispatch_id 0
		.amdhsa_user_sgpr_flat_scratch_init 0
		.amdhsa_user_sgpr_private_segment_size 0
		.amdhsa_wavefront_size32 1
		.amdhsa_uses_dynamic_stack 0
		.amdhsa_system_sgpr_private_segment_wavefront_offset 0
		.amdhsa_system_sgpr_workgroup_id_x 1
		.amdhsa_system_sgpr_workgroup_id_y 0
		.amdhsa_system_sgpr_workgroup_id_z 0
		.amdhsa_system_sgpr_workgroup_info 0
		.amdhsa_system_vgpr_workitem_id 0
		.amdhsa_next_free_vgpr 16
		.amdhsa_next_free_sgpr 7
		.amdhsa_reserve_vcc 1
		.amdhsa_reserve_flat_scratch 0
		.amdhsa_float_round_mode_32 0
		.amdhsa_float_round_mode_16_64 0
		.amdhsa_float_denorm_mode_32 3
		.amdhsa_float_denorm_mode_16_64 3
		.amdhsa_dx10_clamp 1
		.amdhsa_ieee_mode 1
		.amdhsa_fp16_overflow 0
		.amdhsa_workgroup_processor_mode 1
		.amdhsa_memory_ordered 1
		.amdhsa_forward_progress 1
		.amdhsa_shared_vgpr_count 0
		.amdhsa_exception_fp_ieee_invalid_op 0
		.amdhsa_exception_fp_denorm_src 0
		.amdhsa_exception_fp_ieee_div_zero 0
		.amdhsa_exception_fp_ieee_overflow 0
		.amdhsa_exception_fp_ieee_underflow 0
		.amdhsa_exception_fp_ieee_inexact 0
		.amdhsa_exception_int_div_zero 0
	.end_amdhsa_kernel
	.section	.text._Z10sort_pairsILj256ELj32ELj1EhN10test_utils4lessEEvPKT2_PS2_T3_,"axG",@progbits,_Z10sort_pairsILj256ELj32ELj1EhN10test_utils4lessEEvPKT2_PS2_T3_,comdat
.Lfunc_end121:
	.size	_Z10sort_pairsILj256ELj32ELj1EhN10test_utils4lessEEvPKT2_PS2_T3_, .Lfunc_end121-_Z10sort_pairsILj256ELj32ELj1EhN10test_utils4lessEEvPKT2_PS2_T3_
                                        ; -- End function
	.set _Z10sort_pairsILj256ELj32ELj1EhN10test_utils4lessEEvPKT2_PS2_T3_.num_vgpr, 16
	.set _Z10sort_pairsILj256ELj32ELj1EhN10test_utils4lessEEvPKT2_PS2_T3_.num_agpr, 0
	.set _Z10sort_pairsILj256ELj32ELj1EhN10test_utils4lessEEvPKT2_PS2_T3_.numbered_sgpr, 7
	.set _Z10sort_pairsILj256ELj32ELj1EhN10test_utils4lessEEvPKT2_PS2_T3_.num_named_barrier, 0
	.set _Z10sort_pairsILj256ELj32ELj1EhN10test_utils4lessEEvPKT2_PS2_T3_.private_seg_size, 0
	.set _Z10sort_pairsILj256ELj32ELj1EhN10test_utils4lessEEvPKT2_PS2_T3_.uses_vcc, 1
	.set _Z10sort_pairsILj256ELj32ELj1EhN10test_utils4lessEEvPKT2_PS2_T3_.uses_flat_scratch, 0
	.set _Z10sort_pairsILj256ELj32ELj1EhN10test_utils4lessEEvPKT2_PS2_T3_.has_dyn_sized_stack, 0
	.set _Z10sort_pairsILj256ELj32ELj1EhN10test_utils4lessEEvPKT2_PS2_T3_.has_recursion, 0
	.set _Z10sort_pairsILj256ELj32ELj1EhN10test_utils4lessEEvPKT2_PS2_T3_.has_indirect_call, 0
	.section	.AMDGPU.csdata,"",@progbits
; Kernel info:
; codeLenInByte = 1508
; TotalNumSgprs: 9
; NumVgprs: 16
; ScratchSize: 0
; MemoryBound: 0
; FloatMode: 240
; IeeeMode: 1
; LDSByteSize: 264 bytes/workgroup (compile time only)
; SGPRBlocks: 0
; VGPRBlocks: 1
; NumSGPRsForWavesPerEU: 9
; NumVGPRsForWavesPerEU: 16
; Occupancy: 16
; WaveLimiterHint : 0
; COMPUTE_PGM_RSRC2:SCRATCH_EN: 0
; COMPUTE_PGM_RSRC2:USER_SGPR: 6
; COMPUTE_PGM_RSRC2:TRAP_HANDLER: 0
; COMPUTE_PGM_RSRC2:TGID_X_EN: 1
; COMPUTE_PGM_RSRC2:TGID_Y_EN: 0
; COMPUTE_PGM_RSRC2:TGID_Z_EN: 0
; COMPUTE_PGM_RSRC2:TIDIG_COMP_CNT: 0
	.section	.text._Z19sort_keys_segmentedILj256ELj32ELj1EhN10test_utils4lessEEvPKT2_PS2_PKjT3_,"axG",@progbits,_Z19sort_keys_segmentedILj256ELj32ELj1EhN10test_utils4lessEEvPKT2_PS2_PKjT3_,comdat
	.protected	_Z19sort_keys_segmentedILj256ELj32ELj1EhN10test_utils4lessEEvPKT2_PS2_PKjT3_ ; -- Begin function _Z19sort_keys_segmentedILj256ELj32ELj1EhN10test_utils4lessEEvPKT2_PS2_PKjT3_
	.globl	_Z19sort_keys_segmentedILj256ELj32ELj1EhN10test_utils4lessEEvPKT2_PS2_PKjT3_
	.p2align	8
	.type	_Z19sort_keys_segmentedILj256ELj32ELj1EhN10test_utils4lessEEvPKT2_PS2_PKjT3_,@function
_Z19sort_keys_segmentedILj256ELj32ELj1EhN10test_utils4lessEEvPKT2_PS2_PKjT3_: ; @_Z19sort_keys_segmentedILj256ELj32ELj1EhN10test_utils4lessEEvPKT2_PS2_PKjT3_
; %bb.0:
	s_load_dwordx2 s[0:1], s[4:5], 0x10
	v_lshrrev_b32_e32 v3, 5, v0
	v_mov_b32_e32 v6, 0
	v_lshl_or_b32 v5, s6, 3, v3
	s_load_dwordx4 s[4:7], s[4:5], 0x0
	v_lshlrev_b64 v[0:1], 2, v[5:6]
	v_lshlrev_b32_e32 v2, 5, v5
	s_waitcnt lgkmcnt(0)
	v_add_co_u32 v0, vcc_lo, s0, v0
	v_add_co_ci_u32_e64 v1, null, s1, v1, vcc_lo
	global_load_dword v4, v[0:1], off
	v_mbcnt_lo_u32_b32 v0, -1, 0
	v_mov_b32_e32 v1, v6
	s_waitcnt vmcnt(0)
	v_cmp_ge_u32_e64 s0, v0, v4
	v_cmp_lt_u32_e32 vcc_lo, v0, v4
	s_and_saveexec_b32 s1, s0
	s_xor_b32 s0, exec_lo, s1
	s_or_saveexec_b32 s1, s0
                                        ; implicit-def: $vgpr11
	s_xor_b32 exec_lo, exec_lo, s1
	s_cbranch_execz .LBB122_2
; %bb.1:
	v_add_co_u32 v5, s0, s4, v2
	v_add_co_ci_u32_e64 v6, null, s5, 0, s0
	v_add_co_u32 v5, s0, v5, v0
	v_add_co_ci_u32_e64 v6, null, 0, v6, s0
	global_load_ubyte v11, v[5:6], off
.LBB122_2:
	s_or_b32 exec_lo, exec_lo, s1
	v_and_b32_e32 v5, 30, v0
	v_and_b32_e32 v9, 1, v0
	s_mov_b32 s2, 0
	s_mov_b32 s1, exec_lo
	v_min_i32_e32 v6, v4, v5
	v_min_i32_e32 v9, v4, v9
	; wave barrier
	v_add_nc_u32_e32 v5, 1, v6
	v_min_i32_e32 v5, v4, v5
	v_add_nc_u32_e32 v7, 1, v5
	v_sub_nc_u32_e32 v12, v5, v6
	v_min_i32_e32 v8, v4, v7
	v_sub_nc_u32_e32 v7, v8, v5
	v_sub_nc_u32_e32 v10, v9, v7
	v_cmp_ge_i32_e64 s0, v9, v7
	v_cndmask_b32_e64 v7, 0, v10, s0
	v_min_i32_e32 v10, v9, v12
	v_mad_u32_u24 v12, v3, 33, v0
	v_mul_u32_u24_e32 v3, 33, v3
	s_waitcnt vmcnt(0)
	ds_write_b8 v12, v11
	; wave barrier
	v_cmpx_lt_i32_e64 v7, v10
	s_cbranch_execz .LBB122_6
; %bb.3:
	v_add_nc_u32_e32 v11, v3, v6
	v_add3_u32 v12, v3, v5, v9
	.p2align	6
.LBB122_4:                              ; =>This Inner Loop Header: Depth=1
	v_sub_nc_u32_e32 v13, v10, v7
	v_lshrrev_b32_e32 v13, 1, v13
	v_add_nc_u32_e32 v13, v13, v7
	v_add_nc_u32_e32 v14, v11, v13
	v_xad_u32 v15, v13, -1, v12
	v_add_nc_u32_e32 v16, 1, v13
	ds_read_u8 v14, v14
	ds_read_u8 v15, v15
	s_waitcnt lgkmcnt(0)
	v_cmp_lt_u16_e64 s0, v15, v14
	v_cndmask_b32_e64 v10, v10, v13, s0
	v_cndmask_b32_e64 v7, v16, v7, s0
	v_cmp_ge_i32_e64 s0, v7, v10
	s_or_b32 s2, s0, s2
	s_andn2_b32 exec_lo, exec_lo, s2
	s_cbranch_execnz .LBB122_4
; %bb.5:
	s_or_b32 exec_lo, exec_lo, s2
.LBB122_6:
	s_or_b32 exec_lo, exec_lo, s1
	v_add_nc_u32_e32 v9, v5, v9
	v_and_b32_e32 v10, 28, v0
	v_add_nc_u32_e32 v11, v7, v6
	v_sub_nc_u32_e32 v12, v9, v7
	v_min_i32_e32 v9, v4, v10
	v_add_nc_u32_e32 v6, v3, v11
	v_cmp_le_i32_e64 s0, v5, v11
	v_add_nc_u32_e32 v5, v3, v0
	v_add_nc_u32_e32 v7, v3, v12
	;; [unrolled: 1-line block ×3, first 2 shown]
	v_cmp_gt_i32_e64 s1, v8, v12
	ds_read_u8 v13, v6
	ds_read_u8 v14, v7
	v_min_i32_e32 v7, v4, v10
	v_and_b32_e32 v10, 3, v0
	; wave barrier
	v_add_nc_u32_e32 v6, 2, v7
	v_min_i32_e32 v10, v4, v10
	v_sub_nc_u32_e32 v11, v7, v9
	v_min_i32_e32 v6, v4, v6
	v_min_i32_e32 v11, v10, v11
	v_sub_nc_u32_e32 v15, v6, v7
	s_waitcnt lgkmcnt(0)
	v_cmp_lt_u16_sdwa s2, v14, v13 src0_sel:BYTE_0 src1_sel:BYTE_0
	v_sub_nc_u32_e32 v16, v10, v15
	s_or_b32 s2, s0, s2
	v_cmp_ge_i32_e64 s0, v10, v15
	v_cndmask_b32_e64 v8, 0, v16, s0
	s_and_b32 s0, s1, s2
	s_mov_b32 s2, 0
	v_cndmask_b32_e64 v12, v13, v14, s0
	s_mov_b32 s1, exec_lo
	ds_write_b8 v5, v12
	; wave barrier
	v_cmpx_lt_i32_e64 v8, v11
	s_cbranch_execz .LBB122_10
; %bb.7:
	v_add_nc_u32_e32 v12, v3, v9
	v_add3_u32 v13, v3, v7, v10
	.p2align	6
.LBB122_8:                              ; =>This Inner Loop Header: Depth=1
	v_sub_nc_u32_e32 v14, v11, v8
	v_lshrrev_b32_e32 v14, 1, v14
	v_add_nc_u32_e32 v14, v14, v8
	v_add_nc_u32_e32 v15, v12, v14
	v_xad_u32 v16, v14, -1, v13
	v_add_nc_u32_e32 v17, 1, v14
	ds_read_u8 v15, v15
	ds_read_u8 v16, v16
	s_waitcnt lgkmcnt(0)
	v_cmp_lt_u16_e64 s0, v16, v15
	v_cndmask_b32_e64 v11, v11, v14, s0
	v_cndmask_b32_e64 v8, v17, v8, s0
	v_cmp_ge_i32_e64 s0, v8, v11
	s_or_b32 s2, s0, s2
	s_andn2_b32 exec_lo, exec_lo, s2
	s_cbranch_execnz .LBB122_8
; %bb.9:
	s_or_b32 exec_lo, exec_lo, s2
.LBB122_10:
	s_or_b32 exec_lo, exec_lo, s1
	v_add_nc_u32_e32 v10, v7, v10
	v_and_b32_e32 v11, 24, v0
	v_add_nc_u32_e32 v12, v8, v9
	v_sub_nc_u32_e32 v13, v10, v8
	v_min_i32_e32 v10, v4, v11
	v_add_nc_u32_e32 v8, v3, v12
	v_cmp_le_i32_e64 s0, v7, v12
	v_add_nc_u32_e32 v9, v3, v13
	v_add_nc_u32_e32 v11, 4, v10
	v_cmp_gt_i32_e64 s1, v6, v13
	ds_read_u8 v14, v8
	ds_read_u8 v15, v9
	v_min_i32_e32 v9, v4, v11
	v_and_b32_e32 v11, 7, v0
	; wave barrier
	v_add_nc_u32_e32 v8, 4, v9
	v_min_i32_e32 v11, v4, v11
	v_sub_nc_u32_e32 v7, v9, v10
	v_min_i32_e32 v8, v4, v8
	v_min_i32_e32 v7, v11, v7
	v_sub_nc_u32_e32 v16, v8, v9
	s_waitcnt lgkmcnt(0)
	v_cmp_lt_u16_sdwa s2, v15, v14 src0_sel:BYTE_0 src1_sel:BYTE_0
	v_sub_nc_u32_e32 v12, v11, v16
	s_or_b32 s2, s0, s2
	v_cmp_ge_i32_e64 s0, v11, v16
	v_cndmask_b32_e64 v6, 0, v12, s0
	s_and_b32 s0, s1, s2
	s_mov_b32 s2, 0
	v_cndmask_b32_e64 v12, v14, v15, s0
	s_mov_b32 s1, exec_lo
	ds_write_b8 v5, v12
	; wave barrier
	v_cmpx_lt_i32_e64 v6, v7
	s_cbranch_execz .LBB122_14
; %bb.11:
	v_add_nc_u32_e32 v12, v3, v10
	v_add3_u32 v13, v3, v9, v11
	.p2align	6
.LBB122_12:                             ; =>This Inner Loop Header: Depth=1
	v_sub_nc_u32_e32 v14, v7, v6
	v_lshrrev_b32_e32 v14, 1, v14
	v_add_nc_u32_e32 v14, v14, v6
	v_add_nc_u32_e32 v15, v12, v14
	v_xad_u32 v16, v14, -1, v13
	v_add_nc_u32_e32 v17, 1, v14
	ds_read_u8 v15, v15
	ds_read_u8 v16, v16
	s_waitcnt lgkmcnt(0)
	v_cmp_lt_u16_e64 s0, v16, v15
	v_cndmask_b32_e64 v7, v7, v14, s0
	v_cndmask_b32_e64 v6, v17, v6, s0
	v_cmp_ge_i32_e64 s0, v6, v7
	s_or_b32 s2, s0, s2
	s_andn2_b32 exec_lo, exec_lo, s2
	s_cbranch_execnz .LBB122_12
; %bb.13:
	s_or_b32 exec_lo, exec_lo, s2
.LBB122_14:
	s_or_b32 exec_lo, exec_lo, s1
	v_add_nc_u32_e32 v7, v9, v11
	v_and_b32_e32 v11, 16, v0
	v_add_nc_u32_e32 v12, v6, v10
	v_sub_nc_u32_e32 v13, v7, v6
	v_min_i32_e32 v10, v4, v11
	v_add_nc_u32_e32 v6, v3, v12
	v_cmp_le_i32_e64 s0, v9, v12
	v_add_nc_u32_e32 v7, v3, v13
	v_add_nc_u32_e32 v11, 8, v10
	v_cmp_gt_i32_e64 s1, v8, v13
	ds_read_u8 v14, v6
	ds_read_u8 v15, v7
	v_min_i32_e32 v7, v4, v11
	v_and_b32_e32 v11, 15, v0
	; wave barrier
	v_add_nc_u32_e32 v6, 8, v7
	v_min_i32_e32 v11, v4, v11
	v_sub_nc_u32_e32 v9, v7, v10
	v_min_i32_e32 v6, v4, v6
	v_min_i32_e32 v9, v11, v9
	v_sub_nc_u32_e32 v16, v6, v7
	s_waitcnt lgkmcnt(0)
	v_cmp_lt_u16_sdwa s2, v15, v14 src0_sel:BYTE_0 src1_sel:BYTE_0
	v_sub_nc_u32_e32 v12, v11, v16
	s_or_b32 s2, s0, s2
	v_cmp_ge_i32_e64 s0, v11, v16
	v_cndmask_b32_e64 v8, 0, v12, s0
	s_and_b32 s0, s1, s2
	s_mov_b32 s2, 0
	v_cndmask_b32_e64 v12, v14, v15, s0
	s_mov_b32 s1, exec_lo
	ds_write_b8 v5, v12
	; wave barrier
	v_cmpx_lt_i32_e64 v8, v9
	s_cbranch_execz .LBB122_18
; %bb.15:
	v_add_nc_u32_e32 v12, v3, v10
	v_add3_u32 v13, v3, v7, v11
	.p2align	6
.LBB122_16:                             ; =>This Inner Loop Header: Depth=1
	v_sub_nc_u32_e32 v14, v9, v8
	v_lshrrev_b32_e32 v14, 1, v14
	v_add_nc_u32_e32 v14, v14, v8
	v_add_nc_u32_e32 v15, v12, v14
	v_xad_u32 v16, v14, -1, v13
	v_add_nc_u32_e32 v17, 1, v14
	ds_read_u8 v15, v15
	ds_read_u8 v16, v16
	s_waitcnt lgkmcnt(0)
	v_cmp_lt_u16_e64 s0, v16, v15
	v_cndmask_b32_e64 v9, v9, v14, s0
	v_cndmask_b32_e64 v8, v17, v8, s0
	v_cmp_ge_i32_e64 s0, v8, v9
	s_or_b32 s2, s0, s2
	s_andn2_b32 exec_lo, exec_lo, s2
	s_cbranch_execnz .LBB122_16
; %bb.17:
	s_or_b32 exec_lo, exec_lo, s2
.LBB122_18:
	s_or_b32 exec_lo, exec_lo, s1
	v_add_nc_u32_e32 v9, v7, v11
	v_add_nc_u32_e32 v11, v8, v10
	v_min_i32_e32 v10, 0, v4
	v_sub_nc_u32_e32 v12, v9, v8
	v_add_nc_u32_e32 v8, v3, v11
	v_add_nc_u32_e32 v13, 16, v10
	v_cmp_le_i32_e64 s0, v7, v11
	v_add_nc_u32_e32 v9, v3, v12
	v_cmp_gt_i32_e64 s1, v6, v12
	ds_read_u8 v14, v8
	ds_read_u8 v15, v9
	v_min_i32_e32 v9, v4, v13
	; wave barrier
	v_add_nc_u32_e32 v8, 16, v9
	v_sub_nc_u32_e32 v7, v9, v10
	v_min_i32_e32 v8, v4, v8
	v_min_i32_e32 v4, v4, v0
	v_sub_nc_u32_e32 v13, v8, v9
	v_min_i32_e32 v7, v4, v7
	s_waitcnt lgkmcnt(0)
	v_cmp_lt_u16_sdwa s2, v15, v14 src0_sel:BYTE_0 src1_sel:BYTE_0
	v_sub_nc_u32_e32 v11, v4, v13
	s_or_b32 s2, s0, s2
	v_cmp_ge_i32_e64 s0, v4, v13
	v_cndmask_b32_e64 v6, 0, v11, s0
	s_and_b32 s0, s1, s2
	s_mov_b32 s1, 0
	v_cndmask_b32_e64 v11, v14, v15, s0
	s_mov_b32 s2, exec_lo
	ds_write_b8 v5, v11
	; wave barrier
	v_cmpx_lt_i32_e64 v6, v7
	s_cbranch_execnz .LBB122_21
; %bb.19:
	s_or_b32 exec_lo, exec_lo, s2
	s_and_saveexec_b32 s0, vcc_lo
	s_cbranch_execnz .LBB122_24
.LBB122_20:
	s_endpgm
.LBB122_21:
	v_add_nc_u32_e32 v5, v3, v10
	v_add3_u32 v11, v3, v9, v4
	.p2align	6
.LBB122_22:                             ; =>This Inner Loop Header: Depth=1
	v_sub_nc_u32_e32 v12, v7, v6
	v_lshrrev_b32_e32 v12, 1, v12
	v_add_nc_u32_e32 v12, v12, v6
	v_add_nc_u32_e32 v13, v5, v12
	v_xad_u32 v14, v12, -1, v11
	v_add_nc_u32_e32 v15, 1, v12
	ds_read_u8 v13, v13
	ds_read_u8 v14, v14
	s_waitcnt lgkmcnt(0)
	v_cmp_lt_u16_e64 s0, v14, v13
	v_cndmask_b32_e64 v7, v7, v12, s0
	v_cndmask_b32_e64 v6, v15, v6, s0
	v_cmp_ge_i32_e64 s0, v6, v7
	s_or_b32 s1, s0, s1
	s_andn2_b32 exec_lo, exec_lo, s1
	s_cbranch_execnz .LBB122_22
; %bb.23:
	s_or_b32 exec_lo, exec_lo, s1
	s_or_b32 exec_lo, exec_lo, s2
	s_and_saveexec_b32 s0, vcc_lo
	s_cbranch_execz .LBB122_20
.LBB122_24:
	v_add_nc_u32_e32 v4, v9, v4
	v_add_nc_u32_e32 v5, v6, v10
	v_add_co_u32 v2, s0, s6, v2
	v_sub_nc_u32_e32 v4, v4, v6
	v_cmp_le_i32_e32 vcc_lo, v9, v5
	v_add_nc_u32_e32 v6, v3, v4
	v_add_nc_u32_e32 v3, v3, v5
	v_add_co_ci_u32_e64 v5, null, s7, 0, s0
	v_cmp_gt_i32_e64 s0, v8, v4
	ds_read_u8 v6, v6
	ds_read_u8 v3, v3
	s_waitcnt lgkmcnt(0)
	v_cmp_lt_u16_sdwa s1, v6, v3 src0_sel:BYTE_0 src1_sel:BYTE_0
	s_or_b32 s1, vcc_lo, s1
	v_add_co_u32 v0, vcc_lo, v2, v0
	v_add_co_ci_u32_e64 v1, null, v5, v1, vcc_lo
	s_and_b32 vcc_lo, s0, s1
	v_cndmask_b32_e32 v2, v3, v6, vcc_lo
	global_store_byte v[0:1], v2, off
	s_endpgm
	.section	.rodata,"a",@progbits
	.p2align	6, 0x0
	.amdhsa_kernel _Z19sort_keys_segmentedILj256ELj32ELj1EhN10test_utils4lessEEvPKT2_PS2_PKjT3_
		.amdhsa_group_segment_fixed_size 264
		.amdhsa_private_segment_fixed_size 0
		.amdhsa_kernarg_size 28
		.amdhsa_user_sgpr_count 6
		.amdhsa_user_sgpr_private_segment_buffer 1
		.amdhsa_user_sgpr_dispatch_ptr 0
		.amdhsa_user_sgpr_queue_ptr 0
		.amdhsa_user_sgpr_kernarg_segment_ptr 1
		.amdhsa_user_sgpr_dispatch_id 0
		.amdhsa_user_sgpr_flat_scratch_init 0
		.amdhsa_user_sgpr_private_segment_size 0
		.amdhsa_wavefront_size32 1
		.amdhsa_uses_dynamic_stack 0
		.amdhsa_system_sgpr_private_segment_wavefront_offset 0
		.amdhsa_system_sgpr_workgroup_id_x 1
		.amdhsa_system_sgpr_workgroup_id_y 0
		.amdhsa_system_sgpr_workgroup_id_z 0
		.amdhsa_system_sgpr_workgroup_info 0
		.amdhsa_system_vgpr_workitem_id 0
		.amdhsa_next_free_vgpr 18
		.amdhsa_next_free_sgpr 8
		.amdhsa_reserve_vcc 1
		.amdhsa_reserve_flat_scratch 0
		.amdhsa_float_round_mode_32 0
		.amdhsa_float_round_mode_16_64 0
		.amdhsa_float_denorm_mode_32 3
		.amdhsa_float_denorm_mode_16_64 3
		.amdhsa_dx10_clamp 1
		.amdhsa_ieee_mode 1
		.amdhsa_fp16_overflow 0
		.amdhsa_workgroup_processor_mode 1
		.amdhsa_memory_ordered 1
		.amdhsa_forward_progress 1
		.amdhsa_shared_vgpr_count 0
		.amdhsa_exception_fp_ieee_invalid_op 0
		.amdhsa_exception_fp_denorm_src 0
		.amdhsa_exception_fp_ieee_div_zero 0
		.amdhsa_exception_fp_ieee_overflow 0
		.amdhsa_exception_fp_ieee_underflow 0
		.amdhsa_exception_fp_ieee_inexact 0
		.amdhsa_exception_int_div_zero 0
	.end_amdhsa_kernel
	.section	.text._Z19sort_keys_segmentedILj256ELj32ELj1EhN10test_utils4lessEEvPKT2_PS2_PKjT3_,"axG",@progbits,_Z19sort_keys_segmentedILj256ELj32ELj1EhN10test_utils4lessEEvPKT2_PS2_PKjT3_,comdat
.Lfunc_end122:
	.size	_Z19sort_keys_segmentedILj256ELj32ELj1EhN10test_utils4lessEEvPKT2_PS2_PKjT3_, .Lfunc_end122-_Z19sort_keys_segmentedILj256ELj32ELj1EhN10test_utils4lessEEvPKT2_PS2_PKjT3_
                                        ; -- End function
	.set _Z19sort_keys_segmentedILj256ELj32ELj1EhN10test_utils4lessEEvPKT2_PS2_PKjT3_.num_vgpr, 18
	.set _Z19sort_keys_segmentedILj256ELj32ELj1EhN10test_utils4lessEEvPKT2_PS2_PKjT3_.num_agpr, 0
	.set _Z19sort_keys_segmentedILj256ELj32ELj1EhN10test_utils4lessEEvPKT2_PS2_PKjT3_.numbered_sgpr, 8
	.set _Z19sort_keys_segmentedILj256ELj32ELj1EhN10test_utils4lessEEvPKT2_PS2_PKjT3_.num_named_barrier, 0
	.set _Z19sort_keys_segmentedILj256ELj32ELj1EhN10test_utils4lessEEvPKT2_PS2_PKjT3_.private_seg_size, 0
	.set _Z19sort_keys_segmentedILj256ELj32ELj1EhN10test_utils4lessEEvPKT2_PS2_PKjT3_.uses_vcc, 1
	.set _Z19sort_keys_segmentedILj256ELj32ELj1EhN10test_utils4lessEEvPKT2_PS2_PKjT3_.uses_flat_scratch, 0
	.set _Z19sort_keys_segmentedILj256ELj32ELj1EhN10test_utils4lessEEvPKT2_PS2_PKjT3_.has_dyn_sized_stack, 0
	.set _Z19sort_keys_segmentedILj256ELj32ELj1EhN10test_utils4lessEEvPKT2_PS2_PKjT3_.has_recursion, 0
	.set _Z19sort_keys_segmentedILj256ELj32ELj1EhN10test_utils4lessEEvPKT2_PS2_PKjT3_.has_indirect_call, 0
	.section	.AMDGPU.csdata,"",@progbits
; Kernel info:
; codeLenInByte = 1824
; TotalNumSgprs: 10
; NumVgprs: 18
; ScratchSize: 0
; MemoryBound: 0
; FloatMode: 240
; IeeeMode: 1
; LDSByteSize: 264 bytes/workgroup (compile time only)
; SGPRBlocks: 0
; VGPRBlocks: 2
; NumSGPRsForWavesPerEU: 10
; NumVGPRsForWavesPerEU: 18
; Occupancy: 16
; WaveLimiterHint : 0
; COMPUTE_PGM_RSRC2:SCRATCH_EN: 0
; COMPUTE_PGM_RSRC2:USER_SGPR: 6
; COMPUTE_PGM_RSRC2:TRAP_HANDLER: 0
; COMPUTE_PGM_RSRC2:TGID_X_EN: 1
; COMPUTE_PGM_RSRC2:TGID_Y_EN: 0
; COMPUTE_PGM_RSRC2:TGID_Z_EN: 0
; COMPUTE_PGM_RSRC2:TIDIG_COMP_CNT: 0
	.section	.text._Z20sort_pairs_segmentedILj256ELj32ELj1EhN10test_utils4lessEEvPKT2_PS2_PKjT3_,"axG",@progbits,_Z20sort_pairs_segmentedILj256ELj32ELj1EhN10test_utils4lessEEvPKT2_PS2_PKjT3_,comdat
	.protected	_Z20sort_pairs_segmentedILj256ELj32ELj1EhN10test_utils4lessEEvPKT2_PS2_PKjT3_ ; -- Begin function _Z20sort_pairs_segmentedILj256ELj32ELj1EhN10test_utils4lessEEvPKT2_PS2_PKjT3_
	.globl	_Z20sort_pairs_segmentedILj256ELj32ELj1EhN10test_utils4lessEEvPKT2_PS2_PKjT3_
	.p2align	8
	.type	_Z20sort_pairs_segmentedILj256ELj32ELj1EhN10test_utils4lessEEvPKT2_PS2_PKjT3_,@function
_Z20sort_pairs_segmentedILj256ELj32ELj1EhN10test_utils4lessEEvPKT2_PS2_PKjT3_: ; @_Z20sort_pairs_segmentedILj256ELj32ELj1EhN10test_utils4lessEEvPKT2_PS2_PKjT3_
; %bb.0:
	s_load_dwordx2 s[0:1], s[4:5], 0x10
	v_lshrrev_b32_e32 v3, 5, v0
	v_mov_b32_e32 v2, 0
	v_mbcnt_lo_u32_b32 v0, -1, 0
	v_lshl_or_b32 v1, s6, 3, v3
	s_load_dwordx4 s[4:7], s[4:5], 0x0
	v_lshlrev_b64 v[4:5], 2, v[1:2]
	v_lshlrev_b32_e32 v1, 5, v1
	s_waitcnt lgkmcnt(0)
	v_add_co_u32 v4, vcc_lo, s0, v4
	v_add_co_ci_u32_e64 v5, null, s1, v5, vcc_lo
	global_load_dword v4, v[4:5], off
	s_waitcnt vmcnt(0)
	v_cmp_ge_u32_e64 s0, v0, v4
	v_cmp_lt_u32_e32 vcc_lo, v0, v4
	s_and_saveexec_b32 s1, s0
	s_xor_b32 s0, exec_lo, s1
	s_or_saveexec_b32 s1, s0
                                        ; implicit-def: $vgpr5
	s_xor_b32 exec_lo, exec_lo, s1
	s_cbranch_execz .LBB123_2
; %bb.1:
	v_add_co_u32 v5, s0, s4, v1
	v_add_co_ci_u32_e64 v6, null, s5, 0, s0
	v_add_co_u32 v5, s0, v5, v0
	v_add_co_ci_u32_e64 v6, null, 0, v6, s0
	global_load_ubyte v5, v[5:6], off
.LBB123_2:
	s_or_b32 exec_lo, exec_lo, s1
	v_and_b32_e32 v6, 30, v0
	v_and_b32_e32 v9, 1, v0
	s_mov_b32 s2, 0
	s_mov_b32 s1, exec_lo
	v_min_i32_e32 v8, v4, v6
	v_min_i32_e32 v9, v4, v9
	; wave barrier
	v_add_nc_u32_e32 v6, 1, v8
	v_min_i32_e32 v6, v4, v6
	v_add_nc_u32_e32 v7, 1, v6
	v_sub_nc_u32_e32 v12, v6, v8
	v_min_i32_e32 v7, v4, v7
	v_sub_nc_u32_e32 v10, v7, v6
	v_sub_nc_u32_e32 v11, v9, v10
	v_cmp_ge_i32_e64 s0, v9, v10
	v_cndmask_b32_e64 v10, 0, v11, s0
	v_min_i32_e32 v11, v9, v12
	v_mad_u32_u24 v12, v3, 33, v0
	v_mul_u32_u24_e32 v3, 33, v3
	s_waitcnt vmcnt(0)
	ds_write_b8 v12, v5
	; wave barrier
	v_cmpx_lt_i32_e64 v10, v11
	s_cbranch_execz .LBB123_6
; %bb.3:
	v_add_nc_u32_e32 v12, v3, v8
	v_add3_u32 v13, v3, v6, v9
	.p2align	6
.LBB123_4:                              ; =>This Inner Loop Header: Depth=1
	v_sub_nc_u32_e32 v14, v11, v10
	v_lshrrev_b32_e32 v14, 1, v14
	v_add_nc_u32_e32 v14, v14, v10
	v_add_nc_u32_e32 v15, v12, v14
	v_xad_u32 v16, v14, -1, v13
	v_add_nc_u32_e32 v17, 1, v14
	ds_read_u8 v15, v15
	ds_read_u8 v16, v16
	s_waitcnt lgkmcnt(0)
	v_cmp_lt_u16_e64 s0, v16, v15
	v_cndmask_b32_e64 v11, v11, v14, s0
	v_cndmask_b32_e64 v10, v17, v10, s0
	v_cmp_ge_i32_e64 s0, v10, v11
	s_or_b32 s2, s0, s2
	s_andn2_b32 exec_lo, exec_lo, s2
	s_cbranch_execnz .LBB123_4
; %bb.5:
	s_or_b32 exec_lo, exec_lo, s2
.LBB123_6:
	s_or_b32 exec_lo, exec_lo, s1
	v_add_nc_u32_e32 v9, v6, v9
	v_add_nc_u32_e32 v8, v10, v8
	v_sub_nc_u32_e32 v10, v9, v10
	v_add_nc_u32_e32 v9, v3, v8
	v_cmp_le_i32_e64 s0, v6, v8
	v_add_nc_u32_e32 v11, v3, v10
	v_cmp_gt_i32_e64 s1, v7, v10
	v_add_nc_u16 v7, v5, 1
	v_add_nc_u32_e32 v5, v3, v0
	ds_read_u8 v12, v9
	ds_read_u8 v11, v11
	v_and_b32_e32 v9, 28, v0
	; wave barrier
	ds_write_b8 v5, v7
	v_and_b32_e32 v7, 3, v0
	v_min_i32_e32 v9, v4, v9
	; wave barrier
	v_add_nc_u32_e32 v13, 2, v9
	v_min_i32_e32 v6, v4, v13
	s_waitcnt lgkmcnt(1)
	v_cmp_lt_u16_sdwa s2, v11, v12 src0_sel:BYTE_0 src1_sel:BYTE_0
	v_add_nc_u32_e32 v13, 2, v6
	s_or_b32 s0, s0, s2
	s_mov_b32 s2, 0
	s_and_b32 s0, s1, s0
	s_mov_b32 s1, exec_lo
	v_cndmask_b32_e64 v10, v8, v10, s0
	v_cndmask_b32_e64 v14, v12, v11, s0
	v_min_i32_e32 v8, v4, v13
	v_sub_nc_u32_e32 v13, v6, v9
	v_add_nc_u32_e32 v11, v3, v10
	v_min_i32_e32 v10, v4, v7
	v_sub_nc_u32_e32 v12, v8, v6
	ds_read_u8 v7, v11
	v_sub_nc_u32_e32 v11, v10, v12
	v_cmp_ge_i32_e64 s0, v10, v12
	v_min_i32_e32 v12, v10, v13
	; wave barrier
	ds_write_b8 v5, v14
	v_cndmask_b32_e64 v11, 0, v11, s0
	; wave barrier
	v_cmpx_lt_i32_e64 v11, v12
	s_cbranch_execz .LBB123_10
; %bb.7:
	v_add_nc_u32_e32 v13, v3, v9
	v_add3_u32 v14, v3, v6, v10
	.p2align	6
.LBB123_8:                              ; =>This Inner Loop Header: Depth=1
	v_sub_nc_u32_e32 v15, v12, v11
	v_lshrrev_b32_e32 v15, 1, v15
	v_add_nc_u32_e32 v15, v15, v11
	v_add_nc_u32_e32 v16, v13, v15
	v_xad_u32 v17, v15, -1, v14
	v_add_nc_u32_e32 v18, 1, v15
	ds_read_u8 v16, v16
	ds_read_u8 v17, v17
	s_waitcnt lgkmcnt(0)
	v_cmp_lt_u16_e64 s0, v17, v16
	v_cndmask_b32_e64 v12, v12, v15, s0
	v_cndmask_b32_e64 v11, v18, v11, s0
	v_cmp_ge_i32_e64 s0, v11, v12
	s_or_b32 s2, s0, s2
	s_andn2_b32 exec_lo, exec_lo, s2
	s_cbranch_execnz .LBB123_8
; %bb.9:
	s_or_b32 exec_lo, exec_lo, s2
.LBB123_10:
	s_or_b32 exec_lo, exec_lo, s1
	v_add_nc_u32_e32 v10, v6, v10
	v_add_nc_u32_e32 v12, v11, v9
	v_sub_nc_u32_e32 v10, v10, v11
	v_add_nc_u32_e32 v9, v3, v12
	v_cmp_le_i32_e64 s0, v6, v12
	v_add_nc_u32_e32 v11, v3, v10
	v_cmp_gt_i32_e64 s1, v8, v10
	ds_read_u8 v13, v9
	ds_read_u8 v11, v11
	v_and_b32_e32 v9, 24, v0
	; wave barrier
	s_waitcnt lgkmcnt(3)
	ds_write_b8 v5, v7
	v_and_b32_e32 v7, 7, v0
	v_min_i32_e32 v9, v4, v9
	; wave barrier
	v_add_nc_u32_e32 v14, 4, v9
	v_min_i32_e32 v6, v4, v14
	s_waitcnt lgkmcnt(1)
	v_cmp_lt_u16_sdwa s2, v11, v13 src0_sel:BYTE_0 src1_sel:BYTE_0
	v_add_nc_u32_e32 v8, 4, v6
	v_sub_nc_u32_e32 v14, v6, v9
	s_or_b32 s0, s0, s2
	v_min_i32_e32 v8, v4, v8
	s_and_b32 s0, s1, s0
	s_mov_b32 s2, 0
	v_cndmask_b32_e64 v10, v12, v10, s0
	v_cndmask_b32_e64 v13, v13, v11, s0
	v_sub_nc_u32_e32 v12, v8, v6
	s_mov_b32 s1, exec_lo
	v_add_nc_u32_e32 v11, v3, v10
	v_min_i32_e32 v10, v4, v7
	ds_read_u8 v7, v11
	v_sub_nc_u32_e32 v11, v10, v12
	v_cmp_ge_i32_e64 s0, v10, v12
	v_min_i32_e32 v12, v10, v14
	; wave barrier
	ds_write_b8 v5, v13
	v_cndmask_b32_e64 v11, 0, v11, s0
	; wave barrier
	v_cmpx_lt_i32_e64 v11, v12
	s_cbranch_execz .LBB123_14
; %bb.11:
	v_add_nc_u32_e32 v13, v3, v9
	v_add3_u32 v14, v3, v6, v10
	.p2align	6
.LBB123_12:                             ; =>This Inner Loop Header: Depth=1
	v_sub_nc_u32_e32 v15, v12, v11
	v_lshrrev_b32_e32 v15, 1, v15
	v_add_nc_u32_e32 v15, v15, v11
	v_add_nc_u32_e32 v16, v13, v15
	v_xad_u32 v17, v15, -1, v14
	v_add_nc_u32_e32 v18, 1, v15
	ds_read_u8 v16, v16
	ds_read_u8 v17, v17
	s_waitcnt lgkmcnt(0)
	v_cmp_lt_u16_e64 s0, v17, v16
	v_cndmask_b32_e64 v12, v12, v15, s0
	v_cndmask_b32_e64 v11, v18, v11, s0
	v_cmp_ge_i32_e64 s0, v11, v12
	s_or_b32 s2, s0, s2
	s_andn2_b32 exec_lo, exec_lo, s2
	s_cbranch_execnz .LBB123_12
; %bb.13:
	s_or_b32 exec_lo, exec_lo, s2
.LBB123_14:
	s_or_b32 exec_lo, exec_lo, s1
	v_add_nc_u32_e32 v10, v6, v10
	v_add_nc_u32_e32 v12, v11, v9
	v_sub_nc_u32_e32 v10, v10, v11
	v_add_nc_u32_e32 v9, v3, v12
	v_cmp_le_i32_e64 s0, v6, v12
	v_add_nc_u32_e32 v11, v3, v10
	v_cmp_gt_i32_e64 s1, v8, v10
	ds_read_u8 v13, v9
	ds_read_u8 v11, v11
	v_and_b32_e32 v9, 16, v0
	; wave barrier
	s_waitcnt lgkmcnt(3)
	ds_write_b8 v5, v7
	v_and_b32_e32 v7, 15, v0
	v_min_i32_e32 v9, v4, v9
	; wave barrier
	v_add_nc_u32_e32 v14, 8, v9
	v_min_i32_e32 v6, v4, v14
	s_waitcnt lgkmcnt(1)
	v_cmp_lt_u16_sdwa s2, v11, v13 src0_sel:BYTE_0 src1_sel:BYTE_0
	v_add_nc_u32_e32 v8, 8, v6
	v_sub_nc_u32_e32 v14, v6, v9
	s_or_b32 s0, s0, s2
	v_min_i32_e32 v8, v4, v8
	s_and_b32 s0, s1, s0
	s_mov_b32 s2, 0
	v_cndmask_b32_e64 v10, v12, v10, s0
	v_cndmask_b32_e64 v13, v13, v11, s0
	v_sub_nc_u32_e32 v12, v8, v6
	s_mov_b32 s1, exec_lo
	v_add_nc_u32_e32 v11, v3, v10
	v_min_i32_e32 v10, v4, v7
	ds_read_u8 v7, v11
	v_sub_nc_u32_e32 v11, v10, v12
	v_cmp_ge_i32_e64 s0, v10, v12
	v_min_i32_e32 v12, v10, v14
	; wave barrier
	ds_write_b8 v5, v13
	v_cndmask_b32_e64 v11, 0, v11, s0
	; wave barrier
	v_cmpx_lt_i32_e64 v11, v12
	s_cbranch_execz .LBB123_18
; %bb.15:
	v_add_nc_u32_e32 v13, v3, v9
	v_add3_u32 v14, v3, v6, v10
	.p2align	6
.LBB123_16:                             ; =>This Inner Loop Header: Depth=1
	v_sub_nc_u32_e32 v15, v12, v11
	v_lshrrev_b32_e32 v15, 1, v15
	v_add_nc_u32_e32 v15, v15, v11
	v_add_nc_u32_e32 v16, v13, v15
	v_xad_u32 v17, v15, -1, v14
	v_add_nc_u32_e32 v18, 1, v15
	ds_read_u8 v16, v16
	ds_read_u8 v17, v17
	s_waitcnt lgkmcnt(0)
	v_cmp_lt_u16_e64 s0, v17, v16
	v_cndmask_b32_e64 v12, v12, v15, s0
	v_cndmask_b32_e64 v11, v18, v11, s0
	v_cmp_ge_i32_e64 s0, v11, v12
	s_or_b32 s2, s0, s2
	s_andn2_b32 exec_lo, exec_lo, s2
	s_cbranch_execnz .LBB123_16
; %bb.17:
	s_or_b32 exec_lo, exec_lo, s2
.LBB123_18:
	s_or_b32 exec_lo, exec_lo, s1
	v_add_nc_u32_e32 v10, v6, v10
	v_add_nc_u32_e32 v12, v11, v9
	v_sub_nc_u32_e32 v10, v10, v11
	v_add_nc_u32_e32 v9, v3, v12
	v_cmp_le_i32_e64 s0, v6, v12
	v_add_nc_u32_e32 v11, v3, v10
	v_cmp_gt_i32_e64 s1, v8, v10
	ds_read_u8 v13, v9
	ds_read_u8 v11, v11
	v_min_i32_e32 v9, 0, v4
	; wave barrier
	s_waitcnt lgkmcnt(3)
	ds_write_b8 v5, v7
	v_add_nc_u32_e32 v6, 16, v9
	; wave barrier
	v_min_i32_e32 v6, v4, v6
	v_add_nc_u32_e32 v8, 16, v6
	s_waitcnt lgkmcnt(1)
	v_cmp_lt_u16_sdwa s2, v11, v13 src0_sel:BYTE_0 src1_sel:BYTE_0
	v_min_i32_e32 v7, v4, v8
	v_min_i32_e32 v8, v4, v0
	s_or_b32 s0, s0, s2
	s_mov_b32 s2, 0
	s_and_b32 s0, s1, s0
	s_mov_b32 s1, exec_lo
	v_cndmask_b32_e64 v10, v12, v10, s0
	v_cndmask_b32_e64 v13, v13, v11, s0
	v_sub_nc_u32_e32 v11, v7, v6
	v_sub_nc_u32_e32 v12, v6, v9
	v_add_nc_u32_e32 v10, v3, v10
	v_cmp_ge_i32_e64 s0, v8, v11
	ds_read_u8 v4, v10
	v_sub_nc_u32_e32 v10, v8, v11
	v_min_i32_e32 v11, v8, v12
	; wave barrier
	ds_write_b8 v5, v13
	v_cndmask_b32_e64 v10, 0, v10, s0
	; wave barrier
	v_cmpx_lt_i32_e64 v10, v11
	s_cbranch_execz .LBB123_22
; %bb.19:
	v_add_nc_u32_e32 v12, v3, v9
	v_add3_u32 v13, v3, v6, v8
	.p2align	6
.LBB123_20:                             ; =>This Inner Loop Header: Depth=1
	v_sub_nc_u32_e32 v14, v11, v10
	v_lshrrev_b32_e32 v14, 1, v14
	v_add_nc_u32_e32 v14, v14, v10
	v_add_nc_u32_e32 v15, v12, v14
	v_xad_u32 v16, v14, -1, v13
	v_add_nc_u32_e32 v17, 1, v14
	ds_read_u8 v15, v15
	ds_read_u8 v16, v16
	s_waitcnt lgkmcnt(0)
	v_cmp_lt_u16_e64 s0, v16, v15
	v_cndmask_b32_e64 v11, v11, v14, s0
	v_cndmask_b32_e64 v10, v17, v10, s0
	v_cmp_ge_i32_e64 s0, v10, v11
	s_or_b32 s2, s0, s2
	s_andn2_b32 exec_lo, exec_lo, s2
	s_cbranch_execnz .LBB123_20
; %bb.21:
	s_or_b32 exec_lo, exec_lo, s2
.LBB123_22:
	s_or_b32 exec_lo, exec_lo, s1
	v_add_nc_u32_e32 v11, v6, v8
	v_add_nc_u32_e32 v8, v10, v9
	v_sub_nc_u32_e32 v9, v11, v10
	v_add_nc_u32_e32 v10, v3, v8
	v_add_nc_u32_e32 v11, v3, v9
	ds_read_u8 v10, v10
	ds_read_u8 v11, v11
	; wave barrier
	s_waitcnt lgkmcnt(3)
	ds_write_b8 v5, v4
	; wave barrier
	s_and_saveexec_b32 s0, vcc_lo
	s_cbranch_execz .LBB123_24
; %bb.23:
	v_cmp_le_i32_e32 vcc_lo, v6, v8
	s_waitcnt lgkmcnt(1)
	v_cmp_lt_u16_sdwa s1, v11, v10 src0_sel:BYTE_0 src1_sel:BYTE_0
	v_cmp_gt_i32_e64 s0, v7, v9
	s_or_b32 s1, vcc_lo, s1
	s_and_b32 vcc_lo, s0, s1
	v_add_co_u32 v1, s0, s6, v1
	v_cndmask_b32_e32 v5, v8, v9, vcc_lo
	v_cndmask_b32_e32 v4, v10, v11, vcc_lo
	v_add_co_u32 v0, vcc_lo, v1, v0
	v_add_nc_u32_e32 v3, v3, v5
	v_add_co_ci_u32_e64 v5, null, s7, 0, s0
	ds_read_u8 v3, v3
	v_add_co_ci_u32_e64 v1, null, v5, v2, vcc_lo
	s_waitcnt lgkmcnt(0)
	v_add_nc_u16 v3, v3, v4
	global_store_byte v[0:1], v3, off
.LBB123_24:
	s_endpgm
	.section	.rodata,"a",@progbits
	.p2align	6, 0x0
	.amdhsa_kernel _Z20sort_pairs_segmentedILj256ELj32ELj1EhN10test_utils4lessEEvPKT2_PS2_PKjT3_
		.amdhsa_group_segment_fixed_size 264
		.amdhsa_private_segment_fixed_size 0
		.amdhsa_kernarg_size 28
		.amdhsa_user_sgpr_count 6
		.amdhsa_user_sgpr_private_segment_buffer 1
		.amdhsa_user_sgpr_dispatch_ptr 0
		.amdhsa_user_sgpr_queue_ptr 0
		.amdhsa_user_sgpr_kernarg_segment_ptr 1
		.amdhsa_user_sgpr_dispatch_id 0
		.amdhsa_user_sgpr_flat_scratch_init 0
		.amdhsa_user_sgpr_private_segment_size 0
		.amdhsa_wavefront_size32 1
		.amdhsa_uses_dynamic_stack 0
		.amdhsa_system_sgpr_private_segment_wavefront_offset 0
		.amdhsa_system_sgpr_workgroup_id_x 1
		.amdhsa_system_sgpr_workgroup_id_y 0
		.amdhsa_system_sgpr_workgroup_id_z 0
		.amdhsa_system_sgpr_workgroup_info 0
		.amdhsa_system_vgpr_workitem_id 0
		.amdhsa_next_free_vgpr 19
		.amdhsa_next_free_sgpr 8
		.amdhsa_reserve_vcc 1
		.amdhsa_reserve_flat_scratch 0
		.amdhsa_float_round_mode_32 0
		.amdhsa_float_round_mode_16_64 0
		.amdhsa_float_denorm_mode_32 3
		.amdhsa_float_denorm_mode_16_64 3
		.amdhsa_dx10_clamp 1
		.amdhsa_ieee_mode 1
		.amdhsa_fp16_overflow 0
		.amdhsa_workgroup_processor_mode 1
		.amdhsa_memory_ordered 1
		.amdhsa_forward_progress 1
		.amdhsa_shared_vgpr_count 0
		.amdhsa_exception_fp_ieee_invalid_op 0
		.amdhsa_exception_fp_denorm_src 0
		.amdhsa_exception_fp_ieee_div_zero 0
		.amdhsa_exception_fp_ieee_overflow 0
		.amdhsa_exception_fp_ieee_underflow 0
		.amdhsa_exception_fp_ieee_inexact 0
		.amdhsa_exception_int_div_zero 0
	.end_amdhsa_kernel
	.section	.text._Z20sort_pairs_segmentedILj256ELj32ELj1EhN10test_utils4lessEEvPKT2_PS2_PKjT3_,"axG",@progbits,_Z20sort_pairs_segmentedILj256ELj32ELj1EhN10test_utils4lessEEvPKT2_PS2_PKjT3_,comdat
.Lfunc_end123:
	.size	_Z20sort_pairs_segmentedILj256ELj32ELj1EhN10test_utils4lessEEvPKT2_PS2_PKjT3_, .Lfunc_end123-_Z20sort_pairs_segmentedILj256ELj32ELj1EhN10test_utils4lessEEvPKT2_PS2_PKjT3_
                                        ; -- End function
	.set _Z20sort_pairs_segmentedILj256ELj32ELj1EhN10test_utils4lessEEvPKT2_PS2_PKjT3_.num_vgpr, 19
	.set _Z20sort_pairs_segmentedILj256ELj32ELj1EhN10test_utils4lessEEvPKT2_PS2_PKjT3_.num_agpr, 0
	.set _Z20sort_pairs_segmentedILj256ELj32ELj1EhN10test_utils4lessEEvPKT2_PS2_PKjT3_.numbered_sgpr, 8
	.set _Z20sort_pairs_segmentedILj256ELj32ELj1EhN10test_utils4lessEEvPKT2_PS2_PKjT3_.num_named_barrier, 0
	.set _Z20sort_pairs_segmentedILj256ELj32ELj1EhN10test_utils4lessEEvPKT2_PS2_PKjT3_.private_seg_size, 0
	.set _Z20sort_pairs_segmentedILj256ELj32ELj1EhN10test_utils4lessEEvPKT2_PS2_PKjT3_.uses_vcc, 1
	.set _Z20sort_pairs_segmentedILj256ELj32ELj1EhN10test_utils4lessEEvPKT2_PS2_PKjT3_.uses_flat_scratch, 0
	.set _Z20sort_pairs_segmentedILj256ELj32ELj1EhN10test_utils4lessEEvPKT2_PS2_PKjT3_.has_dyn_sized_stack, 0
	.set _Z20sort_pairs_segmentedILj256ELj32ELj1EhN10test_utils4lessEEvPKT2_PS2_PKjT3_.has_recursion, 0
	.set _Z20sort_pairs_segmentedILj256ELj32ELj1EhN10test_utils4lessEEvPKT2_PS2_PKjT3_.has_indirect_call, 0
	.section	.AMDGPU.csdata,"",@progbits
; Kernel info:
; codeLenInByte = 1928
; TotalNumSgprs: 10
; NumVgprs: 19
; ScratchSize: 0
; MemoryBound: 0
; FloatMode: 240
; IeeeMode: 1
; LDSByteSize: 264 bytes/workgroup (compile time only)
; SGPRBlocks: 0
; VGPRBlocks: 2
; NumSGPRsForWavesPerEU: 10
; NumVGPRsForWavesPerEU: 19
; Occupancy: 16
; WaveLimiterHint : 0
; COMPUTE_PGM_RSRC2:SCRATCH_EN: 0
; COMPUTE_PGM_RSRC2:USER_SGPR: 6
; COMPUTE_PGM_RSRC2:TRAP_HANDLER: 0
; COMPUTE_PGM_RSRC2:TGID_X_EN: 1
; COMPUTE_PGM_RSRC2:TGID_Y_EN: 0
; COMPUTE_PGM_RSRC2:TGID_Z_EN: 0
; COMPUTE_PGM_RSRC2:TIDIG_COMP_CNT: 0
	.section	.text._Z9sort_keysILj256ELj32ELj4EhN10test_utils4lessEEvPKT2_PS2_T3_,"axG",@progbits,_Z9sort_keysILj256ELj32ELj4EhN10test_utils4lessEEvPKT2_PS2_T3_,comdat
	.protected	_Z9sort_keysILj256ELj32ELj4EhN10test_utils4lessEEvPKT2_PS2_T3_ ; -- Begin function _Z9sort_keysILj256ELj32ELj4EhN10test_utils4lessEEvPKT2_PS2_T3_
	.globl	_Z9sort_keysILj256ELj32ELj4EhN10test_utils4lessEEvPKT2_PS2_T3_
	.p2align	8
	.type	_Z9sort_keysILj256ELj32ELj4EhN10test_utils4lessEEvPKT2_PS2_T3_,@function
_Z9sort_keysILj256ELj32ELj4EhN10test_utils4lessEEvPKT2_PS2_T3_: ; @_Z9sort_keysILj256ELj32ELj4EhN10test_utils4lessEEvPKT2_PS2_T3_
; %bb.0:
	s_load_dwordx4 s[8:11], s[4:5], 0x0
	s_lshl_b32 s3, s6, 10
	v_lshlrev_b32_e32 v1, 2, v0
	v_mov_b32_e32 v8, 0xffffff00
	v_lshrrev_b32_e32 v0, 5, v0
	s_waitcnt lgkmcnt(0)
	s_add_u32 s0, s8, s3
	s_addc_u32 s1, s9, 0
	global_load_dword v2, v1, s[0:1]
	s_mov_b32 s1, exec_lo
	; wave barrier
	s_waitcnt vmcnt(0)
	v_lshrrev_b32_e32 v3, 8, v2
	v_and_b32_e32 v4, 0xff, v2
	v_perm_b32 v5, v2, v2, 0x7060405
	v_and_b32_e32 v3, 0xff, v3
	v_cmp_lt_u16_e32 vcc_lo, v3, v4
	v_cndmask_b32_e32 v2, v2, v5, vcc_lo
	v_lshrrev_b32_e32 v5, 16, v2
	v_lshrrev_b32_e32 v7, 24, v2
	v_perm_b32 v6, 0, v5, 0xc0c0001
	v_and_b32_e32 v5, 0xff, v5
	v_lshlrev_b32_e32 v6, 16, v6
	v_cmp_lt_u16_e32 vcc_lo, v7, v5
	v_min_u16 v9, v7, v5
	v_and_or_b32 v6, 0xffff, v2, v6
	v_cndmask_b32_e32 v2, v2, v6, vcc_lo
	v_min_u16 v6, v3, v4
	v_max_u16 v3, v3, v4
	v_lshlrev_b16 v4, 8, v9
	v_and_b32_sdwa v10, v2, v8 dst_sel:DWORD dst_unused:UNUSED_PAD src0_sel:WORD_1 src1_sel:DWORD
	v_lshlrev_b16 v11, 8, v6
	v_min_u16 v12, v9, v3
	v_or_b32_sdwa v4, v2, v4 dst_sel:DWORD dst_unused:UNUSED_PAD src0_sel:BYTE_0 src1_sel:DWORD
	v_cmp_lt_u16_e32 vcc_lo, v9, v3
	v_or_b32_sdwa v10, v3, v10 dst_sel:WORD_1 dst_unused:UNUSED_PAD src0_sel:DWORD src1_sel:DWORD
	v_or_b32_e32 v11, v12, v11
	v_or_b32_sdwa v4, v4, v10 dst_sel:DWORD dst_unused:UNUSED_PAD src0_sel:WORD_0 src1_sel:DWORD
	v_max_u16 v10, v9, v3
	v_and_b32_e32 v11, 0xffff, v11
	v_cndmask_b32_e32 v2, v2, v4, vcc_lo
	v_max_u16 v4, v7, v5
	v_lshlrev_b16 v5, 8, v10
	v_cmp_lt_u16_e32 vcc_lo, v9, v6
	v_mov_b32_e32 v9, 0
	v_and_or_b32 v7, 0xffff0000, v2, v11
	v_cmp_gt_u16_e64 s0, v3, v4
	v_or_b32_sdwa v5, v4, v5 dst_sel:WORD_1 dst_unused:UNUSED_PAD src0_sel:DWORD src1_sel:DWORD
	v_cndmask_b32_e32 v11, v12, v6, vcc_lo
	v_cndmask_b32_e32 v7, v2, v7, vcc_lo
	v_mbcnt_lo_u32_b32 v2, -1, 0
	v_cndmask_b32_e64 v10, v10, v4, s0
	v_and_or_b32 v5, 0xffff, v7, v5
	v_lshlrev_b32_e32 v2, 2, v2
	v_lshlrev_b16 v6, 8, v10
	v_cmp_lt_u16_e32 vcc_lo, v10, v11
	v_cndmask_b32_e64 v7, v7, v5, s0
	v_and_b32_e32 v5, 0x78, v2
	s_mov_b32 s0, 0
	v_and_b32_sdwa v3, v7, v8 dst_sel:DWORD dst_unused:UNUSED_PAD src0_sel:WORD_1 src1_sel:DWORD
	v_or_b32_e32 v4, 4, v5
	v_or_b32_sdwa v6, v7, v6 dst_sel:DWORD dst_unused:UNUSED_PAD src0_sel:BYTE_0 src1_sel:DWORD
	v_and_b32_e32 v8, 4, v2
	v_or_b32_sdwa v3, v11, v3 dst_sel:WORD_1 dst_unused:UNUSED_PAD src0_sel:DWORD src1_sel:DWORD
	v_sub_nc_u32_e32 v12, v4, v5
	v_or_b32_sdwa v13, v6, v3 dst_sel:DWORD dst_unused:UNUSED_PAD src0_sel:WORD_0 src1_sel:DWORD
	v_mad_u32_u24 v3, 0x81, v0, v2
	v_min_i32_e32 v6, v8, v12
	v_mul_u32_u24_e32 v0, 0x81, v0
	v_cndmask_b32_e32 v7, v7, v13, vcc_lo
	ds_write_b32 v3, v7
	; wave barrier
	v_cmpx_lt_i32_e32 0, v6
	s_cbranch_execz .LBB124_4
; %bb.1:
	v_add_nc_u32_e32 v7, v0, v5
	v_mov_b32_e32 v9, 0
	v_add_nc_u32_e32 v10, v7, v8
	.p2align	6
.LBB124_2:                              ; =>This Inner Loop Header: Depth=1
	v_sub_nc_u32_e32 v11, v6, v9
	v_lshrrev_b32_e32 v11, 1, v11
	v_add_nc_u32_e32 v11, v11, v9
	v_add_nc_u32_e32 v12, v7, v11
	v_xad_u32 v13, v11, -1, v10
	v_add_nc_u32_e32 v14, 1, v11
	ds_read_u8 v12, v12
	ds_read_u8 v13, v13 offset:4
	s_waitcnt lgkmcnt(0)
	v_cmp_lt_u16_e32 vcc_lo, v13, v12
	v_cndmask_b32_e32 v6, v6, v11, vcc_lo
	v_cndmask_b32_e32 v9, v14, v9, vcc_lo
	v_cmp_ge_i32_e32 vcc_lo, v9, v6
	s_or_b32 s0, vcc_lo, s0
	s_andn2_b32 exec_lo, exec_lo, s0
	s_cbranch_execnz .LBB124_2
; %bb.3:
	s_or_b32 exec_lo, exec_lo, s0
.LBB124_4:
	s_or_b32 exec_lo, exec_lo, s1
	v_add_nc_u32_e32 v6, v5, v8
	v_add_nc_u32_e32 v10, v9, v5
	;; [unrolled: 1-line block ×4, first 2 shown]
	v_cmp_lt_i32_e32 vcc_lo, 3, v9
	v_sub_nc_u32_e32 v6, v6, v9
	v_add_nc_u32_e32 v13, v0, v10
	v_sub_nc_u32_e32 v11, v11, v9
                                        ; implicit-def: $vgpr5
	v_add_nc_u32_e32 v12, v0, v6
	ds_read_u8 v6, v13
	ds_read_u8 v7, v12 offset:4
	v_cmp_gt_i32_e64 s0, v8, v11
	s_waitcnt lgkmcnt(0)
	v_cmp_lt_u16_sdwa s1, v7, v6 src0_sel:BYTE_0 src1_sel:BYTE_0
	s_or_b32 s1, vcc_lo, s1
	s_and_b32 vcc_lo, s0, s1
	s_xor_b32 s0, vcc_lo, -1
	s_and_saveexec_b32 s1, s0
	s_xor_b32 s0, exec_lo, s1
; %bb.5:
	ds_read_u8 v5, v13 offset:1
                                        ; implicit-def: $vgpr12
; %bb.6:
	s_or_saveexec_b32 s0, s0
	v_mov_b32_e32 v9, v7
	s_xor_b32 exec_lo, exec_lo, s0
	s_cbranch_execz .LBB124_8
; %bb.7:
	ds_read_u8 v9, v12 offset:5
	s_waitcnt lgkmcnt(1)
	v_mov_b32_e32 v5, v6
.LBB124_8:
	s_or_b32 exec_lo, exec_lo, s0
	v_add_nc_u32_e32 v12, 1, v10
	v_add_nc_u32_e32 v13, 1, v11
	s_waitcnt lgkmcnt(0)
	v_cmp_lt_u16_sdwa s2, v9, v5 src0_sel:BYTE_0 src1_sel:BYTE_0
	v_cndmask_b32_e32 v12, v12, v10, vcc_lo
	v_cndmask_b32_e32 v11, v11, v13, vcc_lo
                                        ; implicit-def: $vgpr10
	v_cmp_ge_i32_e64 s0, v12, v4
	v_cmp_lt_i32_e64 s1, v11, v8
	s_or_b32 s0, s0, s2
	s_and_b32 s0, s1, s0
	s_xor_b32 s1, s0, -1
	s_and_saveexec_b32 s2, s1
	s_xor_b32 s1, exec_lo, s2
; %bb.9:
	v_add_nc_u32_e32 v10, v0, v12
	ds_read_u8 v10, v10 offset:1
; %bb.10:
	s_or_saveexec_b32 s1, s1
	v_mov_b32_e32 v14, v9
	s_xor_b32 exec_lo, exec_lo, s1
	s_cbranch_execz .LBB124_12
; %bb.11:
	s_waitcnt lgkmcnt(0)
	v_add_nc_u32_e32 v10, v0, v11
	ds_read_u8 v14, v10 offset:1
	v_mov_b32_e32 v10, v5
.LBB124_12:
	s_or_b32 exec_lo, exec_lo, s1
	v_add_nc_u32_e32 v13, 1, v12
	v_add_nc_u32_e32 v15, 1, v11
	s_waitcnt lgkmcnt(0)
	v_cmp_lt_u16_sdwa s4, v14, v10 src0_sel:BYTE_0 src1_sel:BYTE_0
	v_cndmask_b32_e64 v12, v13, v12, s0
	v_cndmask_b32_e64 v11, v11, v15, s0
                                        ; implicit-def: $vgpr13
	v_cmp_ge_i32_e64 s1, v12, v4
	v_cmp_lt_i32_e64 s2, v11, v8
	s_or_b32 s1, s1, s4
	s_and_b32 s1, s2, s1
	s_xor_b32 s2, s1, -1
	s_and_saveexec_b32 s4, s2
	s_xor_b32 s2, exec_lo, s4
; %bb.13:
	v_add_nc_u32_e32 v13, v0, v12
	ds_read_u8 v13, v13 offset:1
; %bb.14:
	s_or_saveexec_b32 s2, s2
	v_mov_b32_e32 v15, v14
	s_xor_b32 exec_lo, exec_lo, s2
	s_cbranch_execz .LBB124_16
; %bb.15:
	s_waitcnt lgkmcnt(0)
	v_add_nc_u32_e32 v13, v0, v11
	ds_read_u8 v15, v13 offset:1
	v_mov_b32_e32 v13, v10
.LBB124_16:
	s_or_b32 exec_lo, exec_lo, s2
	v_add_nc_u32_e32 v16, 1, v12
	v_cndmask_b32_e64 v14, v10, v14, s1
	v_and_b32_e32 v10, 0x70, v2
	v_add_nc_u32_e32 v17, 1, v11
	s_waitcnt lgkmcnt(0)
	v_cmp_lt_u16_sdwa s2, v15, v13 src0_sel:BYTE_0 src1_sel:BYTE_0
	v_cndmask_b32_e64 v12, v16, v12, s1
	v_cndmask_b32_e64 v16, v5, v9, s0
	v_or_b32_e32 v5, 8, v10
	v_cndmask_b32_e64 v9, v11, v17, s1
	v_cndmask_b32_e32 v7, v6, v7, vcc_lo
	v_cmp_ge_i32_e64 s0, v12, v4
	v_and_b32_e32 v4, 12, v2
	v_sub_nc_u32_e32 v6, v5, v10
	v_cmp_lt_i32_e64 s1, v9, v8
	s_or_b32 s0, s0, s2
	v_sub_nc_u32_e64 v9, v4, 8 clamp
	v_min_i32_e32 v6, v4, v6
	s_and_b32 vcc_lo, s1, s0
	s_mov_b32 s0, exec_lo
	v_cndmask_b32_e32 v8, v13, v15, vcc_lo
	; wave barrier
	ds_write_b8 v3, v7
	ds_write_b8 v3, v16 offset:1
	ds_write_b8 v3, v14 offset:2
	;; [unrolled: 1-line block ×3, first 2 shown]
	; wave barrier
	v_cmpx_lt_i32_e64 v9, v6
	s_cbranch_execz .LBB124_20
; %bb.17:
	v_add_nc_u32_e32 v7, v0, v10
	s_mov_b32 s1, 0
	v_add_nc_u32_e32 v8, v7, v4
	.p2align	6
.LBB124_18:                             ; =>This Inner Loop Header: Depth=1
	v_sub_nc_u32_e32 v11, v6, v9
	v_lshrrev_b32_e32 v11, 1, v11
	v_add_nc_u32_e32 v11, v11, v9
	v_add_nc_u32_e32 v12, v7, v11
	v_xad_u32 v13, v11, -1, v8
	v_add_nc_u32_e32 v14, 1, v11
	ds_read_u8 v12, v12
	ds_read_u8 v13, v13 offset:8
	s_waitcnt lgkmcnt(0)
	v_cmp_lt_u16_e32 vcc_lo, v13, v12
	v_cndmask_b32_e32 v6, v6, v11, vcc_lo
	v_cndmask_b32_e32 v9, v14, v9, vcc_lo
	v_cmp_ge_i32_e32 vcc_lo, v9, v6
	s_or_b32 s1, vcc_lo, s1
	s_andn2_b32 exec_lo, exec_lo, s1
	s_cbranch_execnz .LBB124_18
; %bb.19:
	s_or_b32 exec_lo, exec_lo, s1
.LBB124_20:
	s_or_b32 exec_lo, exec_lo, s0
	v_add_nc_u32_e32 v6, v10, v4
	v_add_nc_u32_e32 v11, v9, v10
	;; [unrolled: 1-line block ×4, first 2 shown]
	v_cmp_lt_i32_e32 vcc_lo, 7, v9
	v_sub_nc_u32_e32 v6, v6, v9
	v_add_nc_u32_e32 v13, v0, v11
	v_sub_nc_u32_e32 v10, v4, v9
                                        ; implicit-def: $vgpr4
	v_add_nc_u32_e32 v12, v0, v6
	ds_read_u8 v6, v13
	ds_read_u8 v7, v12 offset:8
	v_cmp_gt_i32_e64 s0, v8, v10
	s_waitcnt lgkmcnt(0)
	v_cmp_lt_u16_sdwa s1, v7, v6 src0_sel:BYTE_0 src1_sel:BYTE_0
	s_or_b32 s1, vcc_lo, s1
	s_and_b32 vcc_lo, s0, s1
	s_xor_b32 s0, vcc_lo, -1
	s_and_saveexec_b32 s1, s0
	s_xor_b32 s0, exec_lo, s1
; %bb.21:
	ds_read_u8 v4, v13 offset:1
                                        ; implicit-def: $vgpr12
; %bb.22:
	s_or_saveexec_b32 s0, s0
	v_mov_b32_e32 v9, v7
	s_xor_b32 exec_lo, exec_lo, s0
	s_cbranch_execz .LBB124_24
; %bb.23:
	ds_read_u8 v9, v12 offset:9
	s_waitcnt lgkmcnt(1)
	v_mov_b32_e32 v4, v6
.LBB124_24:
	s_or_b32 exec_lo, exec_lo, s0
	v_add_nc_u32_e32 v12, 1, v11
	v_add_nc_u32_e32 v13, 1, v10
	s_waitcnt lgkmcnt(0)
	v_cmp_lt_u16_sdwa s2, v9, v4 src0_sel:BYTE_0 src1_sel:BYTE_0
	v_cndmask_b32_e32 v12, v12, v11, vcc_lo
	v_cndmask_b32_e32 v11, v10, v13, vcc_lo
                                        ; implicit-def: $vgpr10
	v_cmp_ge_i32_e64 s0, v12, v5
	v_cmp_lt_i32_e64 s1, v11, v8
	s_or_b32 s0, s0, s2
	s_and_b32 s0, s1, s0
	s_xor_b32 s1, s0, -1
	s_and_saveexec_b32 s2, s1
	s_xor_b32 s1, exec_lo, s2
; %bb.25:
	v_add_nc_u32_e32 v10, v0, v12
	ds_read_u8 v10, v10 offset:1
; %bb.26:
	s_or_saveexec_b32 s1, s1
	v_mov_b32_e32 v14, v9
	s_xor_b32 exec_lo, exec_lo, s1
	s_cbranch_execz .LBB124_28
; %bb.27:
	s_waitcnt lgkmcnt(0)
	v_add_nc_u32_e32 v10, v0, v11
	ds_read_u8 v14, v10 offset:1
	v_mov_b32_e32 v10, v4
.LBB124_28:
	s_or_b32 exec_lo, exec_lo, s1
	v_add_nc_u32_e32 v13, 1, v12
	v_add_nc_u32_e32 v15, 1, v11
	s_waitcnt lgkmcnt(0)
	v_cmp_lt_u16_sdwa s4, v14, v10 src0_sel:BYTE_0 src1_sel:BYTE_0
	v_cndmask_b32_e64 v12, v13, v12, s0
	v_cndmask_b32_e64 v11, v11, v15, s0
                                        ; implicit-def: $vgpr13
	v_cmp_ge_i32_e64 s1, v12, v5
	v_cmp_lt_i32_e64 s2, v11, v8
	s_or_b32 s1, s1, s4
	s_and_b32 s1, s2, s1
	s_xor_b32 s2, s1, -1
	s_and_saveexec_b32 s4, s2
	s_xor_b32 s2, exec_lo, s4
; %bb.29:
	v_add_nc_u32_e32 v13, v0, v12
	ds_read_u8 v13, v13 offset:1
; %bb.30:
	s_or_saveexec_b32 s2, s2
	v_mov_b32_e32 v15, v14
	s_xor_b32 exec_lo, exec_lo, s2
	s_cbranch_execz .LBB124_32
; %bb.31:
	s_waitcnt lgkmcnt(0)
	v_add_nc_u32_e32 v13, v0, v11
	ds_read_u8 v15, v13 offset:1
	v_mov_b32_e32 v13, v10
.LBB124_32:
	s_or_b32 exec_lo, exec_lo, s2
	v_add_nc_u32_e32 v16, 1, v12
	v_cndmask_b32_e64 v14, v10, v14, s1
	v_and_b32_e32 v10, 0x60, v2
	v_add_nc_u32_e32 v17, 1, v11
	s_waitcnt lgkmcnt(0)
	v_cmp_lt_u16_sdwa s2, v15, v13 src0_sel:BYTE_0 src1_sel:BYTE_0
	v_cndmask_b32_e64 v12, v16, v12, s1
	v_cndmask_b32_e64 v16, v4, v9, s0
	v_or_b32_e32 v4, 16, v10
	v_cndmask_b32_e64 v9, v11, v17, s1
	v_cndmask_b32_e32 v7, v6, v7, vcc_lo
	v_cmp_ge_i32_e64 s0, v12, v5
	v_and_b32_e32 v5, 28, v2
	v_sub_nc_u32_e32 v6, v4, v10
	v_cmp_lt_i32_e64 s1, v9, v8
	s_or_b32 s0, s0, s2
	v_sub_nc_u32_e64 v9, v5, 16 clamp
	v_min_i32_e32 v6, v5, v6
	s_and_b32 vcc_lo, s1, s0
	s_mov_b32 s0, exec_lo
	v_cndmask_b32_e32 v8, v13, v15, vcc_lo
	; wave barrier
	ds_write_b8 v3, v7
	ds_write_b8 v3, v16 offset:1
	ds_write_b8 v3, v14 offset:2
	ds_write_b8 v3, v8 offset:3
	; wave barrier
	v_cmpx_lt_i32_e64 v9, v6
	s_cbranch_execz .LBB124_36
; %bb.33:
	v_add_nc_u32_e32 v7, v0, v10
	s_mov_b32 s1, 0
	v_add_nc_u32_e32 v8, v7, v5
	.p2align	6
.LBB124_34:                             ; =>This Inner Loop Header: Depth=1
	v_sub_nc_u32_e32 v11, v6, v9
	v_lshrrev_b32_e32 v11, 1, v11
	v_add_nc_u32_e32 v11, v11, v9
	v_add_nc_u32_e32 v12, v7, v11
	v_xad_u32 v13, v11, -1, v8
	v_add_nc_u32_e32 v14, 1, v11
	ds_read_u8 v12, v12
	ds_read_u8 v13, v13 offset:16
	s_waitcnt lgkmcnt(0)
	v_cmp_lt_u16_e32 vcc_lo, v13, v12
	v_cndmask_b32_e32 v6, v6, v11, vcc_lo
	v_cndmask_b32_e32 v9, v14, v9, vcc_lo
	v_cmp_ge_i32_e32 vcc_lo, v9, v6
	s_or_b32 s1, vcc_lo, s1
	s_andn2_b32 exec_lo, exec_lo, s1
	s_cbranch_execnz .LBB124_34
; %bb.35:
	s_or_b32 exec_lo, exec_lo, s1
.LBB124_36:
	s_or_b32 exec_lo, exec_lo, s0
	v_add_nc_u32_e32 v6, v10, v5
	v_add_nc_u32_e32 v11, v9, v10
	;; [unrolled: 1-line block ×4, first 2 shown]
	v_cmp_lt_i32_e32 vcc_lo, 15, v9
	v_sub_nc_u32_e32 v6, v6, v9
	v_add_nc_u32_e32 v13, v0, v11
	v_sub_nc_u32_e32 v10, v5, v9
                                        ; implicit-def: $vgpr5
	v_add_nc_u32_e32 v12, v0, v6
	ds_read_u8 v6, v13
	ds_read_u8 v7, v12 offset:16
	v_cmp_gt_i32_e64 s0, v8, v10
	s_waitcnt lgkmcnt(0)
	v_cmp_lt_u16_sdwa s1, v7, v6 src0_sel:BYTE_0 src1_sel:BYTE_0
	s_or_b32 s1, vcc_lo, s1
	s_and_b32 vcc_lo, s0, s1
	s_xor_b32 s0, vcc_lo, -1
	s_and_saveexec_b32 s1, s0
	s_xor_b32 s0, exec_lo, s1
; %bb.37:
	ds_read_u8 v5, v13 offset:1
                                        ; implicit-def: $vgpr12
; %bb.38:
	s_or_saveexec_b32 s0, s0
	v_mov_b32_e32 v9, v7
	s_xor_b32 exec_lo, exec_lo, s0
	s_cbranch_execz .LBB124_40
; %bb.39:
	ds_read_u8 v9, v12 offset:17
	s_waitcnt lgkmcnt(1)
	v_mov_b32_e32 v5, v6
.LBB124_40:
	s_or_b32 exec_lo, exec_lo, s0
	v_add_nc_u32_e32 v12, 1, v11
	v_add_nc_u32_e32 v13, 1, v10
	s_waitcnt lgkmcnt(0)
	v_cmp_lt_u16_sdwa s2, v9, v5 src0_sel:BYTE_0 src1_sel:BYTE_0
	v_cndmask_b32_e32 v12, v12, v11, vcc_lo
	v_cndmask_b32_e32 v11, v10, v13, vcc_lo
                                        ; implicit-def: $vgpr10
	v_cmp_ge_i32_e64 s0, v12, v4
	v_cmp_lt_i32_e64 s1, v11, v8
	s_or_b32 s0, s0, s2
	s_and_b32 s0, s1, s0
	s_xor_b32 s1, s0, -1
	s_and_saveexec_b32 s2, s1
	s_xor_b32 s1, exec_lo, s2
; %bb.41:
	v_add_nc_u32_e32 v10, v0, v12
	ds_read_u8 v10, v10 offset:1
; %bb.42:
	s_or_saveexec_b32 s1, s1
	v_mov_b32_e32 v14, v9
	s_xor_b32 exec_lo, exec_lo, s1
	s_cbranch_execz .LBB124_44
; %bb.43:
	s_waitcnt lgkmcnt(0)
	v_add_nc_u32_e32 v10, v0, v11
	ds_read_u8 v14, v10 offset:1
	v_mov_b32_e32 v10, v5
.LBB124_44:
	s_or_b32 exec_lo, exec_lo, s1
	v_add_nc_u32_e32 v13, 1, v12
	v_add_nc_u32_e32 v15, 1, v11
	s_waitcnt lgkmcnt(0)
	v_cmp_lt_u16_sdwa s4, v14, v10 src0_sel:BYTE_0 src1_sel:BYTE_0
	v_cndmask_b32_e64 v12, v13, v12, s0
	v_cndmask_b32_e64 v11, v11, v15, s0
                                        ; implicit-def: $vgpr13
	v_cmp_ge_i32_e64 s1, v12, v4
	v_cmp_lt_i32_e64 s2, v11, v8
	s_or_b32 s1, s1, s4
	s_and_b32 s1, s2, s1
	s_xor_b32 s2, s1, -1
	s_and_saveexec_b32 s4, s2
	s_xor_b32 s2, exec_lo, s4
; %bb.45:
	v_add_nc_u32_e32 v13, v0, v12
	ds_read_u8 v13, v13 offset:1
; %bb.46:
	s_or_saveexec_b32 s2, s2
	v_mov_b32_e32 v15, v14
	s_xor_b32 exec_lo, exec_lo, s2
	s_cbranch_execz .LBB124_48
; %bb.47:
	s_waitcnt lgkmcnt(0)
	v_add_nc_u32_e32 v13, v0, v11
	ds_read_u8 v15, v13 offset:1
	v_mov_b32_e32 v13, v10
.LBB124_48:
	s_or_b32 exec_lo, exec_lo, s2
	v_add_nc_u32_e32 v16, 1, v12
	v_cndmask_b32_e64 v14, v10, v14, s1
	v_and_b32_e32 v10, 64, v2
	v_add_nc_u32_e32 v17, 1, v11
	v_cndmask_b32_e64 v9, v5, v9, s0
	v_cndmask_b32_e64 v12, v16, v12, s1
	s_waitcnt lgkmcnt(0)
	v_cmp_lt_u16_sdwa s2, v15, v13 src0_sel:BYTE_0 src1_sel:BYTE_0
	v_or_b32_e32 v5, 32, v10
	v_cndmask_b32_e64 v11, v11, v17, s1
	v_cndmask_b32_e32 v7, v6, v7, vcc_lo
	v_cmp_ge_i32_e64 s0, v12, v4
	v_and_b32_e32 v4, 60, v2
	v_sub_nc_u32_e32 v6, v5, v10
	v_cmp_lt_i32_e64 s1, v11, v8
	s_or_b32 s0, s0, s2
	v_sub_nc_u32_e64 v8, v4, 32 clamp
	v_min_i32_e32 v6, v4, v6
	s_and_b32 vcc_lo, s1, s0
	s_mov_b32 s0, exec_lo
	v_cndmask_b32_e32 v11, v13, v15, vcc_lo
	; wave barrier
	ds_write_b8 v3, v7
	ds_write_b8 v3, v9 offset:1
	ds_write_b8 v3, v14 offset:2
	;; [unrolled: 1-line block ×3, first 2 shown]
	; wave barrier
	v_cmpx_lt_i32_e64 v8, v6
	s_cbranch_execz .LBB124_52
; %bb.49:
	v_add_nc_u32_e32 v7, v0, v10
	s_mov_b32 s1, 0
	v_add_nc_u32_e32 v9, v7, v4
	.p2align	6
.LBB124_50:                             ; =>This Inner Loop Header: Depth=1
	v_sub_nc_u32_e32 v11, v6, v8
	v_lshrrev_b32_e32 v11, 1, v11
	v_add_nc_u32_e32 v11, v11, v8
	v_add_nc_u32_e32 v12, v7, v11
	v_xad_u32 v13, v11, -1, v9
	v_add_nc_u32_e32 v14, 1, v11
	ds_read_u8 v12, v12
	ds_read_u8 v13, v13 offset:32
	s_waitcnt lgkmcnt(0)
	v_cmp_lt_u16_e32 vcc_lo, v13, v12
	v_cndmask_b32_e32 v6, v6, v11, vcc_lo
	v_cndmask_b32_e32 v8, v14, v8, vcc_lo
	v_cmp_ge_i32_e32 vcc_lo, v8, v6
	s_or_b32 s1, vcc_lo, s1
	s_andn2_b32 exec_lo, exec_lo, s1
	s_cbranch_execnz .LBB124_50
; %bb.51:
	s_or_b32 exec_lo, exec_lo, s1
.LBB124_52:
	s_or_b32 exec_lo, exec_lo, s0
	v_add_nc_u32_e32 v6, v10, v4
	v_add_nc_u32_e32 v11, v8, v10
	v_add_nc_u32_e32 v13, v5, v4
	v_add_nc_u32_e32 v4, 64, v10
	v_cmp_lt_i32_e32 vcc_lo, 31, v8
	v_sub_nc_u32_e32 v6, v6, v8
	v_add_nc_u32_e32 v9, v0, v11
	v_sub_nc_u32_e32 v10, v13, v8
                                        ; implicit-def: $vgpr8
	v_add_nc_u32_e32 v12, v0, v6
	ds_read_u8 v6, v9
	ds_read_u8 v7, v12 offset:32
	v_cmp_gt_i32_e64 s0, v4, v10
	s_waitcnt lgkmcnt(0)
	v_cmp_lt_u16_sdwa s1, v7, v6 src0_sel:BYTE_0 src1_sel:BYTE_0
	s_or_b32 s1, vcc_lo, s1
	s_and_b32 vcc_lo, s0, s1
	s_xor_b32 s0, vcc_lo, -1
	s_and_saveexec_b32 s1, s0
	s_xor_b32 s0, exec_lo, s1
; %bb.53:
	ds_read_u8 v8, v9 offset:1
                                        ; implicit-def: $vgpr12
; %bb.54:
	s_or_saveexec_b32 s0, s0
	v_mov_b32_e32 v9, v7
	s_xor_b32 exec_lo, exec_lo, s0
	s_cbranch_execz .LBB124_56
; %bb.55:
	ds_read_u8 v9, v12 offset:33
	s_waitcnt lgkmcnt(1)
	v_mov_b32_e32 v8, v6
.LBB124_56:
	s_or_b32 exec_lo, exec_lo, s0
	v_add_nc_u32_e32 v12, 1, v11
	v_add_nc_u32_e32 v14, 1, v10
	s_waitcnt lgkmcnt(0)
	v_cmp_lt_u16_sdwa s2, v9, v8 src0_sel:BYTE_0 src1_sel:BYTE_0
	v_cndmask_b32_e32 v13, v12, v11, vcc_lo
	v_cndmask_b32_e32 v12, v10, v14, vcc_lo
                                        ; implicit-def: $vgpr10
	v_cmp_ge_i32_e64 s0, v13, v5
	v_cmp_lt_i32_e64 s1, v12, v4
	s_or_b32 s0, s0, s2
	s_and_b32 s0, s1, s0
	s_xor_b32 s1, s0, -1
	s_and_saveexec_b32 s2, s1
	s_xor_b32 s1, exec_lo, s2
; %bb.57:
	v_add_nc_u32_e32 v10, v0, v13
	ds_read_u8 v10, v10 offset:1
; %bb.58:
	s_or_saveexec_b32 s1, s1
	v_mov_b32_e32 v11, v9
	s_xor_b32 exec_lo, exec_lo, s1
	s_cbranch_execz .LBB124_60
; %bb.59:
	s_waitcnt lgkmcnt(0)
	v_add_nc_u32_e32 v10, v0, v12
	ds_read_u8 v11, v10 offset:1
	v_mov_b32_e32 v10, v8
.LBB124_60:
	s_or_b32 exec_lo, exec_lo, s1
	v_add_nc_u32_e32 v14, 1, v13
	v_add_nc_u32_e32 v15, 1, v12
	s_waitcnt lgkmcnt(0)
	v_cmp_lt_u16_sdwa s4, v11, v10 src0_sel:BYTE_0 src1_sel:BYTE_0
	v_cndmask_b32_e64 v14, v14, v13, s0
	v_cndmask_b32_e64 v13, v12, v15, s0
                                        ; implicit-def: $vgpr12
	v_cmp_ge_i32_e64 s1, v14, v5
	v_cmp_lt_i32_e64 s2, v13, v4
	s_or_b32 s1, s1, s4
	s_and_b32 s1, s2, s1
	s_xor_b32 s2, s1, -1
	s_and_saveexec_b32 s4, s2
	s_xor_b32 s2, exec_lo, s4
; %bb.61:
	v_add_nc_u32_e32 v12, v0, v14
	ds_read_u8 v12, v12 offset:1
; %bb.62:
	s_or_saveexec_b32 s2, s2
	v_mov_b32_e32 v15, v11
	s_xor_b32 exec_lo, exec_lo, s2
	s_cbranch_execz .LBB124_64
; %bb.63:
	s_waitcnt lgkmcnt(0)
	v_add_nc_u32_e32 v12, v0, v13
	ds_read_u8 v15, v12 offset:1
	v_mov_b32_e32 v12, v10
.LBB124_64:
	s_or_b32 exec_lo, exec_lo, s2
	v_add_nc_u32_e32 v16, 1, v14
	v_add_nc_u32_e32 v17, 1, v13
	v_cndmask_b32_e64 v10, v10, v11, s1
	v_cndmask_b32_e64 v8, v8, v9, s0
	v_cndmask_b32_e32 v7, v6, v7, vcc_lo
	v_cndmask_b32_e64 v11, v16, v14, s1
	v_cndmask_b32_e64 v9, v13, v17, s1
	s_waitcnt lgkmcnt(0)
	v_cmp_lt_u16_sdwa s1, v15, v12 src0_sel:BYTE_0 src1_sel:BYTE_0
	v_sub_nc_u32_e64 v6, v2, 64 clamp
	v_cmp_ge_i32_e32 vcc_lo, v11, v5
	v_cmp_lt_i32_e64 s0, v9, v4
	v_min_u32_e32 v4, 64, v2
	; wave barrier
	s_or_b32 s1, vcc_lo, s1
	s_and_b32 vcc_lo, s0, s1
	s_mov_b32 s0, exec_lo
	v_cndmask_b32_e32 v5, v12, v15, vcc_lo
	ds_write_b8 v3, v7
	ds_write_b8 v3, v8 offset:1
	ds_write_b8 v3, v10 offset:2
	;; [unrolled: 1-line block ×3, first 2 shown]
	; wave barrier
	v_cmpx_lt_u32_e64 v6, v4
	s_cbranch_execz .LBB124_68
; %bb.65:
	s_mov_b32 s1, 0
	.p2align	6
.LBB124_66:                             ; =>This Inner Loop Header: Depth=1
	v_sub_nc_u32_e32 v5, v4, v6
	v_lshrrev_b32_e32 v5, 1, v5
	v_add_nc_u32_e32 v5, v5, v6
	v_add_nc_u32_e32 v7, v0, v5
	v_xad_u32 v8, v5, -1, v3
	v_add_nc_u32_e32 v9, 1, v5
	ds_read_u8 v7, v7
	ds_read_u8 v8, v8 offset:64
	s_waitcnt lgkmcnt(0)
	v_cmp_lt_u16_e32 vcc_lo, v8, v7
	v_cndmask_b32_e32 v4, v4, v5, vcc_lo
	v_cndmask_b32_e32 v6, v9, v6, vcc_lo
	v_cmp_ge_i32_e32 vcc_lo, v6, v4
	s_or_b32 s1, vcc_lo, s1
	s_andn2_b32 exec_lo, exec_lo, s1
	s_cbranch_execnz .LBB124_66
; %bb.67:
	s_or_b32 exec_lo, exec_lo, s1
.LBB124_68:
	s_or_b32 exec_lo, exec_lo, s0
	v_sub_nc_u32_e32 v4, v2, v6
	v_add_nc_u32_e32 v5, v0, v6
	v_cmp_lt_i32_e32 vcc_lo, 63, v6
	v_add_nc_u32_e32 v8, v0, v4
	v_add_nc_u32_e32 v7, 64, v4
                                        ; implicit-def: $vgpr4
	ds_read_u8 v2, v5
	ds_read_u8 v3, v8 offset:64
	v_cmp_gt_i32_e64 s0, 0x80, v7
	s_waitcnt lgkmcnt(0)
	v_cmp_lt_u16_sdwa s1, v3, v2 src0_sel:BYTE_0 src1_sel:BYTE_0
	s_or_b32 s1, vcc_lo, s1
	s_and_b32 s0, s0, s1
	s_xor_b32 s1, s0, -1
	s_and_saveexec_b32 s2, s1
	s_xor_b32 s1, exec_lo, s2
; %bb.69:
	ds_read_u8 v4, v5 offset:1
                                        ; implicit-def: $vgpr8
; %bb.70:
	s_or_saveexec_b32 s1, s1
	v_mov_b32_e32 v5, v3
	s_xor_b32 exec_lo, exec_lo, s1
	s_cbranch_execz .LBB124_72
; %bb.71:
	ds_read_u8 v5, v8 offset:65
	s_waitcnt lgkmcnt(1)
	v_mov_b32_e32 v4, v2
.LBB124_72:
	s_or_b32 exec_lo, exec_lo, s1
	v_add_nc_u32_e32 v8, 1, v6
	v_add_nc_u32_e32 v10, 1, v7
	s_waitcnt lgkmcnt(0)
	v_cmp_lt_u16_sdwa s2, v5, v4 src0_sel:BYTE_0 src1_sel:BYTE_0
	v_cndmask_b32_e64 v9, v8, v6, s0
	v_cndmask_b32_e64 v8, v7, v10, s0
                                        ; implicit-def: $vgpr7
	v_cmp_lt_i32_e32 vcc_lo, 63, v9
	v_cmp_gt_i32_e64 s1, 0x80, v8
	s_or_b32 s2, vcc_lo, s2
	s_and_b32 vcc_lo, s1, s2
	s_xor_b32 s1, vcc_lo, -1
	s_and_saveexec_b32 s2, s1
	s_xor_b32 s1, exec_lo, s2
; %bb.73:
	v_add_nc_u32_e32 v6, v0, v9
	ds_read_u8 v7, v6 offset:1
; %bb.74:
	s_or_saveexec_b32 s1, s1
	v_mov_b32_e32 v6, v5
	s_xor_b32 exec_lo, exec_lo, s1
	s_cbranch_execz .LBB124_76
; %bb.75:
	v_add_nc_u32_e32 v6, v0, v8
	s_waitcnt lgkmcnt(0)
	v_mov_b32_e32 v7, v4
	ds_read_u8 v6, v6 offset:1
.LBB124_76:
	s_or_b32 exec_lo, exec_lo, s1
	v_add_nc_u32_e32 v10, 1, v9
	v_add_nc_u32_e32 v11, 1, v8
	s_waitcnt lgkmcnt(0)
	v_cmp_ge_u16_sdwa s4, v6, v7 src0_sel:BYTE_0 src1_sel:BYTE_0
                                        ; implicit-def: $vgpr12
	v_cndmask_b32_e32 v10, v10, v9, vcc_lo
	v_cndmask_b32_e32 v8, v8, v11, vcc_lo
                                        ; implicit-def: $vgpr9
	v_cmp_gt_i32_e64 s1, 64, v10
	v_cmp_lt_i32_e64 s2, 0x7f, v8
	s_and_b32 s1, s1, s4
	s_or_b32 s1, s2, s1
	s_and_saveexec_b32 s2, s1
	s_xor_b32 s1, exec_lo, s2
; %bb.77:
	v_add_nc_u32_e32 v0, v0, v10
	v_add_nc_u32_e32 v12, 1, v10
                                        ; implicit-def: $vgpr10
	ds_read_u8 v9, v0 offset:1
                                        ; implicit-def: $vgpr0
; %bb.78:
	s_or_saveexec_b32 s1, s1
	v_mov_b32_e32 v11, v7
	s_xor_b32 exec_lo, exec_lo, s1
	s_cbranch_execz .LBB124_80
; %bb.79:
	v_add_nc_u32_e32 v0, v0, v8
	v_add_nc_u32_e32 v8, 1, v8
	v_mov_b32_e32 v11, v6
	v_mov_b32_e32 v12, v10
	s_waitcnt lgkmcnt(0)
	v_mov_b32_e32 v9, v7
	ds_read_u8 v0, v0 offset:1
	s_waitcnt lgkmcnt(0)
	v_mov_b32_e32 v6, v0
.LBB124_80:
	s_or_b32 exec_lo, exec_lo, s1
	v_cmp_lt_i32_e64 s1, 63, v12
	s_waitcnt lgkmcnt(0)
	v_cmp_lt_u16_sdwa s4, v6, v9 src0_sel:BYTE_0 src1_sel:BYTE_0
	v_cmp_gt_i32_e64 s2, 0x80, v8
	v_cndmask_b32_sdwa v4, v4, v5, vcc_lo dst_sel:BYTE_1 dst_unused:UNUSED_PAD src0_sel:DWORD src1_sel:DWORD
	v_cndmask_b32_e64 v2, v2, v3, s0
	s_or_b32 s1, s1, s4
	s_and_b32 s1, s2, s1
	v_or_b32_sdwa v2, v2, v4 dst_sel:DWORD dst_unused:UNUSED_PAD src0_sel:BYTE_0 src1_sel:DWORD
	v_cndmask_b32_e64 v0, v9, v6, s1
	s_add_u32 s0, s10, s3
	s_addc_u32 s1, s11, 0
	v_lshlrev_b16 v0, 8, v0
	v_or_b32_sdwa v3, v11, v0 dst_sel:WORD_1 dst_unused:UNUSED_PAD src0_sel:BYTE_0 src1_sel:DWORD
	v_add_co_u32 v0, s0, s0, v1
	v_add_co_ci_u32_e64 v1, null, s1, 0, s0
	v_or_b32_sdwa v2, v2, v3 dst_sel:DWORD dst_unused:UNUSED_PAD src0_sel:WORD_0 src1_sel:DWORD
	global_store_dword v[0:1], v2, off
	s_endpgm
	.section	.rodata,"a",@progbits
	.p2align	6, 0x0
	.amdhsa_kernel _Z9sort_keysILj256ELj32ELj4EhN10test_utils4lessEEvPKT2_PS2_T3_
		.amdhsa_group_segment_fixed_size 1032
		.amdhsa_private_segment_fixed_size 0
		.amdhsa_kernarg_size 20
		.amdhsa_user_sgpr_count 6
		.amdhsa_user_sgpr_private_segment_buffer 1
		.amdhsa_user_sgpr_dispatch_ptr 0
		.amdhsa_user_sgpr_queue_ptr 0
		.amdhsa_user_sgpr_kernarg_segment_ptr 1
		.amdhsa_user_sgpr_dispatch_id 0
		.amdhsa_user_sgpr_flat_scratch_init 0
		.amdhsa_user_sgpr_private_segment_size 0
		.amdhsa_wavefront_size32 1
		.amdhsa_uses_dynamic_stack 0
		.amdhsa_system_sgpr_private_segment_wavefront_offset 0
		.amdhsa_system_sgpr_workgroup_id_x 1
		.amdhsa_system_sgpr_workgroup_id_y 0
		.amdhsa_system_sgpr_workgroup_id_z 0
		.amdhsa_system_sgpr_workgroup_info 0
		.amdhsa_system_vgpr_workitem_id 0
		.amdhsa_next_free_vgpr 18
		.amdhsa_next_free_sgpr 12
		.amdhsa_reserve_vcc 1
		.amdhsa_reserve_flat_scratch 0
		.amdhsa_float_round_mode_32 0
		.amdhsa_float_round_mode_16_64 0
		.amdhsa_float_denorm_mode_32 3
		.amdhsa_float_denorm_mode_16_64 3
		.amdhsa_dx10_clamp 1
		.amdhsa_ieee_mode 1
		.amdhsa_fp16_overflow 0
		.amdhsa_workgroup_processor_mode 1
		.amdhsa_memory_ordered 1
		.amdhsa_forward_progress 1
		.amdhsa_shared_vgpr_count 0
		.amdhsa_exception_fp_ieee_invalid_op 0
		.amdhsa_exception_fp_denorm_src 0
		.amdhsa_exception_fp_ieee_div_zero 0
		.amdhsa_exception_fp_ieee_overflow 0
		.amdhsa_exception_fp_ieee_underflow 0
		.amdhsa_exception_fp_ieee_inexact 0
		.amdhsa_exception_int_div_zero 0
	.end_amdhsa_kernel
	.section	.text._Z9sort_keysILj256ELj32ELj4EhN10test_utils4lessEEvPKT2_PS2_T3_,"axG",@progbits,_Z9sort_keysILj256ELj32ELj4EhN10test_utils4lessEEvPKT2_PS2_T3_,comdat
.Lfunc_end124:
	.size	_Z9sort_keysILj256ELj32ELj4EhN10test_utils4lessEEvPKT2_PS2_T3_, .Lfunc_end124-_Z9sort_keysILj256ELj32ELj4EhN10test_utils4lessEEvPKT2_PS2_T3_
                                        ; -- End function
	.set _Z9sort_keysILj256ELj32ELj4EhN10test_utils4lessEEvPKT2_PS2_T3_.num_vgpr, 18
	.set _Z9sort_keysILj256ELj32ELj4EhN10test_utils4lessEEvPKT2_PS2_T3_.num_agpr, 0
	.set _Z9sort_keysILj256ELj32ELj4EhN10test_utils4lessEEvPKT2_PS2_T3_.numbered_sgpr, 12
	.set _Z9sort_keysILj256ELj32ELj4EhN10test_utils4lessEEvPKT2_PS2_T3_.num_named_barrier, 0
	.set _Z9sort_keysILj256ELj32ELj4EhN10test_utils4lessEEvPKT2_PS2_T3_.private_seg_size, 0
	.set _Z9sort_keysILj256ELj32ELj4EhN10test_utils4lessEEvPKT2_PS2_T3_.uses_vcc, 1
	.set _Z9sort_keysILj256ELj32ELj4EhN10test_utils4lessEEvPKT2_PS2_T3_.uses_flat_scratch, 0
	.set _Z9sort_keysILj256ELj32ELj4EhN10test_utils4lessEEvPKT2_PS2_T3_.has_dyn_sized_stack, 0
	.set _Z9sort_keysILj256ELj32ELj4EhN10test_utils4lessEEvPKT2_PS2_T3_.has_recursion, 0
	.set _Z9sort_keysILj256ELj32ELj4EhN10test_utils4lessEEvPKT2_PS2_T3_.has_indirect_call, 0
	.section	.AMDGPU.csdata,"",@progbits
; Kernel info:
; codeLenInByte = 3676
; TotalNumSgprs: 14
; NumVgprs: 18
; ScratchSize: 0
; MemoryBound: 0
; FloatMode: 240
; IeeeMode: 1
; LDSByteSize: 1032 bytes/workgroup (compile time only)
; SGPRBlocks: 0
; VGPRBlocks: 2
; NumSGPRsForWavesPerEU: 14
; NumVGPRsForWavesPerEU: 18
; Occupancy: 16
; WaveLimiterHint : 0
; COMPUTE_PGM_RSRC2:SCRATCH_EN: 0
; COMPUTE_PGM_RSRC2:USER_SGPR: 6
; COMPUTE_PGM_RSRC2:TRAP_HANDLER: 0
; COMPUTE_PGM_RSRC2:TGID_X_EN: 1
; COMPUTE_PGM_RSRC2:TGID_Y_EN: 0
; COMPUTE_PGM_RSRC2:TGID_Z_EN: 0
; COMPUTE_PGM_RSRC2:TIDIG_COMP_CNT: 0
	.section	.text._Z10sort_pairsILj256ELj32ELj4EhN10test_utils4lessEEvPKT2_PS2_T3_,"axG",@progbits,_Z10sort_pairsILj256ELj32ELj4EhN10test_utils4lessEEvPKT2_PS2_T3_,comdat
	.protected	_Z10sort_pairsILj256ELj32ELj4EhN10test_utils4lessEEvPKT2_PS2_T3_ ; -- Begin function _Z10sort_pairsILj256ELj32ELj4EhN10test_utils4lessEEvPKT2_PS2_T3_
	.globl	_Z10sort_pairsILj256ELj32ELj4EhN10test_utils4lessEEvPKT2_PS2_T3_
	.p2align	8
	.type	_Z10sort_pairsILj256ELj32ELj4EhN10test_utils4lessEEvPKT2_PS2_T3_,@function
_Z10sort_pairsILj256ELj32ELj4EhN10test_utils4lessEEvPKT2_PS2_T3_: ; @_Z10sort_pairsILj256ELj32ELj4EhN10test_utils4lessEEvPKT2_PS2_T3_
; %bb.0:
	s_load_dwordx4 s[8:11], s[4:5], 0x0
	s_lshl_b32 s12, s6, 10
	v_lshlrev_b32_e32 v1, 2, v0
	v_mov_b32_e32 v8, 0xffffff00
	v_lshrrev_b32_e32 v0, 5, v0
	v_mov_b32_e32 v12, 0
	s_mov_b32 s6, 0
	s_mov_b32 s7, exec_lo
	s_waitcnt lgkmcnt(0)
	s_add_u32 s0, s8, s12
	s_addc_u32 s1, s9, 0
	global_load_dword v4, v1, s[0:1]
	; wave barrier
	s_waitcnt vmcnt(0)
	v_lshrrev_b32_e32 v5, 8, v4
	v_perm_b32 v2, v4, v4, 0x7060405
	v_cmp_lt_u16_sdwa vcc_lo, v5, v4 src0_sel:BYTE_0 src1_sel:BYTE_0
	v_cndmask_b32_e32 v2, v4, v2, vcc_lo
	v_lshrrev_b32_e32 v3, 16, v2
	v_lshrrev_b32_e32 v7, 24, v2
	v_perm_b32 v6, 0, v3, 0xc0c0001
	v_and_b32_e32 v3, 0xff, v3
	v_lshlrev_b32_e32 v6, 16, v6
	v_cmp_lt_u16_e64 s0, v7, v3
	v_min_u16 v9, v7, v3
	v_and_or_b32 v6, 0xffff, v2, v6
	v_lshlrev_b16 v3, 8, v9
	v_cndmask_b32_e64 v2, v2, v6, s0
	v_and_b32_sdwa v6, v2, v8 dst_sel:DWORD dst_unused:UNUSED_PAD src0_sel:WORD_1 src1_sel:DWORD
	v_lshrrev_b32_e32 v7, 8, v2
	v_or_b32_sdwa v3, v2, v3 dst_sel:DWORD dst_unused:UNUSED_PAD src0_sel:BYTE_0 src1_sel:DWORD
	v_or_b32_sdwa v6, v2, v6 dst_sel:WORD_1 dst_unused:UNUSED_PAD src0_sel:BYTE_1 src1_sel:DWORD
	v_and_b32_e32 v7, 0xff, v7
	v_or_b32_sdwa v3, v3, v6 dst_sel:DWORD dst_unused:UNUSED_PAD src0_sel:WORD_0 src1_sel:DWORD
	v_cmp_lt_u16_e64 s2, v9, v7
	v_cndmask_b32_e64 v2, v2, v3, s2
	v_min_u16 v3, v9, v7
	v_mbcnt_lo_u32_b32 v7, -1, 0
	v_lshlrev_b16 v6, 8, v2
	v_cmp_lt_u16_sdwa s3, v3, v2 src0_sel:DWORD src1_sel:BYTE_0
	v_or_b32_e32 v6, v3, v6
	v_and_b32_e32 v6, 0xffff, v6
	v_and_or_b32 v6, 0xffff0000, v2, v6
	v_cndmask_b32_e64 v2, v2, v6, s3
	v_lshrrev_b32_e32 v3, 16, v2
	v_lshrrev_b32_e32 v9, 24, v2
	v_perm_b32 v6, 0, v3, 0xc0c0001
	v_and_b32_e32 v10, 0xff, v3
	v_lshlrev_b32_e32 v3, 2, v7
	v_lshlrev_b32_e32 v6, 16, v6
	v_cmp_lt_u16_e64 s4, v9, v10
	v_min_u16 v13, v9, v10
	v_and_b32_e32 v9, 0x78, v3
	v_and_b32_e32 v11, 4, v3
	v_and_or_b32 v6, 0xffff, v2, v6
	v_cndmask_b32_e64 v10, v2, v6, s4
	v_lshlrev_b16 v2, 8, v13
	v_or_b32_e32 v6, 4, v9
	v_and_b32_sdwa v7, v10, v8 dst_sel:DWORD dst_unused:UNUSED_PAD src0_sel:WORD_1 src1_sel:DWORD
	v_or_b32_sdwa v2, v10, v2 dst_sel:DWORD dst_unused:UNUSED_PAD src0_sel:BYTE_0 src1_sel:DWORD
	v_lshrrev_b32_e32 v14, 8, v10
	v_sub_nc_u32_e32 v8, v6, v9
	v_or_b32_sdwa v7, v10, v7 dst_sel:WORD_1 dst_unused:UNUSED_PAD src0_sel:BYTE_1 src1_sel:DWORD
	v_cmp_lt_u16_sdwa s1, v13, v14 src0_sel:DWORD src1_sel:BYTE_0
	v_or_b32_sdwa v15, v2, v7 dst_sel:DWORD dst_unused:UNUSED_PAD src0_sel:WORD_0 src1_sel:DWORD
	v_mad_u32_u24 v2, 0x81, v0, v3
	v_min_i32_e32 v7, v11, v8
	v_mul_u32_u24_e32 v0, 0x81, v0
	v_cndmask_b32_e64 v8, v10, v15, s1
	ds_write_b32 v2, v8
	; wave barrier
	v_cmpx_lt_i32_e32 0, v7
	s_cbranch_execz .LBB125_4
; %bb.1:
	v_add_nc_u32_e32 v8, v0, v9
	v_mov_b32_e32 v12, 0
	v_add_nc_u32_e32 v10, v8, v11
	.p2align	6
.LBB125_2:                              ; =>This Inner Loop Header: Depth=1
	v_sub_nc_u32_e32 v13, v7, v12
	v_lshrrev_b32_e32 v13, 1, v13
	v_add_nc_u32_e32 v13, v13, v12
	v_add_nc_u32_e32 v14, v8, v13
	v_xad_u32 v15, v13, -1, v10
	v_add_nc_u32_e32 v16, 1, v13
	ds_read_u8 v14, v14
	ds_read_u8 v15, v15 offset:4
	s_waitcnt lgkmcnt(0)
	v_cmp_lt_u16_e64 s5, v15, v14
	v_cndmask_b32_e64 v7, v7, v13, s5
	v_cndmask_b32_e64 v12, v16, v12, s5
	v_cmp_ge_i32_e64 s5, v12, v7
	s_or_b32 s6, s5, s6
	s_andn2_b32 exec_lo, exec_lo, s6
	s_cbranch_execnz .LBB125_2
; %bb.3:
	s_or_b32 exec_lo, exec_lo, s6
.LBB125_4:
	s_or_b32 exec_lo, exec_lo, s7
	v_mov_b32_e32 v7, 24
	v_add_nc_u32_e32 v10, v12, v9
	v_cmp_lt_i32_e64 s5, 3, v12
	v_lshrrev_b32_e32 v17, 16, v4
	v_lshrrev_b32_sdwa v16, v7, v4 dst_sel:BYTE_1 dst_unused:UNUSED_PAD src0_sel:DWORD src1_sel:DWORD
	v_add_nc_u32_e32 v7, v9, v11
	v_add_nc_u32_e32 v15, v0, v10
	;; [unrolled: 1-line block ×4, first 2 shown]
	v_sub_nc_u32_e32 v7, v7, v12
	v_sub_nc_u32_e32 v14, v11, v12
                                        ; implicit-def: $vgpr11
	v_add_nc_u32_e32 v13, v0, v7
	ds_read_u8 v7, v15
	ds_read_u8 v8, v13 offset:4
	v_cmp_gt_i32_e64 s6, v9, v14
	s_waitcnt lgkmcnt(0)
	v_cmp_lt_u16_sdwa s7, v8, v7 src0_sel:BYTE_0 src1_sel:BYTE_0
	s_or_b32 s5, s5, s7
	s_and_b32 s5, s6, s5
	s_xor_b32 s6, s5, -1
	s_and_saveexec_b32 s7, s6
	s_xor_b32 s6, exec_lo, s7
; %bb.5:
	ds_read_u8 v11, v15 offset:1
                                        ; implicit-def: $vgpr13
; %bb.6:
	s_or_saveexec_b32 s6, s6
	v_mov_b32_e32 v12, v8
	s_xor_b32 exec_lo, exec_lo, s6
	s_cbranch_execz .LBB125_8
; %bb.7:
	ds_read_u8 v12, v13 offset:5
	s_waitcnt lgkmcnt(1)
	v_mov_b32_e32 v11, v7
.LBB125_8:
	s_or_b32 exec_lo, exec_lo, s6
	v_add_nc_u32_e32 v13, 1, v10
	v_add_nc_u32_e32 v15, 1, v14
	s_waitcnt lgkmcnt(0)
	v_cmp_lt_u16_sdwa s8, v12, v11 src0_sel:BYTE_0 src1_sel:BYTE_0
	v_cndmask_b32_e64 v18, v13, v10, s5
	v_cndmask_b32_e64 v19, v14, v15, s5
                                        ; implicit-def: $vgpr13
	v_cmp_ge_i32_e64 s6, v18, v6
	v_cmp_lt_i32_e64 s7, v19, v9
	s_or_b32 s6, s6, s8
	s_and_b32 s6, s7, s6
	s_xor_b32 s7, s6, -1
	s_and_saveexec_b32 s8, s7
	s_xor_b32 s7, exec_lo, s8
; %bb.9:
	v_add_nc_u32_e32 v13, v0, v18
	ds_read_u8 v13, v13 offset:1
; %bb.10:
	s_or_saveexec_b32 s7, s7
	v_mov_b32_e32 v15, v12
	s_xor_b32 exec_lo, exec_lo, s7
	s_cbranch_execz .LBB125_12
; %bb.11:
	s_waitcnt lgkmcnt(0)
	v_add_nc_u32_e32 v13, v0, v19
	ds_read_u8 v15, v13 offset:1
	v_mov_b32_e32 v13, v11
.LBB125_12:
	s_or_b32 exec_lo, exec_lo, s7
	v_add_nc_u32_e32 v20, 1, v18
	v_add_nc_u32_e32 v21, 1, v19
	s_waitcnt lgkmcnt(0)
	v_cmp_lt_u16_sdwa s9, v15, v13 src0_sel:BYTE_0 src1_sel:BYTE_0
	v_cndmask_b32_e64 v23, v20, v18, s6
	v_cndmask_b32_e64 v22, v19, v21, s6
                                        ; implicit-def: $vgpr20
	v_cmp_ge_i32_e64 s7, v23, v6
	v_cmp_lt_i32_e64 s8, v22, v9
	s_or_b32 s7, s7, s9
	s_and_b32 s7, s8, s7
	s_xor_b32 s8, s7, -1
	s_and_saveexec_b32 s9, s8
	s_xor_b32 s8, exec_lo, s9
; %bb.13:
	v_add_nc_u32_e32 v20, v0, v23
	ds_read_u8 v20, v20 offset:1
; %bb.14:
	s_or_saveexec_b32 s8, s8
	v_mov_b32_e32 v21, v15
	s_xor_b32 exec_lo, exec_lo, s8
	s_cbranch_execz .LBB125_16
; %bb.15:
	s_waitcnt lgkmcnt(0)
	v_add_nc_u32_e32 v20, v0, v22
	ds_read_u8 v21, v20 offset:1
	v_mov_b32_e32 v20, v13
.LBB125_16:
	s_or_b32 exec_lo, exec_lo, s8
	v_add_nc_u16 v5, v5, 1
	v_add_nc_u16 v4, v4, 1
	;; [unrolled: 1-line block ×3, first 2 shown]
	v_cndmask_b32_e64 v10, v10, v14, s5
	v_cndmask_b32_e64 v18, v18, v19, s6
	v_lshlrev_b16 v24, 8, v5
	v_lshlrev_b16 v25, 8, v4
	v_or_b32_sdwa v16, v16, v17 dst_sel:DWORD dst_unused:UNUSED_PAD src0_sel:DWORD src1_sel:BYTE_0
	; wave barrier
	v_or_b32_sdwa v4, v4, v24 dst_sel:DWORD dst_unused:UNUSED_PAD src0_sel:BYTE_0 src1_sel:DWORD
	v_or_b32_sdwa v5, v5, v25 dst_sel:DWORD dst_unused:UNUSED_PAD src0_sel:BYTE_0 src1_sel:DWORD
	v_add_nc_u16 v16, 0x100, v16
	v_cndmask_b32_e64 v24, v23, v22, s7
	v_and_b32_e32 v14, 0x70, v3
	v_and_b32_e32 v4, 0xffff, v4
	;; [unrolled: 1-line block ×3, first 2 shown]
	v_lshlrev_b32_e32 v17, 16, v16
	v_perm_b32 v16, 0, v16, 0xc0c0001
	v_cndmask_b32_e64 v15, v13, v15, s7
	v_cndmask_b32_e64 v8, v7, v8, s5
	v_cndmask_b32_e32 v4, v4, v5, vcc_lo
	v_cndmask_b32_e64 v11, v11, v12, s6
	v_lshlrev_b32_e32 v5, 16, v16
	v_add_nc_u32_e32 v16, 1, v23
	v_or_b32_e32 v4, v4, v17
	v_add_nc_u32_e32 v17, 1, v22
	v_cndmask_b32_e64 v16, v16, v23, s7
	v_and_or_b32 v5, 0xffff, v4, v5
	v_cndmask_b32_e64 v17, v22, v17, s7
	v_cmp_ge_i32_e32 vcc_lo, v16, v6
	v_cndmask_b32_e64 v4, v4, v5, s0
	v_cmp_lt_i32_e64 s0, v17, v9
	v_perm_b32 v5, v4, v4, 0x7050604
	v_cndmask_b32_e64 v4, v4, v5, s2
	s_waitcnt lgkmcnt(0)
	v_cmp_lt_u16_sdwa s2, v21, v20 src0_sel:BYTE_0 src1_sel:BYTE_0
	v_perm_b32 v5, 0, v4, 0xc0c0001
	s_or_b32 s2, vcc_lo, s2
	s_and_b32 vcc_lo, s0, s2
	s_mov_b32 s0, exec_lo
	v_and_or_b32 v5, 0xffff0000, v4, v5
	v_cndmask_b32_e32 v6, v16, v17, vcc_lo
	v_add_nc_u32_e32 v16, v0, v24
	v_cndmask_b32_e32 v19, v20, v21, vcc_lo
	v_cndmask_b32_e64 v4, v4, v5, s3
	v_add_nc_u32_e32 v17, v0, v6
	v_lshrrev_b32_e32 v5, 16, v4
	v_perm_b32 v5, 0, v5, 0xc0c0001
	v_lshlrev_b32_e32 v5, 16, v5
	v_and_or_b32 v5, 0xffff, v4, v5
	v_cndmask_b32_e64 v4, v4, v5, s4
	v_perm_b32 v5, v4, v4, 0x7050604
	v_cndmask_b32_e64 v4, v4, v5, s1
	v_add_nc_u32_e32 v5, v0, v10
	v_add_nc_u32_e32 v10, v0, v18
	ds_write_b32 v2, v4
	; wave barrier
	ds_read_u8 v9, v5
	ds_read_u8 v5, v10
	;; [unrolled: 1-line block ×4, first 2 shown]
	v_or_b32_e32 v10, 8, v14
	v_and_b32_e32 v16, 12, v3
	; wave barrier
	ds_write_b8 v2, v8
	ds_write_b8 v2, v11 offset:1
	ds_write_b8 v2, v15 offset:2
	;; [unrolled: 1-line block ×3, first 2 shown]
	v_sub_nc_u32_e32 v17, v10, v14
	v_sub_nc_u32_e64 v13, v16, 8 clamp
	; wave barrier
	v_min_i32_e32 v7, v16, v17
	v_cmpx_lt_i32_e64 v13, v7
	s_cbranch_execz .LBB125_20
; %bb.17:
	v_add_nc_u32_e32 v8, v0, v14
	s_mov_b32 s1, 0
	v_add_nc_u32_e32 v11, v8, v16
	.p2align	6
.LBB125_18:                             ; =>This Inner Loop Header: Depth=1
	v_sub_nc_u32_e32 v12, v7, v13
	v_lshrrev_b32_e32 v12, 1, v12
	v_add_nc_u32_e32 v12, v12, v13
	v_add_nc_u32_e32 v15, v8, v12
	v_xad_u32 v17, v12, -1, v11
	v_add_nc_u32_e32 v18, 1, v12
	ds_read_u8 v15, v15
	ds_read_u8 v17, v17 offset:8
	s_waitcnt lgkmcnt(0)
	v_cmp_lt_u16_e32 vcc_lo, v17, v15
	v_cndmask_b32_e32 v7, v7, v12, vcc_lo
	v_cndmask_b32_e32 v13, v18, v13, vcc_lo
	v_cmp_ge_i32_e32 vcc_lo, v13, v7
	s_or_b32 s1, vcc_lo, s1
	s_andn2_b32 exec_lo, exec_lo, s1
	s_cbranch_execnz .LBB125_18
; %bb.19:
	s_or_b32 exec_lo, exec_lo, s1
.LBB125_20:
	s_or_b32 exec_lo, exec_lo, s0
	v_add_nc_u32_e32 v7, v14, v16
	v_add_nc_u32_e32 v8, v13, v14
	;; [unrolled: 1-line block ×3, first 2 shown]
	v_cmp_lt_i32_e32 vcc_lo, 7, v13
	v_sub_nc_u32_e32 v7, v7, v13
	v_add_nc_u32_e32 v18, v0, v8
	v_sub_nc_u32_e32 v15, v15, v13
                                        ; implicit-def: $vgpr13
	v_add_nc_u32_e32 v17, v0, v7
	v_add_nc_u32_e32 v7, 16, v14
	ds_read_u8 v11, v18
	ds_read_u8 v12, v17 offset:8
	v_cmp_gt_i32_e64 s0, v7, v15
	s_waitcnt lgkmcnt(0)
	v_cmp_lt_u16_sdwa s1, v12, v11 src0_sel:BYTE_0 src1_sel:BYTE_0
	s_or_b32 s1, vcc_lo, s1
	s_and_b32 vcc_lo, s0, s1
	s_xor_b32 s0, vcc_lo, -1
	s_and_saveexec_b32 s1, s0
	s_xor_b32 s0, exec_lo, s1
; %bb.21:
	ds_read_u8 v13, v18 offset:1
                                        ; implicit-def: $vgpr17
; %bb.22:
	s_or_saveexec_b32 s0, s0
	v_mov_b32_e32 v14, v12
	s_xor_b32 exec_lo, exec_lo, s0
	s_cbranch_execz .LBB125_24
; %bb.23:
	ds_read_u8 v14, v17 offset:9
	s_waitcnt lgkmcnt(1)
	v_mov_b32_e32 v13, v11
.LBB125_24:
	s_or_b32 exec_lo, exec_lo, s0
	v_add_nc_u32_e32 v16, 1, v8
	v_add_nc_u32_e32 v17, 1, v15
	s_waitcnt lgkmcnt(0)
	v_cmp_lt_u16_sdwa s2, v14, v13 src0_sel:BYTE_0 src1_sel:BYTE_0
	v_cndmask_b32_e32 v18, v16, v8, vcc_lo
	v_cndmask_b32_e32 v19, v15, v17, vcc_lo
                                        ; implicit-def: $vgpr16
	v_cmp_ge_i32_e64 s0, v18, v10
	v_cmp_lt_i32_e64 s1, v19, v7
	s_or_b32 s0, s0, s2
	s_and_b32 s0, s1, s0
	s_xor_b32 s1, s0, -1
	s_and_saveexec_b32 s2, s1
	s_xor_b32 s1, exec_lo, s2
; %bb.25:
	v_add_nc_u32_e32 v16, v0, v18
	ds_read_u8 v16, v16 offset:1
; %bb.26:
	s_or_saveexec_b32 s1, s1
	v_mov_b32_e32 v17, v14
	s_xor_b32 exec_lo, exec_lo, s1
	s_cbranch_execz .LBB125_28
; %bb.27:
	s_waitcnt lgkmcnt(0)
	v_add_nc_u32_e32 v16, v0, v19
	ds_read_u8 v17, v16 offset:1
	v_mov_b32_e32 v16, v13
.LBB125_28:
	s_or_b32 exec_lo, exec_lo, s1
	v_add_nc_u32_e32 v20, 1, v18
	v_add_nc_u32_e32 v21, 1, v19
	s_waitcnt lgkmcnt(0)
	v_cmp_lt_u16_sdwa s3, v17, v16 src0_sel:BYTE_0 src1_sel:BYTE_0
	v_cndmask_b32_e64 v22, v20, v18, s0
	v_cndmask_b32_e64 v21, v19, v21, s0
                                        ; implicit-def: $vgpr20
	v_cmp_ge_i32_e64 s1, v22, v10
	v_cmp_lt_i32_e64 s2, v21, v7
	s_or_b32 s1, s1, s3
	s_and_b32 s1, s2, s1
	s_xor_b32 s2, s1, -1
	s_and_saveexec_b32 s3, s2
	s_xor_b32 s2, exec_lo, s3
; %bb.29:
	v_add_nc_u32_e32 v20, v0, v22
	ds_read_u8 v20, v20 offset:1
; %bb.30:
	s_or_saveexec_b32 s2, s2
	v_mov_b32_e32 v23, v17
	s_xor_b32 exec_lo, exec_lo, s2
	s_cbranch_execz .LBB125_32
; %bb.31:
	s_waitcnt lgkmcnt(0)
	v_add_nc_u32_e32 v20, v0, v21
	ds_read_u8 v23, v20 offset:1
	v_mov_b32_e32 v20, v16
.LBB125_32:
	s_or_b32 exec_lo, exec_lo, s2
	v_add_nc_u32_e32 v24, 1, v22
	v_add_nc_u32_e32 v25, 1, v21
	v_cndmask_b32_e32 v8, v8, v15, vcc_lo
	v_cndmask_b32_e64 v18, v18, v19, s0
	s_waitcnt lgkmcnt(0)
	v_cmp_lt_u16_sdwa s4, v23, v20 src0_sel:BYTE_0 src1_sel:BYTE_0
	v_cndmask_b32_e64 v15, v24, v22, s1
	v_cndmask_b32_e64 v19, v21, v25, s1
	;; [unrolled: 1-line block ×3, first 2 shown]
	; wave barrier
	v_cmp_ge_i32_e64 s2, v15, v10
	v_cmp_lt_i32_e64 s3, v19, v7
	ds_write_b8 v2, v9
	ds_write_b8 v2, v5 offset:1
	ds_write_b8 v2, v6 offset:2
	;; [unrolled: 1-line block ×3, first 2 shown]
	s_or_b32 s2, s2, s4
	v_add_nc_u32_e32 v5, v0, v8
	s_and_b32 s2, s3, s2
	v_add_nc_u32_e32 v6, v0, v18
	v_cndmask_b32_e64 v4, v15, v19, s2
	v_add_nc_u32_e32 v8, v0, v26
	; wave barrier
	v_and_b32_e32 v15, 0x60, v3
	v_add_nc_u32_e32 v4, v0, v4
	v_and_b32_e32 v18, 28, v3
	ds_read_u8 v7, v5
	ds_read_u8 v5, v6
	;; [unrolled: 1-line block ×4, first 2 shown]
	v_cndmask_b32_e32 v12, v11, v12, vcc_lo
	v_or_b32_e32 v8, 16, v15
	v_cndmask_b32_e64 v13, v13, v14, s0
	v_sub_nc_u32_e64 v11, v18, 16 clamp
	v_cndmask_b32_e64 v16, v16, v17, s1
	v_cndmask_b32_e64 v10, v20, v23, s2
	v_sub_nc_u32_e32 v9, v8, v15
	s_mov_b32 s0, exec_lo
	; wave barrier
	ds_write_b8 v2, v12
	ds_write_b8 v2, v13 offset:1
	ds_write_b8 v2, v16 offset:2
	;; [unrolled: 1-line block ×3, first 2 shown]
	v_min_i32_e32 v9, v18, v9
	; wave barrier
	v_cmpx_lt_i32_e64 v11, v9
	s_cbranch_execz .LBB125_36
; %bb.33:
	v_add_nc_u32_e32 v10, v0, v15
	s_mov_b32 s1, 0
	v_add_nc_u32_e32 v12, v10, v18
	.p2align	6
.LBB125_34:                             ; =>This Inner Loop Header: Depth=1
	v_sub_nc_u32_e32 v13, v9, v11
	v_lshrrev_b32_e32 v13, 1, v13
	v_add_nc_u32_e32 v13, v13, v11
	v_add_nc_u32_e32 v14, v10, v13
	v_xad_u32 v16, v13, -1, v12
	v_add_nc_u32_e32 v17, 1, v13
	ds_read_u8 v14, v14
	ds_read_u8 v16, v16 offset:16
	s_waitcnt lgkmcnt(0)
	v_cmp_lt_u16_e32 vcc_lo, v16, v14
	v_cndmask_b32_e32 v9, v9, v13, vcc_lo
	v_cndmask_b32_e32 v11, v17, v11, vcc_lo
	v_cmp_ge_i32_e32 vcc_lo, v11, v9
	s_or_b32 s1, vcc_lo, s1
	s_andn2_b32 exec_lo, exec_lo, s1
	s_cbranch_execnz .LBB125_34
; %bb.35:
	s_or_b32 exec_lo, exec_lo, s1
.LBB125_36:
	s_or_b32 exec_lo, exec_lo, s0
	v_add_nc_u32_e32 v9, v15, v18
	v_add_nc_u32_e32 v14, v11, v15
	;; [unrolled: 1-line block ×4, first 2 shown]
	v_cmp_lt_i32_e32 vcc_lo, 15, v11
	v_sub_nc_u32_e32 v9, v9, v11
	v_add_nc_u32_e32 v12, v0, v14
	v_sub_nc_u32_e32 v15, v17, v11
                                        ; implicit-def: $vgpr11
	v_add_nc_u32_e32 v16, v0, v9
	ds_read_u8 v9, v12
	ds_read_u8 v10, v16 offset:16
	v_cmp_gt_i32_e64 s0, v13, v15
	s_waitcnt lgkmcnt(0)
	v_cmp_lt_u16_sdwa s1, v10, v9 src0_sel:BYTE_0 src1_sel:BYTE_0
	s_or_b32 s1, vcc_lo, s1
	s_and_b32 vcc_lo, s0, s1
	s_xor_b32 s0, vcc_lo, -1
	s_and_saveexec_b32 s1, s0
	s_xor_b32 s0, exec_lo, s1
; %bb.37:
	ds_read_u8 v11, v12 offset:1
                                        ; implicit-def: $vgpr16
; %bb.38:
	s_or_saveexec_b32 s0, s0
	v_mov_b32_e32 v12, v10
	s_xor_b32 exec_lo, exec_lo, s0
	s_cbranch_execz .LBB125_40
; %bb.39:
	ds_read_u8 v12, v16 offset:17
	s_waitcnt lgkmcnt(1)
	v_mov_b32_e32 v11, v9
.LBB125_40:
	s_or_b32 exec_lo, exec_lo, s0
	v_add_nc_u32_e32 v16, 1, v14
	v_add_nc_u32_e32 v17, 1, v15
	s_waitcnt lgkmcnt(0)
	v_cmp_lt_u16_sdwa s2, v12, v11 src0_sel:BYTE_0 src1_sel:BYTE_0
	v_cndmask_b32_e32 v18, v16, v14, vcc_lo
	v_cndmask_b32_e32 v19, v15, v17, vcc_lo
                                        ; implicit-def: $vgpr16
	v_cmp_ge_i32_e64 s0, v18, v8
	v_cmp_lt_i32_e64 s1, v19, v13
	s_or_b32 s0, s0, s2
	s_and_b32 s0, s1, s0
	s_xor_b32 s1, s0, -1
	s_and_saveexec_b32 s2, s1
	s_xor_b32 s1, exec_lo, s2
; %bb.41:
	v_add_nc_u32_e32 v16, v0, v18
	ds_read_u8 v16, v16 offset:1
; %bb.42:
	s_or_saveexec_b32 s1, s1
	v_mov_b32_e32 v17, v12
	s_xor_b32 exec_lo, exec_lo, s1
	s_cbranch_execz .LBB125_44
; %bb.43:
	s_waitcnt lgkmcnt(0)
	v_add_nc_u32_e32 v16, v0, v19
	ds_read_u8 v17, v16 offset:1
	v_mov_b32_e32 v16, v11
.LBB125_44:
	s_or_b32 exec_lo, exec_lo, s1
	v_add_nc_u32_e32 v20, 1, v18
	v_add_nc_u32_e32 v21, 1, v19
	s_waitcnt lgkmcnt(0)
	v_cmp_lt_u16_sdwa s3, v17, v16 src0_sel:BYTE_0 src1_sel:BYTE_0
	v_cndmask_b32_e64 v22, v20, v18, s0
	v_cndmask_b32_e64 v21, v19, v21, s0
                                        ; implicit-def: $vgpr20
	v_cmp_ge_i32_e64 s1, v22, v8
	v_cmp_lt_i32_e64 s2, v21, v13
	s_or_b32 s1, s1, s3
	s_and_b32 s1, s2, s1
	s_xor_b32 s2, s1, -1
	s_and_saveexec_b32 s3, s2
	s_xor_b32 s2, exec_lo, s3
; %bb.45:
	v_add_nc_u32_e32 v20, v0, v22
	ds_read_u8 v20, v20 offset:1
; %bb.46:
	s_or_saveexec_b32 s2, s2
	v_mov_b32_e32 v23, v17
	s_xor_b32 exec_lo, exec_lo, s2
	s_cbranch_execz .LBB125_48
; %bb.47:
	s_waitcnt lgkmcnt(0)
	v_add_nc_u32_e32 v20, v0, v21
	ds_read_u8 v23, v20 offset:1
	v_mov_b32_e32 v20, v16
.LBB125_48:
	s_or_b32 exec_lo, exec_lo, s2
	v_add_nc_u32_e32 v24, 1, v22
	v_add_nc_u32_e32 v25, 1, v21
	v_cndmask_b32_e32 v14, v14, v15, vcc_lo
	v_cndmask_b32_e64 v18, v18, v19, s0
	s_waitcnt lgkmcnt(0)
	v_cmp_lt_u16_sdwa s4, v23, v20 src0_sel:BYTE_0 src1_sel:BYTE_0
	v_cndmask_b32_e64 v15, v24, v22, s1
	v_cndmask_b32_e64 v19, v21, v25, s1
	;; [unrolled: 1-line block ×3, first 2 shown]
	; wave barrier
	v_cmp_ge_i32_e64 s2, v15, v8
	v_cmp_lt_i32_e64 s3, v19, v13
	ds_write_b8 v2, v7
	ds_write_b8 v2, v5 offset:1
	ds_write_b8 v2, v6 offset:2
	;; [unrolled: 1-line block ×3, first 2 shown]
	s_or_b32 s2, s2, s4
	v_add_nc_u32_e32 v5, v0, v14
	s_and_b32 s2, s3, s2
	v_add_nc_u32_e32 v7, v0, v18
	v_cndmask_b32_e64 v4, v15, v19, s2
	v_add_nc_u32_e32 v8, v0, v26
	; wave barrier
	v_and_b32_e32 v13, 64, v3
	v_add_nc_u32_e32 v4, v0, v4
	v_and_b32_e32 v15, 60, v3
	ds_read_u8 v6, v5
	ds_read_u8 v7, v7
	;; [unrolled: 1-line block ×4, first 2 shown]
	v_cndmask_b32_e64 v12, v11, v12, s0
	v_or_b32_e32 v8, 32, v13
	v_cndmask_b32_e32 v10, v9, v10, vcc_lo
	v_sub_nc_u32_e64 v11, v15, 32 clamp
	v_cndmask_b32_e64 v16, v16, v17, s1
	v_cndmask_b32_e64 v20, v20, v23, s2
	v_sub_nc_u32_e32 v14, v8, v13
	s_mov_b32 s0, exec_lo
	; wave barrier
	ds_write_b8 v2, v10
	ds_write_b8 v2, v12 offset:1
	ds_write_b8 v2, v16 offset:2
	;; [unrolled: 1-line block ×3, first 2 shown]
	v_min_i32_e32 v9, v15, v14
	; wave barrier
	v_cmpx_lt_i32_e64 v11, v9
	s_cbranch_execz .LBB125_52
; %bb.49:
	v_add_nc_u32_e32 v10, v0, v13
	s_mov_b32 s1, 0
	v_add_nc_u32_e32 v12, v10, v15
	.p2align	6
.LBB125_50:                             ; =>This Inner Loop Header: Depth=1
	v_sub_nc_u32_e32 v14, v9, v11
	v_lshrrev_b32_e32 v14, 1, v14
	v_add_nc_u32_e32 v14, v14, v11
	v_add_nc_u32_e32 v16, v10, v14
	v_xad_u32 v17, v14, -1, v12
	v_add_nc_u32_e32 v18, 1, v14
	ds_read_u8 v16, v16
	ds_read_u8 v17, v17 offset:32
	s_waitcnt lgkmcnt(0)
	v_cmp_lt_u16_e32 vcc_lo, v17, v16
	v_cndmask_b32_e32 v9, v9, v14, vcc_lo
	v_cndmask_b32_e32 v11, v18, v11, vcc_lo
	v_cmp_ge_i32_e32 vcc_lo, v11, v9
	s_or_b32 s1, vcc_lo, s1
	s_andn2_b32 exec_lo, exec_lo, s1
	s_cbranch_execnz .LBB125_50
; %bb.51:
	s_or_b32 exec_lo, exec_lo, s1
.LBB125_52:
	s_or_b32 exec_lo, exec_lo, s0
	v_add_nc_u32_e32 v9, v13, v15
	v_add_nc_u32_e32 v14, v11, v13
	;; [unrolled: 1-line block ×4, first 2 shown]
	v_cmp_lt_i32_e32 vcc_lo, 31, v11
	v_sub_nc_u32_e32 v9, v9, v11
	v_add_nc_u32_e32 v17, v0, v14
	v_sub_nc_u32_e32 v15, v15, v11
                                        ; implicit-def: $vgpr11
	v_add_nc_u32_e32 v16, v0, v9
	ds_read_u8 v9, v17
	ds_read_u8 v10, v16 offset:32
	v_cmp_gt_i32_e64 s0, v12, v15
	s_waitcnt lgkmcnt(0)
	v_cmp_lt_u16_sdwa s1, v10, v9 src0_sel:BYTE_0 src1_sel:BYTE_0
	s_or_b32 s1, vcc_lo, s1
	s_and_b32 vcc_lo, s0, s1
	s_xor_b32 s0, vcc_lo, -1
	s_and_saveexec_b32 s1, s0
	s_xor_b32 s0, exec_lo, s1
; %bb.53:
	ds_read_u8 v11, v17 offset:1
                                        ; implicit-def: $vgpr16
; %bb.54:
	s_or_saveexec_b32 s0, s0
	v_mov_b32_e32 v13, v10
	s_xor_b32 exec_lo, exec_lo, s0
	s_cbranch_execz .LBB125_56
; %bb.55:
	ds_read_u8 v13, v16 offset:33
	s_waitcnt lgkmcnt(1)
	v_mov_b32_e32 v11, v9
.LBB125_56:
	s_or_b32 exec_lo, exec_lo, s0
	v_add_nc_u32_e32 v16, 1, v14
	v_add_nc_u32_e32 v17, 1, v15
	s_waitcnt lgkmcnt(0)
	v_cmp_lt_u16_sdwa s2, v13, v11 src0_sel:BYTE_0 src1_sel:BYTE_0
	v_cndmask_b32_e32 v18, v16, v14, vcc_lo
	v_cndmask_b32_e32 v19, v15, v17, vcc_lo
                                        ; implicit-def: $vgpr16
	v_cmp_ge_i32_e64 s0, v18, v8
	v_cmp_lt_i32_e64 s1, v19, v12
	s_or_b32 s0, s0, s2
	s_and_b32 s0, s1, s0
	s_xor_b32 s1, s0, -1
	s_and_saveexec_b32 s2, s1
	s_xor_b32 s1, exec_lo, s2
; %bb.57:
	v_add_nc_u32_e32 v16, v0, v18
	ds_read_u8 v16, v16 offset:1
; %bb.58:
	s_or_saveexec_b32 s1, s1
	v_mov_b32_e32 v17, v13
	s_xor_b32 exec_lo, exec_lo, s1
	s_cbranch_execz .LBB125_60
; %bb.59:
	s_waitcnt lgkmcnt(0)
	v_add_nc_u32_e32 v16, v0, v19
	ds_read_u8 v17, v16 offset:1
	v_mov_b32_e32 v16, v11
.LBB125_60:
	s_or_b32 exec_lo, exec_lo, s1
	v_add_nc_u32_e32 v20, 1, v18
	v_add_nc_u32_e32 v21, 1, v19
	s_waitcnt lgkmcnt(0)
	v_cmp_lt_u16_sdwa s3, v17, v16 src0_sel:BYTE_0 src1_sel:BYTE_0
	v_cndmask_b32_e64 v22, v20, v18, s0
	v_cndmask_b32_e64 v21, v19, v21, s0
                                        ; implicit-def: $vgpr20
	v_cmp_ge_i32_e64 s1, v22, v8
	v_cmp_lt_i32_e64 s2, v21, v12
	s_or_b32 s1, s1, s3
	s_and_b32 s1, s2, s1
	s_xor_b32 s2, s1, -1
	s_and_saveexec_b32 s3, s2
	s_xor_b32 s2, exec_lo, s3
; %bb.61:
	v_add_nc_u32_e32 v20, v0, v22
	ds_read_u8 v20, v20 offset:1
; %bb.62:
	s_or_saveexec_b32 s2, s2
	v_mov_b32_e32 v23, v17
	s_xor_b32 exec_lo, exec_lo, s2
	s_cbranch_execz .LBB125_64
; %bb.63:
	s_waitcnt lgkmcnt(0)
	v_add_nc_u32_e32 v20, v0, v21
	ds_read_u8 v23, v20 offset:1
	v_mov_b32_e32 v20, v16
.LBB125_64:
	s_or_b32 exec_lo, exec_lo, s2
	v_add_nc_u32_e32 v24, 1, v22
	v_add_nc_u32_e32 v25, 1, v21
	v_cndmask_b32_e32 v14, v14, v15, vcc_lo
	v_cndmask_b32_e64 v18, v18, v19, s0
	s_waitcnt lgkmcnt(0)
	v_cmp_lt_u16_sdwa s4, v23, v20 src0_sel:BYTE_0 src1_sel:BYTE_0
	v_cndmask_b32_e64 v15, v24, v22, s1
	v_cndmask_b32_e64 v19, v21, v25, s1
	;; [unrolled: 1-line block ×3, first 2 shown]
	v_add_nc_u32_e32 v21, v0, v3
	v_cmp_ge_i32_e64 s2, v15, v8
	v_cmp_lt_i32_e64 s3, v19, v12
	; wave barrier
	ds_write_b8 v21, v6
	ds_write_b8 v21, v7 offset:1
	ds_write_b8 v21, v5 offset:2
	s_or_b32 s2, s2, s4
	ds_write_b8 v21, v4 offset:3
	s_and_b32 s2, s3, s2
	v_add_nc_u32_e32 v4, v0, v14
	v_cndmask_b32_e64 v5, v15, v19, s2
	v_add_nc_u32_e32 v6, v0, v18
	v_add_nc_u32_e32 v7, v0, v26
	; wave barrier
	v_add_nc_u32_e32 v8, v0, v5
	v_cndmask_b32_e32 v10, v9, v10, vcc_lo
	ds_read_u8 v4, v4
	ds_read_u8 v5, v6
	;; [unrolled: 1-line block ×4, first 2 shown]
	v_sub_nc_u32_e64 v8, v3, 64 clamp
	v_min_u32_e32 v9, 64, v3
	v_cndmask_b32_e64 v11, v11, v13, s0
	v_cndmask_b32_e64 v14, v16, v17, s1
	;; [unrolled: 1-line block ×3, first 2 shown]
	s_mov_b32 s0, exec_lo
	; wave barrier
	ds_write_b8 v21, v10
	ds_write_b8 v21, v11 offset:1
	ds_write_b8 v21, v14 offset:2
	;; [unrolled: 1-line block ×3, first 2 shown]
	; wave barrier
	v_cmpx_lt_u32_e64 v8, v9
	s_cbranch_execz .LBB125_68
; %bb.65:
	s_mov_b32 s1, 0
	.p2align	6
.LBB125_66:                             ; =>This Inner Loop Header: Depth=1
	v_sub_nc_u32_e32 v10, v9, v8
	v_lshrrev_b32_e32 v10, 1, v10
	v_add_nc_u32_e32 v10, v10, v8
	v_add_nc_u32_e32 v11, v0, v10
	v_xad_u32 v12, v10, -1, v2
	v_add_nc_u32_e32 v13, 1, v10
	ds_read_u8 v11, v11
	ds_read_u8 v12, v12 offset:64
	s_waitcnt lgkmcnt(0)
	v_cmp_lt_u16_e32 vcc_lo, v12, v11
	v_cndmask_b32_e32 v9, v9, v10, vcc_lo
	v_cndmask_b32_e32 v8, v13, v8, vcc_lo
	v_cmp_ge_i32_e32 vcc_lo, v8, v9
	s_or_b32 s1, vcc_lo, s1
	s_andn2_b32 exec_lo, exec_lo, s1
	s_cbranch_execnz .LBB125_66
; %bb.67:
	s_or_b32 exec_lo, exec_lo, s1
.LBB125_68:
	s_or_b32 exec_lo, exec_lo, s0
	v_sub_nc_u32_e32 v10, v3, v8
	v_add_nc_u32_e32 v11, v0, v8
	v_cmp_lt_i32_e32 vcc_lo, 63, v8
	v_add_nc_u32_e32 v13, v0, v10
	v_add_nc_u32_e32 v12, 64, v10
                                        ; implicit-def: $vgpr10
	ds_read_u8 v3, v11
	ds_read_u8 v9, v13 offset:64
	v_cmp_gt_i32_e64 s0, 0x80, v12
	s_waitcnt lgkmcnt(0)
	v_cmp_lt_u16_sdwa s1, v9, v3 src0_sel:BYTE_0 src1_sel:BYTE_0
	s_or_b32 s1, vcc_lo, s1
	s_and_b32 vcc_lo, s0, s1
	s_xor_b32 s0, vcc_lo, -1
	s_and_saveexec_b32 s1, s0
	s_xor_b32 s0, exec_lo, s1
; %bb.69:
	ds_read_u8 v10, v11 offset:1
                                        ; implicit-def: $vgpr13
; %bb.70:
	s_or_saveexec_b32 s0, s0
	v_mov_b32_e32 v11, v9
	s_xor_b32 exec_lo, exec_lo, s0
	s_cbranch_execz .LBB125_72
; %bb.71:
	ds_read_u8 v11, v13 offset:65
	s_waitcnt lgkmcnt(1)
	v_mov_b32_e32 v10, v3
.LBB125_72:
	s_or_b32 exec_lo, exec_lo, s0
	v_add_nc_u32_e32 v13, 1, v8
	v_add_nc_u32_e32 v14, 1, v12
	s_waitcnt lgkmcnt(0)
	v_cmp_lt_u16_sdwa s2, v11, v10 src0_sel:BYTE_0 src1_sel:BYTE_0
                                        ; implicit-def: $vgpr16
	v_cndmask_b32_e32 v13, v13, v8, vcc_lo
	v_cndmask_b32_e32 v14, v12, v14, vcc_lo
	v_cmp_lt_i32_e64 s0, 63, v13
	v_cmp_gt_i32_e64 s1, 0x80, v14
	s_or_b32 s0, s0, s2
	s_and_b32 s0, s1, s0
	s_xor_b32 s1, s0, -1
	s_and_saveexec_b32 s2, s1
	s_xor_b32 s1, exec_lo, s2
; %bb.73:
	v_add_nc_u32_e32 v15, v0, v13
	ds_read_u8 v16, v15 offset:1
; %bb.74:
	s_or_saveexec_b32 s1, s1
	v_mov_b32_e32 v15, v11
	s_xor_b32 exec_lo, exec_lo, s1
	s_cbranch_execz .LBB125_76
; %bb.75:
	v_add_nc_u32_e32 v15, v0, v14
	s_waitcnt lgkmcnt(0)
	v_mov_b32_e32 v16, v10
	ds_read_u8 v15, v15 offset:1
.LBB125_76:
	s_or_b32 exec_lo, exec_lo, s1
	v_add_nc_u32_e32 v17, 1, v13
	v_add_nc_u32_e32 v18, 1, v14
	s_waitcnt lgkmcnt(0)
	v_cmp_ge_u16_sdwa s3, v15, v16 src0_sel:BYTE_0 src1_sel:BYTE_0
                                        ; implicit-def: $vgpr21
                                        ; implicit-def: $vgpr20
	v_cndmask_b32_e64 v22, v17, v13, s0
	v_cndmask_b32_e64 v18, v14, v18, s0
	v_cmp_gt_i32_e64 s1, 64, v22
	v_cmp_lt_i32_e64 s2, 0x7f, v18
	s_and_b32 s1, s1, s3
	s_or_b32 s1, s2, s1
	s_and_saveexec_b32 s2, s1
	s_xor_b32 s1, exec_lo, s2
; %bb.77:
	v_add_nc_u32_e32 v17, v0, v22
	v_add_nc_u32_e32 v20, 1, v22
	ds_read_u8 v21, v17 offset:1
; %bb.78:
	s_or_saveexec_b32 s1, s1
	v_mov_b32_e32 v17, v16
	v_mov_b32_e32 v19, v22
	s_xor_b32 exec_lo, exec_lo, s1
	s_cbranch_execz .LBB125_80
; %bb.79:
	v_add_nc_u32_e32 v17, v0, v18
	s_waitcnt lgkmcnt(0)
	v_add_nc_u32_e32 v21, 1, v18
	v_mov_b32_e32 v19, v18
	v_mov_b32_e32 v20, v22
	ds_read_u8 v23, v17 offset:1
	v_mov_b32_e32 v17, v15
	v_mov_b32_e32 v18, v21
	;; [unrolled: 1-line block ×3, first 2 shown]
	s_waitcnt lgkmcnt(0)
	v_mov_b32_e32 v15, v23
.LBB125_80:
	s_or_b32 exec_lo, exec_lo, s1
	v_cmp_lt_i32_e64 s1, 63, v20
	s_waitcnt lgkmcnt(0)
	v_cmp_lt_u16_sdwa s3, v15, v21 src0_sel:BYTE_0 src1_sel:BYTE_0
	v_cmp_gt_i32_e64 s2, 0x80, v18
	v_cndmask_b32_e64 v13, v13, v14, s0
	v_cndmask_b32_e32 v8, v8, v12, vcc_lo
	s_or_b32 s1, s1, s3
	; wave barrier
	s_and_b32 s1, s2, s1
	ds_write_b8 v2, v4
	ds_write_b8 v2, v5 offset:1
	ds_write_b8 v2, v6 offset:2
	;; [unrolled: 1-line block ×3, first 2 shown]
	v_cndmask_b32_e64 v14, v20, v18, s1
	v_add_nc_u32_e32 v2, v0, v13
	v_add_nc_u32_e32 v5, v0, v8
	; wave barrier
	v_add_nc_u32_e32 v4, v0, v14
	v_add_nc_u32_e32 v0, v0, v19
	v_cndmask_b32_e64 v12, v21, v15, s1
	ds_read_u8 v2, v2
	ds_read_u8 v4, v4
	;; [unrolled: 1-line block ×4, first 2 shown]
	v_cndmask_b32_e64 v6, v10, v11, s0
	v_cndmask_b32_e32 v3, v3, v9, vcc_lo
	s_add_u32 s0, s10, s12
	s_addc_u32 s1, s11, 0
	s_waitcnt lgkmcnt(3)
	v_add_nc_u16 v2, v2, v6
	s_waitcnt lgkmcnt(2)
	v_add_nc_u16 v4, v4, v12
	;; [unrolled: 2-line block ×4, first 2 shown]
	v_lshlrev_b16 v2, 8, v2
	v_lshlrev_b16 v4, 8, v4
	v_or_b32_sdwa v2, v3, v2 dst_sel:DWORD dst_unused:UNUSED_PAD src0_sel:BYTE_0 src1_sel:DWORD
	v_or_b32_sdwa v3, v0, v4 dst_sel:WORD_1 dst_unused:UNUSED_PAD src0_sel:BYTE_0 src1_sel:DWORD
	v_add_co_u32 v0, s0, s0, v1
	v_add_co_ci_u32_e64 v1, null, s1, 0, s0
	v_or_b32_sdwa v2, v2, v3 dst_sel:DWORD dst_unused:UNUSED_PAD src0_sel:WORD_0 src1_sel:DWORD
	global_store_dword v[0:1], v2, off
	s_endpgm
	.section	.rodata,"a",@progbits
	.p2align	6, 0x0
	.amdhsa_kernel _Z10sort_pairsILj256ELj32ELj4EhN10test_utils4lessEEvPKT2_PS2_T3_
		.amdhsa_group_segment_fixed_size 1032
		.amdhsa_private_segment_fixed_size 0
		.amdhsa_kernarg_size 20
		.amdhsa_user_sgpr_count 6
		.amdhsa_user_sgpr_private_segment_buffer 1
		.amdhsa_user_sgpr_dispatch_ptr 0
		.amdhsa_user_sgpr_queue_ptr 0
		.amdhsa_user_sgpr_kernarg_segment_ptr 1
		.amdhsa_user_sgpr_dispatch_id 0
		.amdhsa_user_sgpr_flat_scratch_init 0
		.amdhsa_user_sgpr_private_segment_size 0
		.amdhsa_wavefront_size32 1
		.amdhsa_uses_dynamic_stack 0
		.amdhsa_system_sgpr_private_segment_wavefront_offset 0
		.amdhsa_system_sgpr_workgroup_id_x 1
		.amdhsa_system_sgpr_workgroup_id_y 0
		.amdhsa_system_sgpr_workgroup_id_z 0
		.amdhsa_system_sgpr_workgroup_info 0
		.amdhsa_system_vgpr_workitem_id 0
		.amdhsa_next_free_vgpr 27
		.amdhsa_next_free_sgpr 13
		.amdhsa_reserve_vcc 1
		.amdhsa_reserve_flat_scratch 0
		.amdhsa_float_round_mode_32 0
		.amdhsa_float_round_mode_16_64 0
		.amdhsa_float_denorm_mode_32 3
		.amdhsa_float_denorm_mode_16_64 3
		.amdhsa_dx10_clamp 1
		.amdhsa_ieee_mode 1
		.amdhsa_fp16_overflow 0
		.amdhsa_workgroup_processor_mode 1
		.amdhsa_memory_ordered 1
		.amdhsa_forward_progress 1
		.amdhsa_shared_vgpr_count 0
		.amdhsa_exception_fp_ieee_invalid_op 0
		.amdhsa_exception_fp_denorm_src 0
		.amdhsa_exception_fp_ieee_div_zero 0
		.amdhsa_exception_fp_ieee_overflow 0
		.amdhsa_exception_fp_ieee_underflow 0
		.amdhsa_exception_fp_ieee_inexact 0
		.amdhsa_exception_int_div_zero 0
	.end_amdhsa_kernel
	.section	.text._Z10sort_pairsILj256ELj32ELj4EhN10test_utils4lessEEvPKT2_PS2_T3_,"axG",@progbits,_Z10sort_pairsILj256ELj32ELj4EhN10test_utils4lessEEvPKT2_PS2_T3_,comdat
.Lfunc_end125:
	.size	_Z10sort_pairsILj256ELj32ELj4EhN10test_utils4lessEEvPKT2_PS2_T3_, .Lfunc_end125-_Z10sort_pairsILj256ELj32ELj4EhN10test_utils4lessEEvPKT2_PS2_T3_
                                        ; -- End function
	.set _Z10sort_pairsILj256ELj32ELj4EhN10test_utils4lessEEvPKT2_PS2_T3_.num_vgpr, 27
	.set _Z10sort_pairsILj256ELj32ELj4EhN10test_utils4lessEEvPKT2_PS2_T3_.num_agpr, 0
	.set _Z10sort_pairsILj256ELj32ELj4EhN10test_utils4lessEEvPKT2_PS2_T3_.numbered_sgpr, 13
	.set _Z10sort_pairsILj256ELj32ELj4EhN10test_utils4lessEEvPKT2_PS2_T3_.num_named_barrier, 0
	.set _Z10sort_pairsILj256ELj32ELj4EhN10test_utils4lessEEvPKT2_PS2_T3_.private_seg_size, 0
	.set _Z10sort_pairsILj256ELj32ELj4EhN10test_utils4lessEEvPKT2_PS2_T3_.uses_vcc, 1
	.set _Z10sort_pairsILj256ELj32ELj4EhN10test_utils4lessEEvPKT2_PS2_T3_.uses_flat_scratch, 0
	.set _Z10sort_pairsILj256ELj32ELj4EhN10test_utils4lessEEvPKT2_PS2_T3_.has_dyn_sized_stack, 0
	.set _Z10sort_pairsILj256ELj32ELj4EhN10test_utils4lessEEvPKT2_PS2_T3_.has_recursion, 0
	.set _Z10sort_pairsILj256ELj32ELj4EhN10test_utils4lessEEvPKT2_PS2_T3_.has_indirect_call, 0
	.section	.AMDGPU.csdata,"",@progbits
; Kernel info:
; codeLenInByte = 4612
; TotalNumSgprs: 15
; NumVgprs: 27
; ScratchSize: 0
; MemoryBound: 0
; FloatMode: 240
; IeeeMode: 1
; LDSByteSize: 1032 bytes/workgroup (compile time only)
; SGPRBlocks: 0
; VGPRBlocks: 3
; NumSGPRsForWavesPerEU: 15
; NumVGPRsForWavesPerEU: 27
; Occupancy: 16
; WaveLimiterHint : 0
; COMPUTE_PGM_RSRC2:SCRATCH_EN: 0
; COMPUTE_PGM_RSRC2:USER_SGPR: 6
; COMPUTE_PGM_RSRC2:TRAP_HANDLER: 0
; COMPUTE_PGM_RSRC2:TGID_X_EN: 1
; COMPUTE_PGM_RSRC2:TGID_Y_EN: 0
; COMPUTE_PGM_RSRC2:TGID_Z_EN: 0
; COMPUTE_PGM_RSRC2:TIDIG_COMP_CNT: 0
	.section	.text._Z19sort_keys_segmentedILj256ELj32ELj4EhN10test_utils4lessEEvPKT2_PS2_PKjT3_,"axG",@progbits,_Z19sort_keys_segmentedILj256ELj32ELj4EhN10test_utils4lessEEvPKT2_PS2_PKjT3_,comdat
	.protected	_Z19sort_keys_segmentedILj256ELj32ELj4EhN10test_utils4lessEEvPKT2_PS2_PKjT3_ ; -- Begin function _Z19sort_keys_segmentedILj256ELj32ELj4EhN10test_utils4lessEEvPKT2_PS2_PKjT3_
	.globl	_Z19sort_keys_segmentedILj256ELj32ELj4EhN10test_utils4lessEEvPKT2_PS2_PKjT3_
	.p2align	8
	.type	_Z19sort_keys_segmentedILj256ELj32ELj4EhN10test_utils4lessEEvPKT2_PS2_PKjT3_,@function
_Z19sort_keys_segmentedILj256ELj32ELj4EhN10test_utils4lessEEvPKT2_PS2_PKjT3_: ; @_Z19sort_keys_segmentedILj256ELj32ELj4EhN10test_utils4lessEEvPKT2_PS2_PKjT3_
; %bb.0:
	s_clause 0x1
	s_load_dwordx2 s[0:1], s[4:5], 0x10
	s_load_dwordx4 s[8:11], s[4:5], 0x0
	v_lshrrev_b32_e32 v6, 5, v0
	v_mov_b32_e32 v1, 0
	v_mov_b32_e32 v7, 0
	;; [unrolled: 1-line block ×3, first 2 shown]
	v_lshl_or_b32 v0, s6, 3, v6
	v_lshlrev_b64 v[2:3], 2, v[0:1]
	v_lshlrev_b32_e32 v0, 7, v0
	s_waitcnt lgkmcnt(0)
	v_add_co_u32 v2, vcc_lo, s0, v2
	v_add_co_ci_u32_e64 v3, null, s1, v3, vcc_lo
	global_load_dword v5, v[2:3], off
	v_mbcnt_lo_u32_b32 v2, -1, 0
	v_lshlrev_b32_e32 v4, 2, v2
	v_add_co_u32 v2, s0, s8, v0
	v_add_co_ci_u32_e64 v3, null, s9, 0, s0
	v_add_co_u32 v2, vcc_lo, v2, v4
	v_add_co_ci_u32_e64 v3, null, 0, v3, vcc_lo
	s_waitcnt vmcnt(0)
	v_cmp_lt_u32_e32 vcc_lo, v4, v5
	s_and_saveexec_b32 s0, vcc_lo
	s_cbranch_execz .LBB126_2
; %bb.1:
	global_load_ubyte v7, v[2:3], off
	v_mov_b32_e32 v8, 0
.LBB126_2:
	s_or_b32 exec_lo, exec_lo, s0
	v_or_b32_e32 v9, 1, v4
	v_mov_b32_e32 v10, v1
	v_cmp_lt_u32_e64 s0, v9, v5
	s_and_saveexec_b32 s1, s0
	s_cbranch_execz .LBB126_4
; %bb.3:
	global_load_ubyte v10, v[2:3], off offset:1
.LBB126_4:
	s_or_b32 exec_lo, exec_lo, s1
	v_or_b32_e32 v11, 2, v4
	v_cmp_lt_u32_e64 s1, v11, v5
	s_and_saveexec_b32 s2, s1
	s_cbranch_execz .LBB126_6
; %bb.5:
	global_load_ubyte v1, v[2:3], off offset:2
.LBB126_6:
	s_or_b32 exec_lo, exec_lo, s2
	v_or_b32_e32 v12, 3, v4
	v_cmp_lt_u32_e64 s2, v12, v5
	s_and_saveexec_b32 s3, s2
	s_cbranch_execz .LBB126_8
; %bb.7:
	global_load_ubyte v8, v[2:3], off offset:3
.LBB126_8:
	s_or_b32 exec_lo, exec_lo, s3
	s_waitcnt vmcnt(0)
	v_perm_b32 v1, v1, v8, 0xc0c0004
	v_perm_b32 v2, v7, v10, 0xc0c0004
	v_or_b32_e32 v3, 0xffffff00, v7
	v_cmp_lt_i32_e64 s3, v9, v5
	v_cmp_lt_i32_e64 s4, v12, v5
	v_lshlrev_b32_e32 v1, 16, v1
	s_mov_b32 s5, exec_lo
	v_or_b32_e32 v2, v2, v1
	v_or_b32_sdwa v1, v3, v1 dst_sel:DWORD dst_unused:UNUSED_PAD src0_sel:WORD_0 src1_sel:DWORD
	v_mov_b32_e32 v3, 0xff
	v_cndmask_b32_e64 v1, v1, v2, s3
	v_cmp_lt_i32_e64 s3, v11, v5
	v_or_b32_sdwa v3, v1, v3 dst_sel:WORD_1 dst_unused:UNUSED_PAD src0_sel:WORD_1 src1_sel:DWORD
	v_and_or_b32 v1, 0xffff, v1, v3
	v_cndmask_b32_e64 v3, v1, v2, s3
	v_cmpx_ge_i32_e64 v12, v5
; %bb.9:
	v_mov_b32_e32 v1, 0xffffff00
	v_cmp_lt_i32_e64 s3, v4, v5
	s_andn2_b32 s4, s4, exec_lo
	v_or_b32_sdwa v1, v3, v1 dst_sel:WORD_1 dst_unused:UNUSED_PAD src0_sel:WORD_1 src1_sel:DWORD
	s_and_b32 s3, s3, exec_lo
	s_or_b32 s4, s4, s3
	v_and_or_b32 v3, 0xffff, v3, v1
; %bb.10:
	s_or_b32 exec_lo, exec_lo, s5
	s_and_saveexec_b32 s5, s4
	s_cbranch_execz .LBB126_14
; %bb.11:
	v_lshrrev_b32_e32 v1, 8, v3
	v_and_b32_e32 v2, 0xff, v3
	v_and_b32_e32 v7, 0xff, v1
	v_perm_b32 v1, v3, v3, 0x7060405
	v_cmp_lt_u16_e64 s3, v7, v2
	v_cndmask_b32_e64 v3, v3, v1, s3
	v_lshrrev_b32_e32 v1, 16, v3
	v_lshrrev_b32_e32 v9, 24, v3
	v_perm_b32 v8, 0, v1, 0xc0c0001
	v_and_b32_e32 v10, 0xff, v1
	v_mov_b32_e32 v1, 0xffffff00
	v_lshlrev_b32_e32 v8, 16, v8
	v_cmp_lt_u16_e64 s3, v9, v10
	v_min_u16 v11, v9, v10
	v_and_or_b32 v8, 0xffff, v3, v8
	v_cndmask_b32_e64 v3, v3, v8, s3
	v_min_u16 v8, v7, v2
	v_max_u16 v2, v7, v2
	v_lshlrev_b16 v7, 8, v11
	v_and_b32_sdwa v12, v3, v1 dst_sel:DWORD dst_unused:UNUSED_PAD src0_sel:WORD_1 src1_sel:DWORD
	v_lshlrev_b16 v13, 8, v8
	v_min_u16 v14, v11, v2
	v_or_b32_sdwa v7, v3, v7 dst_sel:DWORD dst_unused:UNUSED_PAD src0_sel:BYTE_0 src1_sel:DWORD
	v_cmp_lt_u16_e64 s3, v11, v2
	v_or_b32_sdwa v12, v2, v12 dst_sel:WORD_1 dst_unused:UNUSED_PAD src0_sel:DWORD src1_sel:DWORD
	v_or_b32_e32 v13, v14, v13
	v_or_b32_sdwa v7, v7, v12 dst_sel:DWORD dst_unused:UNUSED_PAD src0_sel:WORD_0 src1_sel:DWORD
	v_max_u16 v12, v11, v2
	v_and_b32_e32 v13, 0xffff, v13
	v_cndmask_b32_e64 v3, v3, v7, s3
	v_max_u16 v7, v9, v10
	v_lshlrev_b16 v9, 8, v12
	v_cmp_lt_u16_e64 s3, v11, v8
	v_and_or_b32 v10, 0xffff0000, v3, v13
	v_cmp_gt_u16_e64 s4, v2, v7
	v_or_b32_sdwa v9, v7, v9 dst_sel:WORD_1 dst_unused:UNUSED_PAD src0_sel:DWORD src1_sel:DWORD
	v_cndmask_b32_e64 v2, v14, v8, s3
	v_cndmask_b32_e64 v3, v3, v10, s3
	;; [unrolled: 1-line block ×3, first 2 shown]
	v_and_or_b32 v9, 0xffff, v3, v9
	v_cndmask_b32_e64 v3, v3, v9, s4
	s_mov_b32 s4, exec_lo
	v_cmpx_lt_u16_e64 v7, v2
; %bb.12:
	v_and_b32_sdwa v1, v3, v1 dst_sel:DWORD dst_unused:UNUSED_PAD src0_sel:WORD_1 src1_sel:DWORD
	v_or_b32_sdwa v1, v2, v1 dst_sel:WORD_1 dst_unused:UNUSED_PAD src0_sel:DWORD src1_sel:DWORD
	v_perm_b32 v2, v3, v7, 0xc0c0004
	v_or_b32_e32 v3, v2, v1
; %bb.13:
	s_or_b32 exec_lo, exec_lo, s4
.LBB126_14:
	s_or_b32 exec_lo, exec_lo, s5
	v_and_b32_e32 v1, 0x78, v4
	v_and_b32_e32 v9, 4, v4
	v_mad_u32_u24 v12, 0x81, v6, v4
	s_mov_b32 s5, 0
	s_mov_b32 s4, exec_lo
	v_min_i32_e32 v7, v5, v1
	v_min_i32_e32 v9, v5, v9
	; wave barrier
	ds_write_b32 v12, v3
	v_add_nc_u32_e32 v1, 4, v7
	; wave barrier
	v_min_i32_e32 v8, v5, v1
	v_add_nc_u32_e32 v1, 4, v8
	v_sub_nc_u32_e32 v11, v8, v7
	v_min_i32_e32 v2, v5, v1
	v_min_i32_e32 v11, v9, v11
	v_sub_nc_u32_e32 v1, v2, v8
	v_sub_nc_u32_e32 v10, v9, v1
	v_cmp_ge_i32_e64 s3, v9, v1
	v_mul_u32_u24_e32 v1, 0x81, v6
	v_cndmask_b32_e64 v10, 0, v10, s3
	v_cmpx_lt_i32_e64 v10, v11
	s_cbranch_execz .LBB126_18
; %bb.15:
	v_add_nc_u32_e32 v3, v1, v7
	v_add3_u32 v6, v1, v8, v9
	.p2align	6
.LBB126_16:                             ; =>This Inner Loop Header: Depth=1
	v_sub_nc_u32_e32 v12, v11, v10
	v_lshrrev_b32_e32 v12, 1, v12
	v_add_nc_u32_e32 v12, v12, v10
	v_add_nc_u32_e32 v13, v3, v12
	v_xad_u32 v14, v12, -1, v6
	v_add_nc_u32_e32 v15, 1, v12
	ds_read_u8 v13, v13
	ds_read_u8 v14, v14
	s_waitcnt lgkmcnt(0)
	v_cmp_lt_u16_e64 s3, v14, v13
	v_cndmask_b32_e64 v11, v11, v12, s3
	v_cndmask_b32_e64 v10, v15, v10, s3
	v_cmp_ge_i32_e64 s3, v10, v11
	s_or_b32 s5, s3, s5
	s_andn2_b32 exec_lo, exec_lo, s5
	s_cbranch_execnz .LBB126_16
; %bb.17:
	s_or_b32 exec_lo, exec_lo, s5
.LBB126_18:
	s_or_b32 exec_lo, exec_lo, s4
	v_add_nc_u32_e32 v6, v8, v9
	v_add_nc_u32_e32 v3, v10, v7
                                        ; implicit-def: $vgpr9
	v_sub_nc_u32_e32 v11, v6, v10
	v_add_nc_u32_e32 v10, v1, v3
	v_cmp_le_i32_e64 s3, v8, v3
	v_add_nc_u32_e32 v12, v1, v11
	v_cmp_gt_i32_e64 s4, v2, v11
	ds_read_u8 v6, v10
	ds_read_u8 v7, v12
	s_waitcnt lgkmcnt(0)
	v_cmp_lt_u16_sdwa s5, v7, v6 src0_sel:BYTE_0 src1_sel:BYTE_0
	s_or_b32 s3, s3, s5
	s_and_b32 s3, s4, s3
	s_xor_b32 s4, s3, -1
	s_and_saveexec_b32 s5, s4
	s_xor_b32 s4, exec_lo, s5
; %bb.19:
	ds_read_u8 v9, v10 offset:1
                                        ; implicit-def: $vgpr12
; %bb.20:
	s_or_saveexec_b32 s4, s4
	v_mov_b32_e32 v10, v7
	s_xor_b32 exec_lo, exec_lo, s4
	s_cbranch_execz .LBB126_22
; %bb.21:
	ds_read_u8 v10, v12 offset:1
	s_waitcnt lgkmcnt(1)
	v_mov_b32_e32 v9, v6
.LBB126_22:
	s_or_b32 exec_lo, exec_lo, s4
	v_add_nc_u32_e32 v12, 1, v3
	v_add_nc_u32_e32 v13, 1, v11
	s_waitcnt lgkmcnt(0)
	v_cmp_lt_u16_sdwa s6, v10, v9 src0_sel:BYTE_0 src1_sel:BYTE_0
	v_cndmask_b32_e64 v12, v12, v3, s3
	v_cndmask_b32_e64 v3, v11, v13, s3
                                        ; implicit-def: $vgpr11
	v_cmp_ge_i32_e64 s4, v12, v8
	v_cmp_lt_i32_e64 s5, v3, v2
	s_or_b32 s4, s4, s6
	s_and_b32 s4, s5, s4
	s_xor_b32 s5, s4, -1
	s_and_saveexec_b32 s6, s5
	s_xor_b32 s5, exec_lo, s6
; %bb.23:
	v_add_nc_u32_e32 v11, v1, v12
	ds_read_u8 v11, v11 offset:1
; %bb.24:
	s_or_saveexec_b32 s5, s5
	v_mov_b32_e32 v13, v10
	s_xor_b32 exec_lo, exec_lo, s5
	s_cbranch_execz .LBB126_26
; %bb.25:
	s_waitcnt lgkmcnt(0)
	v_add_nc_u32_e32 v11, v1, v3
	ds_read_u8 v13, v11 offset:1
	v_mov_b32_e32 v11, v9
.LBB126_26:
	s_or_b32 exec_lo, exec_lo, s5
	v_add_nc_u32_e32 v14, 1, v12
	v_add_nc_u32_e32 v15, 1, v3
	s_waitcnt lgkmcnt(0)
	v_cmp_lt_u16_sdwa s7, v13, v11 src0_sel:BYTE_0 src1_sel:BYTE_0
	v_cndmask_b32_e64 v16, v14, v12, s4
	v_cndmask_b32_e64 v14, v3, v15, s4
                                        ; implicit-def: $vgpr15
	v_cmp_ge_i32_e64 s5, v16, v8
	v_cmp_lt_i32_e64 s6, v14, v2
	s_or_b32 s5, s5, s7
	s_and_b32 s5, s6, s5
	s_xor_b32 s6, s5, -1
	s_and_saveexec_b32 s7, s6
	s_xor_b32 s6, exec_lo, s7
; %bb.27:
	v_add_nc_u32_e32 v3, v1, v16
	ds_read_u8 v15, v3 offset:1
; %bb.28:
	s_or_saveexec_b32 s6, s6
	v_mov_b32_e32 v17, v13
	s_xor_b32 exec_lo, exec_lo, s6
	s_cbranch_execz .LBB126_30
; %bb.29:
	v_add_nc_u32_e32 v3, v1, v14
	s_waitcnt lgkmcnt(0)
	v_mov_b32_e32 v15, v11
	ds_read_u8 v17, v3 offset:1
.LBB126_30:
	s_or_b32 exec_lo, exec_lo, s6
	v_and_b32_e32 v3, 0x70, v4
	v_add_nc_u32_e32 v18, 1, v16
	v_cndmask_b32_e64 v11, v11, v13, s5
	v_add_nc_u32_e32 v13, 1, v14
	v_cndmask_b32_e64 v10, v9, v10, s4
	v_min_i32_e32 v12, v5, v3
	v_cndmask_b32_e64 v9, v18, v16, s5
	v_cndmask_b32_e64 v20, v6, v7, s3
	;; [unrolled: 1-line block ×3, first 2 shown]
	v_and_b32_e32 v6, 12, v4
	v_add_nc_u32_e32 v3, 8, v12
	s_waitcnt lgkmcnt(0)
	v_cmp_lt_u16_sdwa s6, v17, v15 src0_sel:BYTE_0 src1_sel:BYTE_0
	v_cmp_ge_i32_e64 s3, v9, v8
	v_cmp_lt_i32_e64 s4, v13, v2
	v_min_i32_e32 v6, v5, v6
	v_min_i32_e32 v3, v5, v3
	v_add_nc_u32_e32 v2, v1, v4
	s_or_b32 s3, s3, s6
	s_mov_b32 s5, 0
	s_and_b32 s3, s4, s3
	v_add_nc_u32_e32 v19, 8, v3
	v_sub_nc_u32_e32 v13, v3, v12
	v_cndmask_b32_e64 v14, v15, v17, s3
	s_mov_b32 s4, exec_lo
	v_min_i32_e32 v7, v5, v19
	; wave barrier
	ds_write_b8 v2, v20
	ds_write_b8 v2, v10 offset:1
	ds_write_b8 v2, v11 offset:2
	;; [unrolled: 1-line block ×3, first 2 shown]
	; wave barrier
	v_sub_nc_u32_e32 v8, v7, v3
	v_sub_nc_u32_e32 v9, v6, v8
	v_cmp_ge_i32_e64 s3, v6, v8
	v_cndmask_b32_e64 v8, 0, v9, s3
	v_min_i32_e32 v9, v6, v13
	v_cmpx_lt_i32_e64 v8, v9
	s_cbranch_execz .LBB126_34
; %bb.31:
	v_add_nc_u32_e32 v10, v1, v12
	v_add3_u32 v11, v1, v3, v6
	.p2align	6
.LBB126_32:                             ; =>This Inner Loop Header: Depth=1
	v_sub_nc_u32_e32 v13, v9, v8
	v_lshrrev_b32_e32 v13, 1, v13
	v_add_nc_u32_e32 v13, v13, v8
	v_add_nc_u32_e32 v14, v10, v13
	v_xad_u32 v15, v13, -1, v11
	v_add_nc_u32_e32 v16, 1, v13
	ds_read_u8 v14, v14
	ds_read_u8 v15, v15
	s_waitcnt lgkmcnt(0)
	v_cmp_lt_u16_e64 s3, v15, v14
	v_cndmask_b32_e64 v9, v9, v13, s3
	v_cndmask_b32_e64 v8, v16, v8, s3
	v_cmp_ge_i32_e64 s3, v8, v9
	s_or_b32 s5, s3, s5
	s_andn2_b32 exec_lo, exec_lo, s5
	s_cbranch_execnz .LBB126_32
; %bb.33:
	s_or_b32 exec_lo, exec_lo, s5
.LBB126_34:
	s_or_b32 exec_lo, exec_lo, s4
	v_add_nc_u32_e32 v9, v3, v6
	v_add_nc_u32_e32 v6, v8, v12
	v_sub_nc_u32_e32 v12, v9, v8
	v_add_nc_u32_e32 v11, v1, v6
	v_cmp_le_i32_e64 s3, v3, v6
                                        ; implicit-def: $vgpr8
	v_add_nc_u32_e32 v13, v1, v12
	v_cmp_gt_i32_e64 s4, v7, v12
	ds_read_u8 v9, v11
	ds_read_u8 v10, v13
	s_waitcnt lgkmcnt(0)
	v_cmp_lt_u16_sdwa s5, v10, v9 src0_sel:BYTE_0 src1_sel:BYTE_0
	s_or_b32 s3, s3, s5
	s_and_b32 s3, s4, s3
	s_xor_b32 s4, s3, -1
	s_and_saveexec_b32 s5, s4
	s_xor_b32 s4, exec_lo, s5
; %bb.35:
	ds_read_u8 v8, v11 offset:1
                                        ; implicit-def: $vgpr13
; %bb.36:
	s_or_saveexec_b32 s4, s4
	v_mov_b32_e32 v11, v10
	s_xor_b32 exec_lo, exec_lo, s4
	s_cbranch_execz .LBB126_38
; %bb.37:
	ds_read_u8 v11, v13 offset:1
	s_waitcnt lgkmcnt(1)
	v_mov_b32_e32 v8, v9
.LBB126_38:
	s_or_b32 exec_lo, exec_lo, s4
	v_add_nc_u32_e32 v13, 1, v6
	v_add_nc_u32_e32 v14, 1, v12
	s_waitcnt lgkmcnt(0)
	v_cmp_lt_u16_sdwa s6, v11, v8 src0_sel:BYTE_0 src1_sel:BYTE_0
	v_cndmask_b32_e64 v13, v13, v6, s3
	v_cndmask_b32_e64 v6, v12, v14, s3
                                        ; implicit-def: $vgpr12
	v_cmp_ge_i32_e64 s4, v13, v3
	v_cmp_lt_i32_e64 s5, v6, v7
	s_or_b32 s4, s4, s6
	s_and_b32 s4, s5, s4
	s_xor_b32 s5, s4, -1
	s_and_saveexec_b32 s6, s5
	s_xor_b32 s5, exec_lo, s6
; %bb.39:
	v_add_nc_u32_e32 v12, v1, v13
	ds_read_u8 v12, v12 offset:1
; %bb.40:
	s_or_saveexec_b32 s5, s5
	v_mov_b32_e32 v14, v11
	s_xor_b32 exec_lo, exec_lo, s5
	s_cbranch_execz .LBB126_42
; %bb.41:
	s_waitcnt lgkmcnt(0)
	v_add_nc_u32_e32 v12, v1, v6
	ds_read_u8 v14, v12 offset:1
	v_mov_b32_e32 v12, v8
.LBB126_42:
	s_or_b32 exec_lo, exec_lo, s5
	v_add_nc_u32_e32 v15, 1, v13
	v_add_nc_u32_e32 v16, 1, v6
	s_waitcnt lgkmcnt(0)
	v_cmp_lt_u16_sdwa s7, v14, v12 src0_sel:BYTE_0 src1_sel:BYTE_0
	v_cndmask_b32_e64 v17, v15, v13, s4
	v_cndmask_b32_e64 v15, v6, v16, s4
                                        ; implicit-def: $vgpr16
	v_cmp_ge_i32_e64 s5, v17, v3
	v_cmp_lt_i32_e64 s6, v15, v7
	s_or_b32 s5, s5, s7
	s_and_b32 s5, s6, s5
	s_xor_b32 s6, s5, -1
	s_and_saveexec_b32 s7, s6
	s_xor_b32 s6, exec_lo, s7
; %bb.43:
	v_add_nc_u32_e32 v6, v1, v17
	ds_read_u8 v16, v6 offset:1
; %bb.44:
	s_or_saveexec_b32 s6, s6
	v_mov_b32_e32 v18, v14
	s_xor_b32 exec_lo, exec_lo, s6
	s_cbranch_execz .LBB126_46
; %bb.45:
	v_add_nc_u32_e32 v6, v1, v15
	s_waitcnt lgkmcnt(0)
	v_mov_b32_e32 v16, v12
	ds_read_u8 v18, v6 offset:1
.LBB126_46:
	s_or_b32 exec_lo, exec_lo, s6
	v_and_b32_e32 v6, 0x60, v4
	v_cndmask_b32_e64 v12, v12, v14, s5
	v_add_nc_u32_e32 v14, 1, v17
	v_add_nc_u32_e32 v20, 1, v15
	v_cndmask_b32_e64 v21, v8, v11, s4
	v_min_i32_e32 v13, v5, v6
	v_and_b32_e32 v11, 28, v4
	v_cndmask_b32_e64 v14, v14, v17, s5
	v_cndmask_b32_e64 v15, v15, v20, s5
	s_waitcnt lgkmcnt(0)
	v_cmp_lt_u16_sdwa s6, v18, v16 src0_sel:BYTE_0 src1_sel:BYTE_0
	v_add_nc_u32_e32 v6, 16, v13
	v_cndmask_b32_e64 v9, v9, v10, s3
	v_cmp_ge_i32_e64 s4, v14, v3
	v_cmp_lt_i32_e64 s3, v15, v7
	v_min_i32_e32 v11, v5, v11
	v_min_i32_e32 v6, v5, v6
	s_mov_b32 s5, 0
	s_or_b32 s4, s4, s6
	s_and_b32 s3, s3, s4
	v_add_nc_u32_e32 v19, 16, v6
	v_sub_nc_u32_e32 v10, v6, v13
	v_cndmask_b32_e64 v14, v16, v18, s3
	s_mov_b32 s4, exec_lo
	; wave barrier
	v_min_i32_e32 v8, v5, v19
	ds_write_b8 v2, v9
	ds_write_b8 v2, v21 offset:1
	ds_write_b8 v2, v12 offset:2
	;; [unrolled: 1-line block ×3, first 2 shown]
	; wave barrier
	v_sub_nc_u32_e32 v3, v8, v6
	v_sub_nc_u32_e32 v7, v11, v3
	v_cmp_ge_i32_e64 s3, v11, v3
	v_cndmask_b32_e64 v3, 0, v7, s3
	v_min_i32_e32 v7, v11, v10
	v_cmpx_lt_i32_e64 v3, v7
	s_cbranch_execz .LBB126_50
; %bb.47:
	v_add_nc_u32_e32 v9, v1, v13
	v_add3_u32 v10, v1, v6, v11
	.p2align	6
.LBB126_48:                             ; =>This Inner Loop Header: Depth=1
	v_sub_nc_u32_e32 v12, v7, v3
	v_lshrrev_b32_e32 v12, 1, v12
	v_add_nc_u32_e32 v12, v12, v3
	v_add_nc_u32_e32 v14, v9, v12
	v_xad_u32 v15, v12, -1, v10
	v_add_nc_u32_e32 v16, 1, v12
	ds_read_u8 v14, v14
	ds_read_u8 v15, v15
	s_waitcnt lgkmcnt(0)
	v_cmp_lt_u16_e64 s3, v15, v14
	v_cndmask_b32_e64 v7, v7, v12, s3
	v_cndmask_b32_e64 v3, v16, v3, s3
	v_cmp_ge_i32_e64 s3, v3, v7
	s_or_b32 s5, s3, s5
	s_andn2_b32 exec_lo, exec_lo, s5
	s_cbranch_execnz .LBB126_48
; %bb.49:
	s_or_b32 exec_lo, exec_lo, s5
.LBB126_50:
	s_or_b32 exec_lo, exec_lo, s4
	v_add_nc_u32_e32 v9, v6, v11
	v_add_nc_u32_e32 v7, v3, v13
	v_sub_nc_u32_e32 v12, v9, v3
	v_add_nc_u32_e32 v11, v1, v7
	v_cmp_le_i32_e64 s3, v6, v7
                                        ; implicit-def: $vgpr9
	v_add_nc_u32_e32 v13, v1, v12
	v_cmp_gt_i32_e64 s4, v8, v12
	ds_read_u8 v3, v11
	ds_read_u8 v10, v13
	s_waitcnt lgkmcnt(0)
	v_cmp_lt_u16_sdwa s5, v10, v3 src0_sel:BYTE_0 src1_sel:BYTE_0
	s_or_b32 s3, s3, s5
	s_and_b32 s3, s4, s3
	s_xor_b32 s4, s3, -1
	s_and_saveexec_b32 s5, s4
	s_xor_b32 s4, exec_lo, s5
; %bb.51:
	ds_read_u8 v9, v11 offset:1
                                        ; implicit-def: $vgpr13
; %bb.52:
	s_or_saveexec_b32 s4, s4
	v_mov_b32_e32 v11, v10
	s_xor_b32 exec_lo, exec_lo, s4
	s_cbranch_execz .LBB126_54
; %bb.53:
	ds_read_u8 v11, v13 offset:1
	s_waitcnt lgkmcnt(1)
	v_mov_b32_e32 v9, v3
.LBB126_54:
	s_or_b32 exec_lo, exec_lo, s4
	v_add_nc_u32_e32 v13, 1, v7
	v_add_nc_u32_e32 v14, 1, v12
	s_waitcnt lgkmcnt(0)
	v_cmp_lt_u16_sdwa s6, v11, v9 src0_sel:BYTE_0 src1_sel:BYTE_0
	v_cndmask_b32_e64 v13, v13, v7, s3
	v_cndmask_b32_e64 v7, v12, v14, s3
                                        ; implicit-def: $vgpr12
	v_cmp_ge_i32_e64 s4, v13, v6
	v_cmp_lt_i32_e64 s5, v7, v8
	s_or_b32 s4, s4, s6
	s_and_b32 s4, s5, s4
	s_xor_b32 s5, s4, -1
	s_and_saveexec_b32 s6, s5
	s_xor_b32 s5, exec_lo, s6
; %bb.55:
	v_add_nc_u32_e32 v12, v1, v13
	ds_read_u8 v12, v12 offset:1
; %bb.56:
	s_or_saveexec_b32 s5, s5
	v_mov_b32_e32 v14, v11
	s_xor_b32 exec_lo, exec_lo, s5
	s_cbranch_execz .LBB126_58
; %bb.57:
	s_waitcnt lgkmcnt(0)
	v_add_nc_u32_e32 v12, v1, v7
	ds_read_u8 v14, v12 offset:1
	v_mov_b32_e32 v12, v9
.LBB126_58:
	s_or_b32 exec_lo, exec_lo, s5
	v_add_nc_u32_e32 v15, 1, v13
	v_add_nc_u32_e32 v16, 1, v7
	s_waitcnt lgkmcnt(0)
	v_cmp_lt_u16_sdwa s7, v14, v12 src0_sel:BYTE_0 src1_sel:BYTE_0
	v_cndmask_b32_e64 v17, v15, v13, s4
	v_cndmask_b32_e64 v15, v7, v16, s4
                                        ; implicit-def: $vgpr16
	v_cmp_ge_i32_e64 s5, v17, v6
	v_cmp_lt_i32_e64 s6, v15, v8
	s_or_b32 s5, s5, s7
	s_and_b32 s5, s6, s5
	s_xor_b32 s6, s5, -1
	s_and_saveexec_b32 s7, s6
	s_xor_b32 s6, exec_lo, s7
; %bb.59:
	v_add_nc_u32_e32 v7, v1, v17
	ds_read_u8 v16, v7 offset:1
; %bb.60:
	s_or_saveexec_b32 s6, s6
	v_mov_b32_e32 v18, v14
	s_xor_b32 exec_lo, exec_lo, s6
	s_cbranch_execz .LBB126_62
; %bb.61:
	v_add_nc_u32_e32 v7, v1, v15
	s_waitcnt lgkmcnt(0)
	v_mov_b32_e32 v16, v12
	ds_read_u8 v18, v7 offset:1
.LBB126_62:
	s_or_b32 exec_lo, exec_lo, s6
	v_and_b32_e32 v7, 64, v4
	v_cndmask_b32_e64 v12, v12, v14, s5
	v_add_nc_u32_e32 v14, 1, v17
	v_add_nc_u32_e32 v20, 1, v15
	v_cndmask_b32_e64 v21, v9, v11, s4
	v_min_i32_e32 v13, v5, v7
	v_and_b32_e32 v11, 60, v4
	v_cndmask_b32_e64 v14, v14, v17, s5
	v_cndmask_b32_e64 v15, v15, v20, s5
	s_waitcnt lgkmcnt(0)
	v_cmp_lt_u16_sdwa s6, v18, v16 src0_sel:BYTE_0 src1_sel:BYTE_0
	v_add_nc_u32_e32 v7, 32, v13
	v_cndmask_b32_e64 v10, v3, v10, s3
	v_cmp_ge_i32_e64 s4, v14, v6
	v_cmp_lt_i32_e64 s3, v15, v8
	v_min_i32_e32 v11, v5, v11
	v_min_i32_e32 v7, v5, v7
	s_mov_b32 s5, 0
	s_or_b32 s4, s4, s6
	s_and_b32 s3, s3, s4
	v_add_nc_u32_e32 v19, 32, v7
	v_sub_nc_u32_e32 v8, v7, v13
	v_cndmask_b32_e64 v14, v16, v18, s3
	s_mov_b32 s4, exec_lo
	; wave barrier
	v_min_i32_e32 v9, v5, v19
	ds_write_b8 v2, v10
	ds_write_b8 v2, v21 offset:1
	ds_write_b8 v2, v12 offset:2
	;; [unrolled: 1-line block ×3, first 2 shown]
	; wave barrier
	v_sub_nc_u32_e32 v6, v9, v7
	v_sub_nc_u32_e32 v3, v11, v6
	v_cmp_ge_i32_e64 s3, v11, v6
	v_min_i32_e32 v6, v11, v8
	v_cndmask_b32_e64 v3, 0, v3, s3
	v_cmpx_lt_i32_e64 v3, v6
	s_cbranch_execz .LBB126_66
; %bb.63:
	v_add_nc_u32_e32 v8, v1, v13
	v_add3_u32 v10, v1, v7, v11
	.p2align	6
.LBB126_64:                             ; =>This Inner Loop Header: Depth=1
	v_sub_nc_u32_e32 v12, v6, v3
	v_lshrrev_b32_e32 v12, 1, v12
	v_add_nc_u32_e32 v12, v12, v3
	v_add_nc_u32_e32 v14, v8, v12
	v_xad_u32 v15, v12, -1, v10
	v_add_nc_u32_e32 v16, 1, v12
	ds_read_u8 v14, v14
	ds_read_u8 v15, v15
	s_waitcnt lgkmcnt(0)
	v_cmp_lt_u16_e64 s3, v15, v14
	v_cndmask_b32_e64 v6, v6, v12, s3
	v_cndmask_b32_e64 v3, v16, v3, s3
	v_cmp_ge_i32_e64 s3, v3, v6
	s_or_b32 s5, s3, s5
	s_andn2_b32 exec_lo, exec_lo, s5
	s_cbranch_execnz .LBB126_64
; %bb.65:
	s_or_b32 exec_lo, exec_lo, s5
.LBB126_66:
	s_or_b32 exec_lo, exec_lo, s4
	v_add_nc_u32_e32 v6, v7, v11
	v_add_nc_u32_e32 v12, v3, v13
	v_sub_nc_u32_e32 v3, v6, v3
	v_add_nc_u32_e32 v11, v1, v12
	v_cmp_le_i32_e64 s3, v7, v12
                                        ; implicit-def: $vgpr6
	v_add_nc_u32_e32 v13, v1, v3
	v_cmp_gt_i32_e64 s4, v9, v3
	ds_read_u8 v8, v11
	ds_read_u8 v10, v13
	s_waitcnt lgkmcnt(0)
	v_cmp_lt_u16_sdwa s5, v10, v8 src0_sel:BYTE_0 src1_sel:BYTE_0
	s_or_b32 s3, s3, s5
	s_and_b32 s3, s4, s3
	s_xor_b32 s4, s3, -1
	s_and_saveexec_b32 s5, s4
	s_xor_b32 s4, exec_lo, s5
; %bb.67:
	ds_read_u8 v6, v11 offset:1
                                        ; implicit-def: $vgpr13
; %bb.68:
	s_or_saveexec_b32 s4, s4
	v_mov_b32_e32 v11, v10
	s_xor_b32 exec_lo, exec_lo, s4
	s_cbranch_execz .LBB126_70
; %bb.69:
	ds_read_u8 v11, v13 offset:1
	s_waitcnt lgkmcnt(1)
	v_mov_b32_e32 v6, v8
.LBB126_70:
	s_or_b32 exec_lo, exec_lo, s4
	v_add_nc_u32_e32 v13, 1, v12
	v_add_nc_u32_e32 v14, 1, v3
	s_waitcnt lgkmcnt(0)
	v_cmp_lt_u16_sdwa s6, v11, v6 src0_sel:BYTE_0 src1_sel:BYTE_0
	v_cndmask_b32_e64 v13, v13, v12, s3
	v_cndmask_b32_e64 v3, v3, v14, s3
                                        ; implicit-def: $vgpr12
	v_cmp_ge_i32_e64 s4, v13, v7
	v_cmp_lt_i32_e64 s5, v3, v9
	s_or_b32 s4, s4, s6
	s_and_b32 s4, s5, s4
	s_xor_b32 s5, s4, -1
	s_and_saveexec_b32 s6, s5
	s_xor_b32 s5, exec_lo, s6
; %bb.71:
	v_add_nc_u32_e32 v12, v1, v13
	ds_read_u8 v12, v12 offset:1
; %bb.72:
	s_or_saveexec_b32 s5, s5
	v_mov_b32_e32 v14, v11
	s_xor_b32 exec_lo, exec_lo, s5
	s_cbranch_execz .LBB126_74
; %bb.73:
	s_waitcnt lgkmcnt(0)
	v_add_nc_u32_e32 v12, v1, v3
	ds_read_u8 v14, v12 offset:1
	v_mov_b32_e32 v12, v6
.LBB126_74:
	s_or_b32 exec_lo, exec_lo, s5
	v_add_nc_u32_e32 v15, 1, v13
	v_add_nc_u32_e32 v16, 1, v3
	s_waitcnt lgkmcnt(0)
	v_cmp_lt_u16_sdwa s7, v14, v12 src0_sel:BYTE_0 src1_sel:BYTE_0
	v_cndmask_b32_e64 v17, v15, v13, s4
	v_cndmask_b32_e64 v15, v3, v16, s4
                                        ; implicit-def: $vgpr16
	v_cmp_ge_i32_e64 s5, v17, v7
	v_cmp_lt_i32_e64 s6, v15, v9
	s_or_b32 s5, s5, s7
	s_and_b32 s5, s6, s5
	s_xor_b32 s6, s5, -1
	s_and_saveexec_b32 s7, s6
	s_xor_b32 s6, exec_lo, s7
; %bb.75:
	v_add_nc_u32_e32 v3, v1, v17
	ds_read_u8 v16, v3 offset:1
; %bb.76:
	s_or_saveexec_b32 s6, s6
	v_mov_b32_e32 v18, v14
	s_xor_b32 exec_lo, exec_lo, s6
	s_cbranch_execz .LBB126_78
; %bb.77:
	v_add_nc_u32_e32 v3, v1, v15
	s_waitcnt lgkmcnt(0)
	v_mov_b32_e32 v16, v12
	ds_read_u8 v18, v3 offset:1
.LBB126_78:
	s_or_b32 exec_lo, exec_lo, s6
	v_min_i32_e32 v13, 0, v5
	v_add_nc_u32_e32 v19, 1, v17
	v_cndmask_b32_e64 v12, v12, v14, s5
	v_add_nc_u32_e32 v14, 1, v15
	v_cndmask_b32_e64 v11, v6, v11, s4
	;; [unrolled: 2-line block ×3, first 2 shown]
	s_waitcnt lgkmcnt(0)
	v_cmp_lt_u16_sdwa s6, v18, v16 src0_sel:BYTE_0 src1_sel:BYTE_0
	v_cndmask_b32_e64 v14, v15, v14, s5
	v_cndmask_b32_e64 v10, v8, v10, s3
	v_min_i32_e32 v3, v5, v3
	v_cmp_ge_i32_e64 s4, v17, v7
	s_mov_b32 s5, 0
	v_cmp_lt_i32_e64 s3, v14, v9
	v_add_nc_u32_e32 v20, 64, v3
	s_or_b32 s4, s4, s6
	v_sub_nc_u32_e32 v9, v3, v13
	s_and_b32 s3, s3, s4
	s_mov_b32 s4, exec_lo
	v_min_i32_e32 v6, v5, v20
	v_min_i32_e32 v5, v5, v4
	v_cndmask_b32_e64 v14, v16, v18, s3
	; wave barrier
	ds_write_b8 v2, v10
	ds_write_b8 v2, v11 offset:1
	ds_write_b8 v2, v12 offset:2
	;; [unrolled: 1-line block ×3, first 2 shown]
	v_sub_nc_u32_e32 v7, v6, v3
	; wave barrier
	v_sub_nc_u32_e32 v8, v5, v7
	v_cmp_ge_i32_e64 s3, v5, v7
	v_cndmask_b32_e64 v7, 0, v8, s3
	v_min_i32_e32 v8, v5, v9
	v_cmpx_lt_i32_e64 v7, v8
	s_cbranch_execz .LBB126_82
; %bb.79:
	v_add_nc_u32_e32 v2, v1, v13
	v_add3_u32 v9, v1, v3, v5
	.p2align	6
.LBB126_80:                             ; =>This Inner Loop Header: Depth=1
	v_sub_nc_u32_e32 v10, v8, v7
	v_lshrrev_b32_e32 v10, 1, v10
	v_add_nc_u32_e32 v10, v10, v7
	v_add_nc_u32_e32 v11, v2, v10
	v_xad_u32 v12, v10, -1, v9
	v_add_nc_u32_e32 v14, 1, v10
	ds_read_u8 v11, v11
	ds_read_u8 v12, v12
	s_waitcnt lgkmcnt(0)
	v_cmp_lt_u16_e64 s3, v12, v11
	v_cndmask_b32_e64 v8, v8, v10, s3
	v_cndmask_b32_e64 v7, v14, v7, s3
	v_cmp_ge_i32_e64 s3, v7, v8
	s_or_b32 s5, s3, s5
	s_andn2_b32 exec_lo, exec_lo, s5
	s_cbranch_execnz .LBB126_80
; %bb.81:
	s_or_b32 exec_lo, exec_lo, s5
.LBB126_82:
	s_or_b32 exec_lo, exec_lo, s4
	v_add_nc_u32_e32 v2, v3, v5
	v_add_nc_u32_e32 v9, v7, v13
	v_sub_nc_u32_e32 v10, v2, v7
	v_add_nc_u32_e32 v8, v1, v9
	v_cmp_le_i32_e64 s3, v3, v9
                                        ; implicit-def: $vgpr7
	v_add_nc_u32_e32 v11, v1, v10
	v_cmp_gt_i32_e64 s4, v6, v10
	ds_read_u8 v2, v8
	ds_read_u8 v5, v11
	s_waitcnt lgkmcnt(0)
	v_cmp_lt_u16_sdwa s5, v5, v2 src0_sel:BYTE_0 src1_sel:BYTE_0
	s_or_b32 s3, s3, s5
	s_and_b32 s3, s4, s3
	s_xor_b32 s4, s3, -1
	s_and_saveexec_b32 s5, s4
	s_xor_b32 s4, exec_lo, s5
; %bb.83:
	ds_read_u8 v7, v8 offset:1
                                        ; implicit-def: $vgpr11
; %bb.84:
	s_or_saveexec_b32 s4, s4
	v_mov_b32_e32 v8, v5
	s_xor_b32 exec_lo, exec_lo, s4
	s_cbranch_execz .LBB126_86
; %bb.85:
	ds_read_u8 v8, v11 offset:1
	s_waitcnt lgkmcnt(1)
	v_mov_b32_e32 v7, v2
.LBB126_86:
	s_or_b32 exec_lo, exec_lo, s4
	v_add_nc_u32_e32 v11, 1, v9
	v_add_nc_u32_e32 v13, 1, v10
	s_waitcnt lgkmcnt(0)
	v_cmp_lt_u16_sdwa s6, v8, v7 src0_sel:BYTE_0 src1_sel:BYTE_0
	v_cndmask_b32_e64 v12, v11, v9, s3
	v_cndmask_b32_e64 v11, v10, v13, s3
                                        ; implicit-def: $vgpr9
	v_cmp_ge_i32_e64 s4, v12, v3
	v_cmp_lt_i32_e64 s5, v11, v6
	s_or_b32 s4, s4, s6
	s_and_b32 s4, s5, s4
	s_xor_b32 s5, s4, -1
	s_and_saveexec_b32 s6, s5
	s_xor_b32 s5, exec_lo, s6
; %bb.87:
	v_add_nc_u32_e32 v9, v1, v12
	ds_read_u8 v9, v9 offset:1
; %bb.88:
	s_or_saveexec_b32 s5, s5
	v_mov_b32_e32 v10, v8
	s_xor_b32 exec_lo, exec_lo, s5
	s_cbranch_execz .LBB126_90
; %bb.89:
	s_waitcnt lgkmcnt(0)
	v_add_nc_u32_e32 v9, v1, v11
	ds_read_u8 v10, v9 offset:1
	v_mov_b32_e32 v9, v7
.LBB126_90:
	s_or_b32 exec_lo, exec_lo, s5
	v_add_nc_u32_e32 v13, 1, v12
	v_add_nc_u32_e32 v14, 1, v11
	s_waitcnt lgkmcnt(0)
	v_cmp_lt_u16_sdwa s7, v10, v9 src0_sel:BYTE_0 src1_sel:BYTE_0
	v_cndmask_b32_e64 v15, v13, v12, s4
	v_cndmask_b32_e64 v11, v11, v14, s4
                                        ; implicit-def: $vgpr12
                                        ; implicit-def: $vgpr13
	v_cmp_ge_i32_e64 s5, v15, v3
	v_cmp_lt_i32_e64 s6, v11, v6
	s_or_b32 s5, s5, s7
	s_and_b32 s5, s6, s5
	s_xor_b32 s6, s5, -1
	s_and_saveexec_b32 s7, s6
	s_xor_b32 s6, exec_lo, s7
; %bb.91:
	v_add_nc_u32_e32 v1, v1, v15
	v_add_nc_u32_e32 v13, 1, v15
                                        ; implicit-def: $vgpr15
	ds_read_u8 v12, v1 offset:1
                                        ; implicit-def: $vgpr1
; %bb.92:
	s_or_saveexec_b32 s6, s6
	v_mov_b32_e32 v14, v10
	s_xor_b32 exec_lo, exec_lo, s6
	s_cbranch_execz .LBB126_94
; %bb.93:
	v_add_nc_u32_e32 v1, v1, v11
	v_add_nc_u32_e32 v11, 1, v11
	v_mov_b32_e32 v13, v15
	s_waitcnt lgkmcnt(0)
	v_mov_b32_e32 v12, v9
	ds_read_u8 v14, v1 offset:1
.LBB126_94:
	s_or_b32 exec_lo, exec_lo, s6
	v_add_co_u32 v0, s6, s10, v0
	v_add_co_ci_u32_e64 v1, null, s11, 0, s6
	v_add_co_u32 v0, s6, v0, v4
	v_add_co_ci_u32_e64 v1, null, 0, v1, s6
	s_and_saveexec_b32 s6, vcc_lo
	s_cbranch_execnz .LBB126_99
; %bb.95:
	s_or_b32 exec_lo, exec_lo, s6
	s_and_saveexec_b32 s3, s0
	s_cbranch_execnz .LBB126_100
.LBB126_96:
	s_or_b32 exec_lo, exec_lo, s3
	s_and_saveexec_b32 s0, s1
	s_cbranch_execnz .LBB126_101
.LBB126_97:
	s_or_b32 exec_lo, exec_lo, s0
	s_and_saveexec_b32 s0, s2
	s_cbranch_execnz .LBB126_102
.LBB126_98:
	s_endpgm
.LBB126_99:
	v_cndmask_b32_e64 v2, v2, v5, s3
	global_store_byte v[0:1], v2, off
	s_or_b32 exec_lo, exec_lo, s6
	s_and_saveexec_b32 s3, s0
	s_cbranch_execz .LBB126_96
.LBB126_100:
	v_cndmask_b32_e64 v2, v7, v8, s4
	global_store_byte v[0:1], v2, off offset:1
	s_or_b32 exec_lo, exec_lo, s3
	s_and_saveexec_b32 s0, s1
	s_cbranch_execz .LBB126_97
.LBB126_101:
	v_cndmask_b32_e64 v2, v9, v10, s5
	global_store_byte v[0:1], v2, off offset:2
	s_or_b32 exec_lo, exec_lo, s0
	s_and_saveexec_b32 s0, s2
	s_cbranch_execz .LBB126_98
.LBB126_102:
	v_cmp_ge_i32_e32 vcc_lo, v13, v3
	s_waitcnt lgkmcnt(0)
	v_cmp_lt_u16_sdwa s1, v14, v12 src0_sel:BYTE_0 src1_sel:BYTE_0
	v_cmp_lt_i32_e64 s0, v11, v6
	s_or_b32 s1, vcc_lo, s1
	s_and_b32 vcc_lo, s0, s1
	v_cndmask_b32_e32 v2, v12, v14, vcc_lo
	global_store_byte v[0:1], v2, off offset:3
	s_endpgm
	.section	.rodata,"a",@progbits
	.p2align	6, 0x0
	.amdhsa_kernel _Z19sort_keys_segmentedILj256ELj32ELj4EhN10test_utils4lessEEvPKT2_PS2_PKjT3_
		.amdhsa_group_segment_fixed_size 1032
		.amdhsa_private_segment_fixed_size 0
		.amdhsa_kernarg_size 28
		.amdhsa_user_sgpr_count 6
		.amdhsa_user_sgpr_private_segment_buffer 1
		.amdhsa_user_sgpr_dispatch_ptr 0
		.amdhsa_user_sgpr_queue_ptr 0
		.amdhsa_user_sgpr_kernarg_segment_ptr 1
		.amdhsa_user_sgpr_dispatch_id 0
		.amdhsa_user_sgpr_flat_scratch_init 0
		.amdhsa_user_sgpr_private_segment_size 0
		.amdhsa_wavefront_size32 1
		.amdhsa_uses_dynamic_stack 0
		.amdhsa_system_sgpr_private_segment_wavefront_offset 0
		.amdhsa_system_sgpr_workgroup_id_x 1
		.amdhsa_system_sgpr_workgroup_id_y 0
		.amdhsa_system_sgpr_workgroup_id_z 0
		.amdhsa_system_sgpr_workgroup_info 0
		.amdhsa_system_vgpr_workitem_id 0
		.amdhsa_next_free_vgpr 22
		.amdhsa_next_free_sgpr 12
		.amdhsa_reserve_vcc 1
		.amdhsa_reserve_flat_scratch 0
		.amdhsa_float_round_mode_32 0
		.amdhsa_float_round_mode_16_64 0
		.amdhsa_float_denorm_mode_32 3
		.amdhsa_float_denorm_mode_16_64 3
		.amdhsa_dx10_clamp 1
		.amdhsa_ieee_mode 1
		.amdhsa_fp16_overflow 0
		.amdhsa_workgroup_processor_mode 1
		.amdhsa_memory_ordered 1
		.amdhsa_forward_progress 1
		.amdhsa_shared_vgpr_count 0
		.amdhsa_exception_fp_ieee_invalid_op 0
		.amdhsa_exception_fp_denorm_src 0
		.amdhsa_exception_fp_ieee_div_zero 0
		.amdhsa_exception_fp_ieee_overflow 0
		.amdhsa_exception_fp_ieee_underflow 0
		.amdhsa_exception_fp_ieee_inexact 0
		.amdhsa_exception_int_div_zero 0
	.end_amdhsa_kernel
	.section	.text._Z19sort_keys_segmentedILj256ELj32ELj4EhN10test_utils4lessEEvPKT2_PS2_PKjT3_,"axG",@progbits,_Z19sort_keys_segmentedILj256ELj32ELj4EhN10test_utils4lessEEvPKT2_PS2_PKjT3_,comdat
.Lfunc_end126:
	.size	_Z19sort_keys_segmentedILj256ELj32ELj4EhN10test_utils4lessEEvPKT2_PS2_PKjT3_, .Lfunc_end126-_Z19sort_keys_segmentedILj256ELj32ELj4EhN10test_utils4lessEEvPKT2_PS2_PKjT3_
                                        ; -- End function
	.set _Z19sort_keys_segmentedILj256ELj32ELj4EhN10test_utils4lessEEvPKT2_PS2_PKjT3_.num_vgpr, 22
	.set _Z19sort_keys_segmentedILj256ELj32ELj4EhN10test_utils4lessEEvPKT2_PS2_PKjT3_.num_agpr, 0
	.set _Z19sort_keys_segmentedILj256ELj32ELj4EhN10test_utils4lessEEvPKT2_PS2_PKjT3_.numbered_sgpr, 12
	.set _Z19sort_keys_segmentedILj256ELj32ELj4EhN10test_utils4lessEEvPKT2_PS2_PKjT3_.num_named_barrier, 0
	.set _Z19sort_keys_segmentedILj256ELj32ELj4EhN10test_utils4lessEEvPKT2_PS2_PKjT3_.private_seg_size, 0
	.set _Z19sort_keys_segmentedILj256ELj32ELj4EhN10test_utils4lessEEvPKT2_PS2_PKjT3_.uses_vcc, 1
	.set _Z19sort_keys_segmentedILj256ELj32ELj4EhN10test_utils4lessEEvPKT2_PS2_PKjT3_.uses_flat_scratch, 0
	.set _Z19sort_keys_segmentedILj256ELj32ELj4EhN10test_utils4lessEEvPKT2_PS2_PKjT3_.has_dyn_sized_stack, 0
	.set _Z19sort_keys_segmentedILj256ELj32ELj4EhN10test_utils4lessEEvPKT2_PS2_PKjT3_.has_recursion, 0
	.set _Z19sort_keys_segmentedILj256ELj32ELj4EhN10test_utils4lessEEvPKT2_PS2_PKjT3_.has_indirect_call, 0
	.section	.AMDGPU.csdata,"",@progbits
; Kernel info:
; codeLenInByte = 4476
; TotalNumSgprs: 14
; NumVgprs: 22
; ScratchSize: 0
; MemoryBound: 0
; FloatMode: 240
; IeeeMode: 1
; LDSByteSize: 1032 bytes/workgroup (compile time only)
; SGPRBlocks: 0
; VGPRBlocks: 2
; NumSGPRsForWavesPerEU: 14
; NumVGPRsForWavesPerEU: 22
; Occupancy: 16
; WaveLimiterHint : 0
; COMPUTE_PGM_RSRC2:SCRATCH_EN: 0
; COMPUTE_PGM_RSRC2:USER_SGPR: 6
; COMPUTE_PGM_RSRC2:TRAP_HANDLER: 0
; COMPUTE_PGM_RSRC2:TGID_X_EN: 1
; COMPUTE_PGM_RSRC2:TGID_Y_EN: 0
; COMPUTE_PGM_RSRC2:TGID_Z_EN: 0
; COMPUTE_PGM_RSRC2:TIDIG_COMP_CNT: 0
	.section	.text._Z20sort_pairs_segmentedILj256ELj32ELj4EhN10test_utils4lessEEvPKT2_PS2_PKjT3_,"axG",@progbits,_Z20sort_pairs_segmentedILj256ELj32ELj4EhN10test_utils4lessEEvPKT2_PS2_PKjT3_,comdat
	.protected	_Z20sort_pairs_segmentedILj256ELj32ELj4EhN10test_utils4lessEEvPKT2_PS2_PKjT3_ ; -- Begin function _Z20sort_pairs_segmentedILj256ELj32ELj4EhN10test_utils4lessEEvPKT2_PS2_PKjT3_
	.globl	_Z20sort_pairs_segmentedILj256ELj32ELj4EhN10test_utils4lessEEvPKT2_PS2_PKjT3_
	.p2align	8
	.type	_Z20sort_pairs_segmentedILj256ELj32ELj4EhN10test_utils4lessEEvPKT2_PS2_PKjT3_,@function
_Z20sort_pairs_segmentedILj256ELj32ELj4EhN10test_utils4lessEEvPKT2_PS2_PKjT3_: ; @_Z20sort_pairs_segmentedILj256ELj32ELj4EhN10test_utils4lessEEvPKT2_PS2_PKjT3_
; %bb.0:
	s_clause 0x1
	s_load_dwordx2 s[0:1], s[4:5], 0x10
	s_load_dwordx4 s[8:11], s[4:5], 0x0
	v_lshrrev_b32_e32 v6, 5, v0
	v_mov_b32_e32 v1, 0
	v_mov_b32_e32 v8, 0
	;; [unrolled: 1-line block ×3, first 2 shown]
	v_lshl_or_b32 v0, s6, 3, v6
	v_lshlrev_b64 v[2:3], 2, v[0:1]
	v_lshlrev_b32_e32 v0, 7, v0
	s_waitcnt lgkmcnt(0)
	v_add_co_u32 v2, vcc_lo, s0, v2
	v_add_co_ci_u32_e64 v3, null, s1, v3, vcc_lo
	global_load_dword v5, v[2:3], off
	v_mbcnt_lo_u32_b32 v2, -1, 0
	v_lshlrev_b32_e32 v4, 2, v2
	v_add_co_u32 v2, s0, s8, v0
	v_add_co_ci_u32_e64 v3, null, s9, 0, s0
	v_add_co_u32 v2, vcc_lo, v2, v4
	v_add_co_ci_u32_e64 v3, null, 0, v3, vcc_lo
	s_waitcnt vmcnt(0)
	v_cmp_lt_u32_e64 s0, v4, v5
	s_and_saveexec_b32 s1, s0
	s_cbranch_execz .LBB127_2
; %bb.1:
	global_load_ubyte v8, v[2:3], off
	v_mov_b32_e32 v7, 0
.LBB127_2:
	s_or_b32 exec_lo, exec_lo, s1
	v_or_b32_e32 v9, 1, v4
	v_mov_b32_e32 v11, v1
	v_cmp_lt_u32_e64 s1, v9, v5
	s_and_saveexec_b32 s2, s1
	s_cbranch_execz .LBB127_4
; %bb.3:
	global_load_ubyte v11, v[2:3], off offset:1
.LBB127_4:
	s_or_b32 exec_lo, exec_lo, s2
	v_or_b32_e32 v10, 2, v4
	v_cmp_lt_u32_e64 s2, v10, v5
	s_and_saveexec_b32 s3, s2
	s_cbranch_execz .LBB127_6
; %bb.5:
	global_load_ubyte v1, v[2:3], off offset:2
.LBB127_6:
	s_or_b32 exec_lo, exec_lo, s3
	v_or_b32_e32 v12, 3, v4
	v_cmp_lt_u32_e64 s3, v12, v5
	s_and_saveexec_b32 s4, s3
	s_cbranch_execz .LBB127_8
; %bb.7:
	global_load_ubyte v7, v[2:3], off offset:3
.LBB127_8:
	s_or_b32 exec_lo, exec_lo, s4
	s_waitcnt vmcnt(0)
	v_add_nc_u16 v2, v8, 1
	v_mov_b32_e32 v3, 0xffff
	v_add_nc_u16 v13, v1, 1
	v_perm_b32 v1, v1, v7, 0xc0c0004
	v_cmp_lt_i32_e32 vcc_lo, v9, v5
	v_lshlrev_b16 v7, 8, v7
	v_and_b32_sdwa v2, v3, v2 dst_sel:DWORD dst_unused:UNUSED_PAD src0_sel:DWORD src1_sel:BYTE_0
	v_lshlrev_b16 v3, 8, v11
	v_lshlrev_b32_e32 v1, 16, v1
	v_cmp_lt_i32_e64 s5, v12, v5
	s_mov_b32 s4, exec_lo
	v_cndmask_b32_e64 v2, 0, v2, s0
	v_or_b32_e32 v3, v3, v2
	v_add_nc_u16 v3, 0x100, v3
	v_and_b32_e32 v3, 0xffff, v3
	v_cndmask_b32_e64 v2, v2, v3, s1
	v_perm_b32 v3, v8, v11, 0xc0c0004
	v_or_b32_e32 v8, 0xffffff00, v8
	v_perm_b32 v11, v13, v2, 0xc0c0304
	v_or_b32_e32 v3, v3, v1
	v_or_b32_sdwa v1, v8, v1 dst_sel:DWORD dst_unused:UNUSED_PAD src0_sel:WORD_0 src1_sel:DWORD
	v_mov_b32_e32 v8, 0xff
	v_lshl_or_b32 v11, v11, 16, v2
	v_cndmask_b32_e32 v1, v1, v3, vcc_lo
	v_cmp_lt_i32_e32 vcc_lo, v10, v5
	v_cndmask_b32_e64 v2, v2, v11, s2
	v_and_b32_sdwa v9, v2, v8 dst_sel:DWORD dst_unused:UNUSED_PAD src0_sel:WORD_1 src1_sel:DWORD
	v_or_b32_sdwa v8, v1, v8 dst_sel:WORD_1 dst_unused:UNUSED_PAD src0_sel:WORD_1 src1_sel:DWORD
	v_or_b32_e32 v7, v7, v9
	v_and_or_b32 v1, 0xffff, v1, v8
                                        ; implicit-def: $vgpr8
	v_add_nc_u16 v7, 0x100, v7
	v_cndmask_b32_e32 v1, v1, v3, vcc_lo
	v_lshlrev_b32_e32 v3, 16, v7
	v_lshrrev_b32_e32 v10, 24, v1
	v_lshrrev_b32_e32 v9, 16, v1
	;; [unrolled: 1-line block ×3, first 2 shown]
	v_and_or_b32 v3, 0xffff, v2, v3
	v_cmpx_ge_i32_e64 v12, v5
; %bb.9:
	v_mov_b32_e32 v8, 0xffffff00
	v_cmp_lt_i32_e32 vcc_lo, v4, v5
	v_mov_b32_e32 v10, 0xff
	s_andn2_b32 s5, s5, exec_lo
	v_or_b32_sdwa v8, v9, v8 dst_sel:WORD_1 dst_unused:UNUSED_PAD src0_sel:DWORD src1_sel:DWORD
	s_and_b32 s6, vcc_lo, exec_lo
	s_or_b32 s5, s5, s6
	v_and_or_b32 v8, 0xffff, v1, v8
; %bb.10:
	s_or_b32 exec_lo, exec_lo, s4
	v_cndmask_b32_e64 v3, v2, v3, s3
	s_and_saveexec_b32 s4, s5
	s_cbranch_execz .LBB127_14
; %bb.11:
	v_perm_b32 v2, v9, v10, 0xc0c0004
	v_perm_b32 v8, v7, v1, 0xc0c0004
	;; [unrolled: 1-line block ×4, first 2 shown]
	v_cmp_lt_u16_sdwa vcc_lo, v7, v1 src0_sel:BYTE_0 src1_sel:BYTE_0
	v_lshlrev_b32_e32 v2, 16, v2
	v_cndmask_b32_e32 v1, v3, v10, vcc_lo
	v_or_b32_e32 v8, v8, v2
	v_or_b32_e32 v2, v9, v2
	v_mov_b32_e32 v10, 0xffffff00
	v_lshrrev_b32_e32 v3, 16, v1
	v_cndmask_b32_e32 v2, v2, v8, vcc_lo
	v_perm_b32 v3, 0, v3, 0xc0c0001
	v_lshrrev_b32_e32 v7, 16, v2
	v_lshrrev_b32_e32 v9, 24, v2
	v_lshlrev_b32_e32 v3, 16, v3
	v_perm_b32 v8, 0, v7, 0xc0c0001
	v_and_b32_e32 v7, 0xff, v7
	v_and_or_b32 v3, 0xffff, v1, v3
	v_lshlrev_b32_e32 v8, 16, v8
	v_cmp_lt_u16_e32 vcc_lo, v9, v7
	v_and_or_b32 v8, 0xffff, v2, v8
	v_cndmask_b32_e32 v1, v1, v3, vcc_lo
	v_min_u16 v3, v9, v7
	v_cndmask_b32_e32 v2, v2, v8, vcc_lo
	v_lshlrev_b16 v7, 8, v3
	v_and_b32_sdwa v8, v2, v10 dst_sel:DWORD dst_unused:UNUSED_PAD src0_sel:WORD_1 src1_sel:DWORD
	v_lshrrev_b32_e32 v9, 8, v2
	v_or_b32_sdwa v7, v2, v7 dst_sel:DWORD dst_unused:UNUSED_PAD src0_sel:BYTE_0 src1_sel:DWORD
	v_perm_b32 v10, v1, v1, 0x7050604
	v_or_b32_sdwa v8, v2, v8 dst_sel:WORD_1 dst_unused:UNUSED_PAD src0_sel:BYTE_1 src1_sel:DWORD
	v_and_b32_e32 v9, 0xff, v9
	v_or_b32_sdwa v7, v7, v8 dst_sel:DWORD dst_unused:UNUSED_PAD src0_sel:WORD_0 src1_sel:DWORD
	v_cmp_lt_u16_e32 vcc_lo, v3, v9
	v_min_u16 v3, v3, v9
	v_cndmask_b32_e32 v2, v2, v7, vcc_lo
	v_cndmask_b32_e32 v1, v1, v10, vcc_lo
	v_lshlrev_b16 v7, 8, v2
	v_perm_b32 v8, 0, v1, 0xc0c0001
	v_cmp_lt_u16_sdwa vcc_lo, v3, v2 src0_sel:DWORD src1_sel:BYTE_0
	v_or_b32_e32 v7, v3, v7
	v_and_or_b32 v8, 0xffff0000, v1, v8
	v_and_b32_e32 v7, 0xffff, v7
	v_cndmask_b32_e32 v1, v1, v8, vcc_lo
	v_and_or_b32 v7, 0xffff0000, v2, v7
	v_lshrrev_b32_e32 v3, 16, v1
	v_cndmask_b32_e32 v2, v2, v7, vcc_lo
	v_perm_b32 v3, 0, v3, 0xc0c0001
	v_lshrrev_b32_e32 v7, 16, v2
	v_lshrrev_b32_e32 v9, 24, v2
	v_lshlrev_b32_e32 v3, 16, v3
	v_perm_b32 v8, 0, v7, 0xc0c0001
	v_and_b32_e32 v7, 0xff, v7
	v_and_or_b32 v3, 0xffff, v1, v3
	v_lshlrev_b32_e32 v8, 16, v8
	v_cmp_lt_u16_e32 vcc_lo, v9, v7
	v_and_or_b32 v8, 0xffff, v2, v8
	v_cndmask_b32_e32 v3, v1, v3, vcc_lo
	v_min_u16 v1, v9, v7
	v_cndmask_b32_e32 v8, v2, v8, vcc_lo
	v_lshrrev_b32_e32 v2, 8, v8
	v_cmp_lt_u16_sdwa s6, v1, v2 src0_sel:DWORD src1_sel:BYTE_0
	s_and_saveexec_b32 s5, s6
; %bb.12:
	v_perm_b32 v8, v8, v1, 0x7050004
	v_perm_b32 v3, v3, v3, 0x7050604
; %bb.13:
	s_or_b32 exec_lo, exec_lo, s5
.LBB127_14:
	s_or_b32 exec_lo, exec_lo, s4
	v_and_b32_e32 v1, 0x78, v4
	v_and_b32_e32 v10, 4, v4
	v_mad_u32_u24 v13, 0x81, v6, v4
	s_mov_b32 s5, 0
	s_mov_b32 s4, exec_lo
	v_min_i32_e32 v9, v5, v1
	v_min_i32_e32 v10, v5, v10
	; wave barrier
	ds_write_b32 v13, v8
	v_add_nc_u32_e32 v1, 4, v9
	; wave barrier
	v_min_i32_e32 v2, v5, v1
	v_add_nc_u32_e32 v1, 4, v2
	v_sub_nc_u32_e32 v12, v2, v9
	v_min_i32_e32 v7, v5, v1
	v_min_i32_e32 v12, v10, v12
	v_sub_nc_u32_e32 v1, v7, v2
	v_sub_nc_u32_e32 v11, v10, v1
	v_cmp_ge_i32_e32 vcc_lo, v10, v1
	v_mul_u32_u24_e32 v1, 0x81, v6
	v_cndmask_b32_e32 v11, 0, v11, vcc_lo
	v_cmpx_lt_i32_e64 v11, v12
	s_cbranch_execz .LBB127_18
; %bb.15:
	v_add_nc_u32_e32 v6, v1, v9
	v_add3_u32 v8, v1, v2, v10
	.p2align	6
.LBB127_16:                             ; =>This Inner Loop Header: Depth=1
	v_sub_nc_u32_e32 v13, v12, v11
	v_lshrrev_b32_e32 v13, 1, v13
	v_add_nc_u32_e32 v13, v13, v11
	v_add_nc_u32_e32 v14, v6, v13
	v_xad_u32 v15, v13, -1, v8
	v_add_nc_u32_e32 v16, 1, v13
	ds_read_u8 v14, v14
	ds_read_u8 v15, v15
	s_waitcnt lgkmcnt(0)
	v_cmp_lt_u16_e32 vcc_lo, v15, v14
	v_cndmask_b32_e32 v12, v12, v13, vcc_lo
	v_cndmask_b32_e32 v11, v16, v11, vcc_lo
	v_cmp_ge_i32_e32 vcc_lo, v11, v12
	s_or_b32 s5, vcc_lo, s5
	s_andn2_b32 exec_lo, exec_lo, s5
	s_cbranch_execnz .LBB127_16
; %bb.17:
	s_or_b32 exec_lo, exec_lo, s5
.LBB127_18:
	s_or_b32 exec_lo, exec_lo, s4
	v_add_nc_u32_e32 v8, v2, v10
	v_add_nc_u32_e32 v6, v11, v9
                                        ; implicit-def: $vgpr13
	v_sub_nc_u32_e32 v8, v8, v11
	v_add_nc_u32_e32 v10, v1, v6
	v_cmp_le_i32_e32 vcc_lo, v2, v6
	v_add_nc_u32_e32 v9, v1, v8
	v_cmp_gt_i32_e64 s4, v7, v8
	ds_read_u8 v11, v10
	ds_read_u8 v12, v9
	s_waitcnt lgkmcnt(0)
	v_cmp_lt_u16_sdwa s5, v12, v11 src0_sel:BYTE_0 src1_sel:BYTE_0
	s_or_b32 s5, vcc_lo, s5
	s_and_b32 vcc_lo, s4, s5
	s_xor_b32 s4, vcc_lo, -1
	s_and_saveexec_b32 s5, s4
	s_xor_b32 s4, exec_lo, s5
; %bb.19:
	ds_read_u8 v13, v10 offset:1
                                        ; implicit-def: $vgpr9
; %bb.20:
	s_or_saveexec_b32 s4, s4
	v_mov_b32_e32 v14, v12
	s_xor_b32 exec_lo, exec_lo, s4
	s_cbranch_execz .LBB127_22
; %bb.21:
	ds_read_u8 v14, v9 offset:1
	s_waitcnt lgkmcnt(1)
	v_mov_b32_e32 v13, v11
.LBB127_22:
	s_or_b32 exec_lo, exec_lo, s4
	v_add_nc_u32_e32 v9, 1, v6
	v_add_nc_u32_e32 v10, 1, v8
	s_waitcnt lgkmcnt(0)
	v_cmp_lt_u16_sdwa s6, v14, v13 src0_sel:BYTE_0 src1_sel:BYTE_0
                                        ; implicit-def: $vgpr15
	v_cndmask_b32_e32 v9, v9, v6, vcc_lo
	v_cndmask_b32_e32 v10, v8, v10, vcc_lo
	v_cmp_ge_i32_e64 s4, v9, v2
	v_cmp_lt_i32_e64 s5, v10, v7
	s_or_b32 s4, s4, s6
	s_and_b32 s4, s5, s4
	s_xor_b32 s5, s4, -1
	s_and_saveexec_b32 s6, s5
	s_xor_b32 s5, exec_lo, s6
; %bb.23:
	v_add_nc_u32_e32 v15, v1, v9
	ds_read_u8 v15, v15 offset:1
; %bb.24:
	s_or_saveexec_b32 s5, s5
	v_mov_b32_e32 v16, v14
	s_xor_b32 exec_lo, exec_lo, s5
	s_cbranch_execz .LBB127_26
; %bb.25:
	s_waitcnt lgkmcnt(0)
	v_add_nc_u32_e32 v15, v1, v10
	ds_read_u8 v16, v15 offset:1
	v_mov_b32_e32 v15, v13
.LBB127_26:
	s_or_b32 exec_lo, exec_lo, s5
	v_add_nc_u32_e32 v17, 1, v9
	v_add_nc_u32_e32 v18, 1, v10
	s_waitcnt lgkmcnt(0)
	v_cmp_lt_u16_sdwa s7, v16, v15 src0_sel:BYTE_0 src1_sel:BYTE_0
                                        ; implicit-def: $vgpr19
	v_cndmask_b32_e64 v17, v17, v9, s4
	v_cndmask_b32_e64 v18, v10, v18, s4
	v_cmp_ge_i32_e64 s5, v17, v2
	v_cmp_lt_i32_e64 s6, v18, v7
	s_or_b32 s5, s5, s7
	s_and_b32 s5, s6, s5
	s_xor_b32 s6, s5, -1
	s_and_saveexec_b32 s7, s6
	s_xor_b32 s6, exec_lo, s7
; %bb.27:
	v_add_nc_u32_e32 v19, v1, v17
	ds_read_u8 v19, v19 offset:1
; %bb.28:
	s_or_saveexec_b32 s6, s6
	v_mov_b32_e32 v20, v16
	s_xor_b32 exec_lo, exec_lo, s6
	s_cbranch_execz .LBB127_30
; %bb.29:
	s_waitcnt lgkmcnt(0)
	v_add_nc_u32_e32 v19, v1, v18
	ds_read_u8 v20, v19 offset:1
	v_mov_b32_e32 v19, v15
.LBB127_30:
	s_or_b32 exec_lo, exec_lo, s6
	v_add_nc_u32_e32 v21, 1, v17
	v_add_nc_u32_e32 v23, 1, v18
	v_and_b32_e32 v22, 0x70, v4
	v_cndmask_b32_e64 v9, v9, v10, s4
	v_cndmask_b32_e64 v24, v17, v18, s5
	;; [unrolled: 1-line block ×4, first 2 shown]
	v_min_i32_e32 v17, v5, v22
	s_waitcnt lgkmcnt(0)
	v_cmp_lt_u16_sdwa s8, v20, v19 src0_sel:BYTE_0 src1_sel:BYTE_0
	v_cndmask_b32_e32 v8, v6, v8, vcc_lo
	v_cmp_ge_i32_e64 s6, v10, v2
	v_cmp_lt_i32_e64 s7, v18, v7
	v_add_nc_u32_e32 v6, 8, v17
	v_add_nc_u32_e32 v2, v1, v4
	;; [unrolled: 1-line block ×3, first 2 shown]
	s_or_b32 s6, s6, s8
	v_add_nc_u32_e32 v9, v1, v9
	s_and_b32 s6, s7, s6
	v_min_i32_e32 v6, v5, v6
	v_cndmask_b32_e64 v7, v10, v18, s6
	v_and_b32_e32 v10, 12, v4
	; wave barrier
	v_cndmask_b32_e64 v19, v19, v20, s6
	ds_write_b32 v2, v3
	v_add_nc_u32_e32 v3, 8, v6
	v_add_nc_u32_e32 v20, v1, v24
	;; [unrolled: 1-line block ×3, first 2 shown]
	; wave barrier
	v_min_i32_e32 v18, v5, v10
	ds_read_u8 v7, v8
	ds_read_u8 v8, v9
	;; [unrolled: 1-line block ×4, first 2 shown]
	v_min_i32_e32 v3, v5, v3
	v_cndmask_b32_e64 v15, v15, v16, s5
	v_cndmask_b32_e64 v13, v13, v14, s4
	v_sub_nc_u32_e32 v16, v6, v17
	v_cndmask_b32_e32 v20, v11, v12, vcc_lo
	v_sub_nc_u32_e32 v22, v3, v6
	s_mov_b32 s5, 0
	s_mov_b32 s4, exec_lo
	v_min_i32_e32 v12, v18, v16
	v_sub_nc_u32_e32 v14, v18, v22
	v_cmp_ge_i32_e32 vcc_lo, v18, v22
	; wave barrier
	ds_write_b8 v2, v20
	ds_write_b8 v2, v13 offset:1
	ds_write_b8 v2, v15 offset:2
	;; [unrolled: 1-line block ×3, first 2 shown]
	; wave barrier
	v_cndmask_b32_e32 v11, 0, v14, vcc_lo
	v_cmpx_lt_i32_e64 v11, v12
	s_cbranch_execz .LBB127_34
; %bb.31:
	v_add_nc_u32_e32 v13, v1, v17
	v_add3_u32 v14, v1, v6, v18
	.p2align	6
.LBB127_32:                             ; =>This Inner Loop Header: Depth=1
	v_sub_nc_u32_e32 v15, v12, v11
	v_lshrrev_b32_e32 v15, 1, v15
	v_add_nc_u32_e32 v15, v15, v11
	v_add_nc_u32_e32 v16, v13, v15
	v_xad_u32 v19, v15, -1, v14
	v_add_nc_u32_e32 v20, 1, v15
	ds_read_u8 v16, v16
	ds_read_u8 v19, v19
	s_waitcnt lgkmcnt(0)
	v_cmp_lt_u16_e32 vcc_lo, v19, v16
	v_cndmask_b32_e32 v12, v12, v15, vcc_lo
	v_cndmask_b32_e32 v11, v20, v11, vcc_lo
	v_cmp_ge_i32_e32 vcc_lo, v11, v12
	s_or_b32 s5, vcc_lo, s5
	s_andn2_b32 exec_lo, exec_lo, s5
	s_cbranch_execnz .LBB127_32
; %bb.33:
	s_or_b32 exec_lo, exec_lo, s5
.LBB127_34:
	s_or_b32 exec_lo, exec_lo, s4
	v_add_nc_u32_e32 v12, v6, v18
	v_add_nc_u32_e32 v15, v11, v17
                                        ; implicit-def: $vgpr13
	v_sub_nc_u32_e32 v16, v12, v11
	v_add_nc_u32_e32 v14, v1, v15
	v_cmp_le_i32_e32 vcc_lo, v6, v15
	v_add_nc_u32_e32 v17, v1, v16
	v_cmp_gt_i32_e64 s4, v3, v16
	ds_read_u8 v11, v14
	ds_read_u8 v12, v17
	s_waitcnt lgkmcnt(0)
	v_cmp_lt_u16_sdwa s5, v12, v11 src0_sel:BYTE_0 src1_sel:BYTE_0
	s_or_b32 s5, vcc_lo, s5
	s_and_b32 vcc_lo, s4, s5
	s_xor_b32 s4, vcc_lo, -1
	s_and_saveexec_b32 s5, s4
	s_xor_b32 s4, exec_lo, s5
; %bb.35:
	ds_read_u8 v13, v14 offset:1
                                        ; implicit-def: $vgpr17
; %bb.36:
	s_or_saveexec_b32 s4, s4
	v_mov_b32_e32 v14, v12
	s_xor_b32 exec_lo, exec_lo, s4
	s_cbranch_execz .LBB127_38
; %bb.37:
	ds_read_u8 v14, v17 offset:1
	s_waitcnt lgkmcnt(1)
	v_mov_b32_e32 v13, v11
.LBB127_38:
	s_or_b32 exec_lo, exec_lo, s4
	v_add_nc_u32_e32 v17, 1, v15
	v_add_nc_u32_e32 v18, 1, v16
	s_waitcnt lgkmcnt(0)
	v_cmp_lt_u16_sdwa s6, v14, v13 src0_sel:BYTE_0 src1_sel:BYTE_0
	v_cndmask_b32_e32 v19, v17, v15, vcc_lo
	v_cndmask_b32_e32 v20, v16, v18, vcc_lo
                                        ; implicit-def: $vgpr17
	v_cmp_ge_i32_e64 s4, v19, v6
	v_cmp_lt_i32_e64 s5, v20, v3
	s_or_b32 s4, s4, s6
	s_and_b32 s4, s5, s4
	s_xor_b32 s5, s4, -1
	s_and_saveexec_b32 s6, s5
	s_xor_b32 s5, exec_lo, s6
; %bb.39:
	v_add_nc_u32_e32 v17, v1, v19
	ds_read_u8 v17, v17 offset:1
; %bb.40:
	s_or_saveexec_b32 s5, s5
	v_mov_b32_e32 v18, v14
	s_xor_b32 exec_lo, exec_lo, s5
	s_cbranch_execz .LBB127_42
; %bb.41:
	s_waitcnt lgkmcnt(0)
	v_add_nc_u32_e32 v17, v1, v20
	ds_read_u8 v18, v17 offset:1
	v_mov_b32_e32 v17, v13
.LBB127_42:
	s_or_b32 exec_lo, exec_lo, s5
	v_add_nc_u32_e32 v21, 1, v19
	v_add_nc_u32_e32 v22, 1, v20
	s_waitcnt lgkmcnt(0)
	v_cmp_lt_u16_sdwa s7, v18, v17 src0_sel:BYTE_0 src1_sel:BYTE_0
	v_cndmask_b32_e64 v23, v21, v19, s4
	v_cndmask_b32_e64 v21, v20, v22, s4
                                        ; implicit-def: $vgpr22
	v_cmp_ge_i32_e64 s5, v23, v6
	v_cmp_lt_i32_e64 s6, v21, v3
	s_or_b32 s5, s5, s7
	s_and_b32 s5, s6, s5
	s_xor_b32 s6, s5, -1
	s_and_saveexec_b32 s7, s6
	s_xor_b32 s6, exec_lo, s7
; %bb.43:
	v_add_nc_u32_e32 v22, v1, v23
	ds_read_u8 v22, v22 offset:1
; %bb.44:
	s_or_saveexec_b32 s6, s6
	v_mov_b32_e32 v24, v18
	s_xor_b32 exec_lo, exec_lo, s6
	s_cbranch_execz .LBB127_46
; %bb.45:
	s_waitcnt lgkmcnt(0)
	v_add_nc_u32_e32 v22, v1, v21
	ds_read_u8 v24, v22 offset:1
	v_mov_b32_e32 v22, v17
.LBB127_46:
	s_or_b32 exec_lo, exec_lo, s6
	v_add_nc_u32_e32 v25, 1, v23
	v_and_b32_e32 v26, 0x60, v4
	v_add_nc_u32_e32 v27, 1, v21
	v_cndmask_b32_e64 v28, v23, v21, s5
	v_cndmask_b32_e64 v20, v19, v20, s4
	;; [unrolled: 1-line block ×3, first 2 shown]
	v_min_i32_e32 v19, v5, v26
	v_cndmask_b32_e64 v21, v21, v27, s5
	s_waitcnt lgkmcnt(0)
	v_cmp_lt_u16_sdwa s8, v24, v22 src0_sel:BYTE_0 src1_sel:BYTE_0
	v_cndmask_b32_e32 v15, v15, v16, vcc_lo
	v_cmp_ge_i32_e64 s6, v23, v6
	v_add_nc_u32_e32 v6, 16, v19
	v_cmp_lt_i32_e64 s7, v21, v3
	; wave barrier
	s_or_b32 s6, s6, s8
	v_min_i32_e32 v3, v5, v6
	s_and_b32 s6, s7, s6
	ds_write_b8 v2, v7
	ds_write_b8 v2, v8 offset:1
	ds_write_b8 v2, v9 offset:2
	;; [unrolled: 1-line block ×3, first 2 shown]
	v_cndmask_b32_e64 v6, v23, v21, s6
	v_add_nc_u32_e32 v8, v1, v15
	v_add_nc_u32_e32 v7, 16, v3
	v_and_b32_e32 v9, 28, v4
	v_add_nc_u32_e32 v21, v1, v6
	; wave barrier
	v_min_i32_e32 v10, v5, v7
	v_add_nc_u32_e32 v7, v1, v20
	v_add_nc_u32_e32 v20, v1, v28
	v_min_i32_e32 v15, v5, v9
	ds_read_u8 v6, v8
	ds_read_u8 v7, v7
	ds_read_u8 v8, v20
	ds_read_u8 v9, v21
	v_cndmask_b32_e64 v16, v22, v24, s6
	v_sub_nc_u32_e32 v22, v10, v3
	v_cndmask_b32_e64 v17, v17, v18, s5
	v_cndmask_b32_e64 v13, v13, v14, s4
	v_sub_nc_u32_e32 v18, v3, v19
	v_cndmask_b32_e32 v20, v11, v12, vcc_lo
	v_sub_nc_u32_e32 v14, v15, v22
	v_cmp_ge_i32_e32 vcc_lo, v15, v22
	s_mov_b32 s5, 0
	v_min_i32_e32 v12, v15, v18
	s_mov_b32 s4, exec_lo
	v_cndmask_b32_e32 v11, 0, v14, vcc_lo
	; wave barrier
	ds_write_b8 v2, v20
	ds_write_b8 v2, v13 offset:1
	ds_write_b8 v2, v17 offset:2
	;; [unrolled: 1-line block ×3, first 2 shown]
	; wave barrier
	v_cmpx_lt_i32_e64 v11, v12
	s_cbranch_execz .LBB127_50
; %bb.47:
	v_add_nc_u32_e32 v13, v1, v19
	v_add3_u32 v14, v1, v3, v15
	.p2align	6
.LBB127_48:                             ; =>This Inner Loop Header: Depth=1
	v_sub_nc_u32_e32 v16, v12, v11
	v_lshrrev_b32_e32 v16, 1, v16
	v_add_nc_u32_e32 v16, v16, v11
	v_add_nc_u32_e32 v17, v13, v16
	v_xad_u32 v18, v16, -1, v14
	v_add_nc_u32_e32 v20, 1, v16
	ds_read_u8 v17, v17
	ds_read_u8 v18, v18
	s_waitcnt lgkmcnt(0)
	v_cmp_lt_u16_e32 vcc_lo, v18, v17
	v_cndmask_b32_e32 v12, v12, v16, vcc_lo
	v_cndmask_b32_e32 v11, v20, v11, vcc_lo
	v_cmp_ge_i32_e32 vcc_lo, v11, v12
	s_or_b32 s5, vcc_lo, s5
	s_andn2_b32 exec_lo, exec_lo, s5
	s_cbranch_execnz .LBB127_48
; %bb.49:
	s_or_b32 exec_lo, exec_lo, s5
.LBB127_50:
	s_or_b32 exec_lo, exec_lo, s4
	v_add_nc_u32_e32 v12, v3, v15
	v_add_nc_u32_e32 v15, v11, v19
                                        ; implicit-def: $vgpr13
	v_sub_nc_u32_e32 v16, v12, v11
	v_add_nc_u32_e32 v14, v1, v15
	v_cmp_le_i32_e32 vcc_lo, v3, v15
	v_add_nc_u32_e32 v17, v1, v16
	v_cmp_gt_i32_e64 s4, v10, v16
	ds_read_u8 v11, v14
	ds_read_u8 v12, v17
	s_waitcnt lgkmcnt(0)
	v_cmp_lt_u16_sdwa s5, v12, v11 src0_sel:BYTE_0 src1_sel:BYTE_0
	s_or_b32 s5, vcc_lo, s5
	s_and_b32 vcc_lo, s4, s5
	s_xor_b32 s4, vcc_lo, -1
	s_and_saveexec_b32 s5, s4
	s_xor_b32 s4, exec_lo, s5
; %bb.51:
	ds_read_u8 v13, v14 offset:1
                                        ; implicit-def: $vgpr17
; %bb.52:
	s_or_saveexec_b32 s4, s4
	v_mov_b32_e32 v14, v12
	s_xor_b32 exec_lo, exec_lo, s4
	s_cbranch_execz .LBB127_54
; %bb.53:
	ds_read_u8 v14, v17 offset:1
	s_waitcnt lgkmcnt(1)
	v_mov_b32_e32 v13, v11
.LBB127_54:
	s_or_b32 exec_lo, exec_lo, s4
	v_add_nc_u32_e32 v17, 1, v15
	v_add_nc_u32_e32 v18, 1, v16
	s_waitcnt lgkmcnt(0)
	v_cmp_lt_u16_sdwa s6, v14, v13 src0_sel:BYTE_0 src1_sel:BYTE_0
	v_cndmask_b32_e32 v19, v17, v15, vcc_lo
	v_cndmask_b32_e32 v20, v16, v18, vcc_lo
                                        ; implicit-def: $vgpr17
	v_cmp_ge_i32_e64 s4, v19, v3
	v_cmp_lt_i32_e64 s5, v20, v10
	s_or_b32 s4, s4, s6
	s_and_b32 s4, s5, s4
	s_xor_b32 s5, s4, -1
	s_and_saveexec_b32 s6, s5
	s_xor_b32 s5, exec_lo, s6
; %bb.55:
	v_add_nc_u32_e32 v17, v1, v19
	ds_read_u8 v17, v17 offset:1
; %bb.56:
	s_or_saveexec_b32 s5, s5
	v_mov_b32_e32 v18, v14
	s_xor_b32 exec_lo, exec_lo, s5
	s_cbranch_execz .LBB127_58
; %bb.57:
	s_waitcnt lgkmcnt(0)
	v_add_nc_u32_e32 v17, v1, v20
	ds_read_u8 v18, v17 offset:1
	v_mov_b32_e32 v17, v13
.LBB127_58:
	s_or_b32 exec_lo, exec_lo, s5
	v_add_nc_u32_e32 v21, 1, v19
	v_add_nc_u32_e32 v22, 1, v20
	s_waitcnt lgkmcnt(0)
	v_cmp_lt_u16_sdwa s7, v18, v17 src0_sel:BYTE_0 src1_sel:BYTE_0
	v_cndmask_b32_e64 v23, v21, v19, s4
	v_cndmask_b32_e64 v21, v20, v22, s4
                                        ; implicit-def: $vgpr22
	v_cmp_ge_i32_e64 s5, v23, v3
	v_cmp_lt_i32_e64 s6, v21, v10
	s_or_b32 s5, s5, s7
	s_and_b32 s5, s6, s5
	s_xor_b32 s6, s5, -1
	s_and_saveexec_b32 s7, s6
	s_xor_b32 s6, exec_lo, s7
; %bb.59:
	v_add_nc_u32_e32 v22, v1, v23
	ds_read_u8 v22, v22 offset:1
; %bb.60:
	s_or_saveexec_b32 s6, s6
	v_mov_b32_e32 v24, v18
	s_xor_b32 exec_lo, exec_lo, s6
	s_cbranch_execz .LBB127_62
; %bb.61:
	s_waitcnt lgkmcnt(0)
	v_add_nc_u32_e32 v22, v1, v21
	ds_read_u8 v24, v22 offset:1
	v_mov_b32_e32 v22, v17
.LBB127_62:
	s_or_b32 exec_lo, exec_lo, s6
	v_add_nc_u32_e32 v25, 1, v23
	v_and_b32_e32 v26, 64, v4
	v_add_nc_u32_e32 v27, 1, v21
	v_cndmask_b32_e64 v28, v23, v21, s5
	v_cndmask_b32_e64 v20, v19, v20, s4
	;; [unrolled: 1-line block ×3, first 2 shown]
	v_min_i32_e32 v19, v5, v26
	v_cndmask_b32_e64 v21, v21, v27, s5
	s_waitcnt lgkmcnt(0)
	v_cmp_lt_u16_sdwa s8, v24, v22 src0_sel:BYTE_0 src1_sel:BYTE_0
	v_cndmask_b32_e32 v15, v15, v16, vcc_lo
	v_cmp_ge_i32_e64 s6, v23, v3
	v_add_nc_u32_e32 v3, 32, v19
	v_cmp_lt_i32_e64 s7, v21, v10
	; wave barrier
	s_or_b32 s6, s6, s8
	v_min_i32_e32 v3, v5, v3
	s_and_b32 s6, s7, s6
	ds_write_b8 v2, v6
	ds_write_b8 v2, v7 offset:1
	ds_write_b8 v2, v8 offset:2
	;; [unrolled: 1-line block ×3, first 2 shown]
	v_cndmask_b32_e64 v10, v23, v21, s6
	v_add_nc_u32_e32 v7, v1, v15
	v_add_nc_u32_e32 v6, 32, v3
	v_and_b32_e32 v8, 60, v4
	v_add_nc_u32_e32 v21, v1, v10
	; wave barrier
	v_min_i32_e32 v9, v5, v6
	v_add_nc_u32_e32 v6, v1, v20
	v_add_nc_u32_e32 v20, v1, v28
	v_min_i32_e32 v15, v5, v8
	ds_read_u8 v10, v7
	ds_read_u8 v7, v6
	;; [unrolled: 1-line block ×4, first 2 shown]
	v_cndmask_b32_e64 v16, v22, v24, s6
	v_sub_nc_u32_e32 v22, v9, v3
	v_cndmask_b32_e64 v17, v17, v18, s5
	v_cndmask_b32_e64 v13, v13, v14, s4
	v_sub_nc_u32_e32 v18, v3, v19
	v_cndmask_b32_e32 v20, v11, v12, vcc_lo
	v_sub_nc_u32_e32 v14, v15, v22
	v_cmp_ge_i32_e32 vcc_lo, v15, v22
	s_mov_b32 s5, 0
	v_min_i32_e32 v12, v15, v18
	s_mov_b32 s4, exec_lo
	v_cndmask_b32_e32 v11, 0, v14, vcc_lo
	; wave barrier
	ds_write_b8 v2, v20
	ds_write_b8 v2, v13 offset:1
	ds_write_b8 v2, v17 offset:2
	;; [unrolled: 1-line block ×3, first 2 shown]
	; wave barrier
	v_cmpx_lt_i32_e64 v11, v12
	s_cbranch_execz .LBB127_66
; %bb.63:
	v_add_nc_u32_e32 v13, v1, v19
	v_add3_u32 v14, v1, v3, v15
	.p2align	6
.LBB127_64:                             ; =>This Inner Loop Header: Depth=1
	v_sub_nc_u32_e32 v16, v12, v11
	v_lshrrev_b32_e32 v16, 1, v16
	v_add_nc_u32_e32 v16, v16, v11
	v_add_nc_u32_e32 v17, v13, v16
	v_xad_u32 v18, v16, -1, v14
	v_add_nc_u32_e32 v20, 1, v16
	ds_read_u8 v17, v17
	ds_read_u8 v18, v18
	s_waitcnt lgkmcnt(0)
	v_cmp_lt_u16_e32 vcc_lo, v18, v17
	v_cndmask_b32_e32 v12, v12, v16, vcc_lo
	v_cndmask_b32_e32 v11, v20, v11, vcc_lo
	v_cmp_ge_i32_e32 vcc_lo, v11, v12
	s_or_b32 s5, vcc_lo, s5
	s_andn2_b32 exec_lo, exec_lo, s5
	s_cbranch_execnz .LBB127_64
; %bb.65:
	s_or_b32 exec_lo, exec_lo, s5
.LBB127_66:
	s_or_b32 exec_lo, exec_lo, s4
	v_add_nc_u32_e32 v12, v3, v15
	v_add_nc_u32_e32 v16, v11, v19
                                        ; implicit-def: $vgpr13
	v_sub_nc_u32_e32 v17, v12, v11
	v_add_nc_u32_e32 v14, v1, v16
	v_cmp_le_i32_e32 vcc_lo, v3, v16
	v_add_nc_u32_e32 v15, v1, v17
	v_cmp_gt_i32_e64 s4, v9, v17
	ds_read_u8 v11, v14
	ds_read_u8 v12, v15
	s_waitcnt lgkmcnt(0)
	v_cmp_lt_u16_sdwa s5, v12, v11 src0_sel:BYTE_0 src1_sel:BYTE_0
	s_or_b32 s5, vcc_lo, s5
	s_and_b32 vcc_lo, s4, s5
	s_xor_b32 s4, vcc_lo, -1
	s_and_saveexec_b32 s5, s4
	s_xor_b32 s4, exec_lo, s5
; %bb.67:
	ds_read_u8 v13, v14 offset:1
                                        ; implicit-def: $vgpr15
; %bb.68:
	s_or_saveexec_b32 s4, s4
	v_mov_b32_e32 v14, v12
	s_xor_b32 exec_lo, exec_lo, s4
	s_cbranch_execz .LBB127_70
; %bb.69:
	ds_read_u8 v14, v15 offset:1
	s_waitcnt lgkmcnt(1)
	v_mov_b32_e32 v13, v11
.LBB127_70:
	s_or_b32 exec_lo, exec_lo, s4
	v_add_nc_u32_e32 v15, 1, v16
	v_add_nc_u32_e32 v18, 1, v17
	s_waitcnt lgkmcnt(0)
	v_cmp_lt_u16_sdwa s6, v14, v13 src0_sel:BYTE_0 src1_sel:BYTE_0
	v_cndmask_b32_e32 v19, v15, v16, vcc_lo
	v_cndmask_b32_e32 v20, v17, v18, vcc_lo
                                        ; implicit-def: $vgpr15
	v_cmp_ge_i32_e64 s4, v19, v3
	v_cmp_lt_i32_e64 s5, v20, v9
	s_or_b32 s4, s4, s6
	s_and_b32 s4, s5, s4
	s_xor_b32 s5, s4, -1
	s_and_saveexec_b32 s6, s5
	s_xor_b32 s5, exec_lo, s6
; %bb.71:
	v_add_nc_u32_e32 v15, v1, v19
	ds_read_u8 v15, v15 offset:1
; %bb.72:
	s_or_saveexec_b32 s5, s5
	v_mov_b32_e32 v18, v14
	s_xor_b32 exec_lo, exec_lo, s5
	s_cbranch_execz .LBB127_74
; %bb.73:
	s_waitcnt lgkmcnt(0)
	v_add_nc_u32_e32 v15, v1, v20
	ds_read_u8 v18, v15 offset:1
	v_mov_b32_e32 v15, v13
.LBB127_74:
	s_or_b32 exec_lo, exec_lo, s5
	v_add_nc_u32_e32 v21, 1, v19
	v_add_nc_u32_e32 v22, 1, v20
	s_waitcnt lgkmcnt(0)
	v_cmp_lt_u16_sdwa s7, v18, v15 src0_sel:BYTE_0 src1_sel:BYTE_0
	v_cndmask_b32_e64 v24, v21, v19, s4
	v_cndmask_b32_e64 v21, v20, v22, s4
                                        ; implicit-def: $vgpr22
	v_cmp_ge_i32_e64 s5, v24, v3
	v_cmp_lt_i32_e64 s6, v21, v9
	s_or_b32 s5, s5, s7
	s_and_b32 s5, s6, s5
	s_xor_b32 s6, s5, -1
	s_and_saveexec_b32 s7, s6
	s_xor_b32 s6, exec_lo, s7
; %bb.75:
	v_add_nc_u32_e32 v22, v1, v24
	ds_read_u8 v22, v22 offset:1
; %bb.76:
	s_or_saveexec_b32 s6, s6
	v_mov_b32_e32 v23, v18
	s_xor_b32 exec_lo, exec_lo, s6
	s_cbranch_execz .LBB127_78
; %bb.77:
	s_waitcnt lgkmcnt(0)
	v_add_nc_u32_e32 v22, v1, v21
	ds_read_u8 v23, v22 offset:1
	v_mov_b32_e32 v22, v15
.LBB127_78:
	s_or_b32 exec_lo, exec_lo, s6
	v_add_nc_u32_e32 v25, 1, v24
	v_add_nc_u32_e32 v26, 1, v21
	v_cndmask_b32_e64 v19, v19, v20, s4
	v_cndmask_b32_e32 v17, v16, v17, vcc_lo
	v_min_i32_e32 v16, 0, v5
	v_cndmask_b32_e64 v20, v25, v24, s5
	v_cndmask_b32_e64 v27, v24, v21, s5
	;; [unrolled: 1-line block ×3, first 2 shown]
	s_waitcnt lgkmcnt(0)
	v_cmp_lt_u16_sdwa s8, v23, v22 src0_sel:BYTE_0 src1_sel:BYTE_0
	v_cmp_ge_i32_e64 s6, v20, v3
	v_add_nc_u32_e32 v3, 64, v16
	v_cmp_lt_i32_e64 s7, v21, v9
	; wave barrier
	ds_write_b8 v2, v10
	s_or_b32 s6, s6, s8
	v_min_i32_e32 v9, v5, v3
	s_and_b32 s6, s7, s6
	ds_write_b8 v2, v7 offset:1
	ds_write_b8 v2, v8 offset:2
	v_cndmask_b32_e64 v10, v20, v21, s6
	ds_write_b8 v2, v6 offset:3
	v_add_nc_u32_e32 v3, 64, v9
	v_add_nc_u32_e32 v6, v1, v17
	;; [unrolled: 1-line block ×5, first 2 shown]
	; wave barrier
	v_min_i32_e32 v3, v5, v3
	v_min_i32_e32 v10, v5, v4
	ds_read_u8 v7, v6
	ds_read_u8 v8, v8
	;; [unrolled: 1-line block ×4, first 2 shown]
	v_cndmask_b32_e64 v15, v15, v18, s5
	v_cndmask_b32_e64 v13, v13, v14, s4
	v_sub_nc_u32_e32 v20, v3, v9
	v_sub_nc_u32_e32 v17, v9, v16
	v_cndmask_b32_e32 v18, v11, v12, vcc_lo
	v_cndmask_b32_e64 v22, v22, v23, s6
	s_mov_b32 s5, 0
	v_sub_nc_u32_e32 v14, v10, v20
	v_cmp_ge_i32_e32 vcc_lo, v10, v20
	v_min_i32_e32 v12, v10, v17
	s_mov_b32 s4, exec_lo
	; wave barrier
	v_cndmask_b32_e32 v11, 0, v14, vcc_lo
	ds_write_b8 v2, v18
	ds_write_b8 v2, v13 offset:1
	ds_write_b8 v2, v15 offset:2
	;; [unrolled: 1-line block ×3, first 2 shown]
	; wave barrier
	v_cmpx_lt_i32_e64 v11, v12
	s_cbranch_execz .LBB127_82
; %bb.79:
	v_add_nc_u32_e32 v13, v1, v16
	v_add3_u32 v14, v1, v9, v10
	.p2align	6
.LBB127_80:                             ; =>This Inner Loop Header: Depth=1
	v_sub_nc_u32_e32 v15, v12, v11
	v_lshrrev_b32_e32 v15, 1, v15
	v_add_nc_u32_e32 v15, v15, v11
	v_add_nc_u32_e32 v17, v13, v15
	v_xad_u32 v18, v15, -1, v14
	v_add_nc_u32_e32 v19, 1, v15
	ds_read_u8 v17, v17
	ds_read_u8 v18, v18
	s_waitcnt lgkmcnt(0)
	v_cmp_lt_u16_e32 vcc_lo, v18, v17
	v_cndmask_b32_e32 v12, v12, v15, vcc_lo
	v_cndmask_b32_e32 v11, v19, v11, vcc_lo
	v_cmp_ge_i32_e32 vcc_lo, v11, v12
	s_or_b32 s5, vcc_lo, s5
	s_andn2_b32 exec_lo, exec_lo, s5
	s_cbranch_execnz .LBB127_80
; %bb.81:
	s_or_b32 exec_lo, exec_lo, s5
.LBB127_82:
	s_or_b32 exec_lo, exec_lo, s4
	v_add_nc_u32_e32 v10, v9, v10
	v_add_nc_u32_e32 v14, v11, v16
                                        ; implicit-def: $vgpr12
	v_sub_nc_u32_e32 v15, v10, v11
	v_add_nc_u32_e32 v13, v1, v14
	v_cmp_le_i32_e32 vcc_lo, v9, v14
	v_add_nc_u32_e32 v16, v1, v15
	v_cmp_gt_i32_e64 s4, v3, v15
	ds_read_u8 v10, v13
	ds_read_u8 v11, v16
	s_waitcnt lgkmcnt(0)
	v_cmp_lt_u16_sdwa s5, v11, v10 src0_sel:BYTE_0 src1_sel:BYTE_0
	s_or_b32 s5, vcc_lo, s5
	s_and_b32 s4, s4, s5
	s_xor_b32 s5, s4, -1
	s_and_saveexec_b32 s6, s5
	s_xor_b32 s5, exec_lo, s6
; %bb.83:
	ds_read_u8 v12, v13 offset:1
                                        ; implicit-def: $vgpr16
; %bb.84:
	s_or_saveexec_b32 s5, s5
	v_mov_b32_e32 v13, v11
	s_xor_b32 exec_lo, exec_lo, s5
	s_cbranch_execz .LBB127_86
; %bb.85:
	ds_read_u8 v13, v16 offset:1
	s_waitcnt lgkmcnt(1)
	v_mov_b32_e32 v12, v10
.LBB127_86:
	s_or_b32 exec_lo, exec_lo, s5
	v_add_nc_u32_e32 v16, 1, v14
	v_add_nc_u32_e32 v17, 1, v15
	s_waitcnt lgkmcnt(0)
	v_cmp_lt_u16_sdwa s6, v13, v12 src0_sel:BYTE_0 src1_sel:BYTE_0
                                        ; implicit-def: $vgpr18
	v_cndmask_b32_e64 v16, v16, v14, s4
	v_cndmask_b32_e64 v17, v15, v17, s4
	v_cmp_ge_i32_e32 vcc_lo, v16, v9
	v_cmp_lt_i32_e64 s5, v17, v3
	s_or_b32 s6, vcc_lo, s6
	s_and_b32 vcc_lo, s5, s6
	s_xor_b32 s5, vcc_lo, -1
	s_and_saveexec_b32 s6, s5
	s_xor_b32 s5, exec_lo, s6
; %bb.87:
	v_add_nc_u32_e32 v18, v1, v16
	ds_read_u8 v18, v18 offset:1
; %bb.88:
	s_or_saveexec_b32 s5, s5
	v_mov_b32_e32 v19, v13
	s_xor_b32 exec_lo, exec_lo, s5
	s_cbranch_execz .LBB127_90
; %bb.89:
	s_waitcnt lgkmcnt(0)
	v_add_nc_u32_e32 v18, v1, v17
	ds_read_u8 v19, v18 offset:1
	v_mov_b32_e32 v18, v12
.LBB127_90:
	s_or_b32 exec_lo, exec_lo, s5
	v_add_nc_u32_e32 v20, 1, v16
	v_add_nc_u32_e32 v21, 1, v17
	s_waitcnt lgkmcnt(0)
	v_cmp_lt_u16_sdwa s7, v19, v18 src0_sel:BYTE_0 src1_sel:BYTE_0
                                        ; implicit-def: $vgpr22
	v_cndmask_b32_e32 v25, v20, v16, vcc_lo
	v_cndmask_b32_e32 v20, v17, v21, vcc_lo
                                        ; implicit-def: $vgpr21
	v_cmp_ge_i32_e64 s5, v25, v9
	v_cmp_lt_i32_e64 s6, v20, v3
	s_or_b32 s5, s5, s7
	s_and_b32 s5, s6, s5
	s_xor_b32 s6, s5, -1
	s_and_saveexec_b32 s7, s6
	s_xor_b32 s6, exec_lo, s7
; %bb.91:
	v_add_nc_u32_e32 v21, v1, v25
	ds_read_u8 v22, v21 offset:1
	v_add_nc_u32_e32 v21, 1, v25
; %bb.92:
	s_or_saveexec_b32 s6, s6
	v_mov_b32_e32 v23, v25
	v_mov_b32_e32 v24, v19
	s_xor_b32 exec_lo, exec_lo, s6
	s_cbranch_execz .LBB127_94
; %bb.93:
	v_add_nc_u32_e32 v21, v1, v20
	s_waitcnt lgkmcnt(0)
	v_add_nc_u32_e32 v22, 1, v20
	v_mov_b32_e32 v23, v20
	ds_read_u8 v24, v21 offset:1
	v_mov_b32_e32 v21, v25
	v_mov_b32_e32 v20, v22
	;; [unrolled: 1-line block ×3, first 2 shown]
.LBB127_94:
	s_or_b32 exec_lo, exec_lo, s6
	v_cndmask_b32_e64 v14, v14, v15, s4
	; wave barrier
	ds_write_b8 v2, v7
	ds_write_b8 v2, v8 offset:1
	ds_write_b8 v2, v5 offset:2
	;; [unrolled: 1-line block ×3, first 2 shown]
	v_add_nc_u32_e32 v7, v1, v14
	; wave barrier
	v_cmp_ge_i32_e64 s6, v21, v9
	s_waitcnt lgkmcnt(4)
	v_cmp_lt_u16_sdwa s8, v24, v22 src0_sel:BYTE_0 src1_sel:BYTE_0
	ds_read_u8 v2, v7
	v_cmp_lt_i32_e64 s7, v20, v3
	v_cndmask_b32_e32 v3, v16, v17, vcc_lo
	v_cndmask_b32_e64 v7, v10, v11, s4
	s_or_b32 s6, s6, s8
	v_cndmask_b32_e64 v8, v18, v19, s5
	s_and_b32 s6, s7, s6
	v_add_nc_u32_e32 v3, v1, v3
	v_cndmask_b32_e64 v5, v22, v24, s6
	v_cndmask_b32_e64 v6, v21, v20, s6
	v_add_nc_u32_e32 v9, v1, v23
	v_add_co_u32 v0, s4, s10, v0
	v_lshlrev_b16 v5, 8, v5
	v_add_nc_u32_e32 v1, v1, v6
	v_cndmask_b32_sdwa v6, v12, v13, vcc_lo dst_sel:BYTE_1 dst_unused:UNUSED_PAD src0_sel:DWORD src1_sel:DWORD
	ds_read_u8 v3, v3
	ds_read_u8 v9, v9
	;; [unrolled: 1-line block ×3, first 2 shown]
	v_or_b32_sdwa v5, v8, v5 dst_sel:WORD_1 dst_unused:UNUSED_PAD src0_sel:BYTE_0 src1_sel:DWORD
	v_add_co_u32 v0, vcc_lo, v0, v4
	s_waitcnt lgkmcnt(3)
	v_add_nc_u16 v2, v2, v7
	v_or_b32_sdwa v7, v7, v6 dst_sel:DWORD dst_unused:UNUSED_PAD src0_sel:BYTE_0 src1_sel:DWORD
	v_or_b32_sdwa v2, v2, v6 dst_sel:DWORD dst_unused:UNUSED_PAD src0_sel:BYTE_0 src1_sel:DWORD
	v_or_b32_sdwa v6, v7, v5 dst_sel:DWORD dst_unused:UNUSED_PAD src0_sel:WORD_0 src1_sel:DWORD
	v_or_b32_sdwa v2, v2, v5 dst_sel:DWORD dst_unused:UNUSED_PAD src0_sel:WORD_0 src1_sel:DWORD
	v_cndmask_b32_e64 v2, v6, v2, s0
	v_lshrrev_b32_e32 v5, 8, v2
	s_waitcnt lgkmcnt(2)
	v_add_nc_u16 v3, v5, v3
	v_mov_b32_e32 v5, 0xff
	v_lshlrev_b16 v3, 8, v3
	v_or_b32_sdwa v3, v2, v3 dst_sel:DWORD dst_unused:UNUSED_PAD src0_sel:BYTE_0 src1_sel:DWORD
	v_and_b32_e32 v3, 0xffff, v3
	v_and_or_b32 v3, 0xffff0000, v2, v3
	v_cndmask_b32_e64 v2, v2, v3, s1
	v_lshrrev_b32_e32 v3, 16, v2
	s_waitcnt lgkmcnt(1)
	v_add_nc_u16 v3, v3, v9
	v_perm_b32 v3, v3, v2, 0xc0c0304
	v_lshlrev_b32_e32 v3, 16, v3
	v_and_or_b32 v3, 0xffff, v2, v3
	v_cndmask_b32_e64 v2, v2, v3, s2
	v_lshrrev_b32_e32 v3, 24, v2
	s_waitcnt lgkmcnt(0)
	v_add_nc_u16 v1, v3, v1
	v_and_b32_sdwa v3, v2, v5 dst_sel:DWORD dst_unused:UNUSED_PAD src0_sel:WORD_1 src1_sel:DWORD
	v_lshlrev_b16 v1, 8, v1
	v_or_b32_sdwa v1, v3, v1 dst_sel:WORD_1 dst_unused:UNUSED_PAD src0_sel:DWORD src1_sel:DWORD
	v_add_co_ci_u32_e64 v3, null, s11, 0, s4
	v_and_or_b32 v1, 0xffff, v2, v1
	v_cndmask_b32_e64 v2, v2, v1, s3
	v_add_co_ci_u32_e64 v1, null, 0, v3, vcc_lo
	s_and_saveexec_b32 s4, s0
	s_cbranch_execnz .LBB127_99
; %bb.95:
	s_or_b32 exec_lo, exec_lo, s4
	s_and_saveexec_b32 s0, s1
	s_cbranch_execnz .LBB127_100
.LBB127_96:
	s_or_b32 exec_lo, exec_lo, s0
	s_and_saveexec_b32 s0, s2
	s_cbranch_execnz .LBB127_101
.LBB127_97:
	s_or_b32 exec_lo, exec_lo, s0
	s_and_saveexec_b32 s0, s3
	s_cbranch_execnz .LBB127_102
.LBB127_98:
	s_endpgm
.LBB127_99:
	global_store_byte v[0:1], v2, off
	s_or_b32 exec_lo, exec_lo, s4
	s_and_saveexec_b32 s0, s1
	s_cbranch_execz .LBB127_96
.LBB127_100:
	v_lshrrev_b32_e32 v3, 8, v2
	global_store_byte v[0:1], v3, off offset:1
	s_or_b32 exec_lo, exec_lo, s0
	s_and_saveexec_b32 s0, s2
	s_cbranch_execz .LBB127_97
.LBB127_101:
	global_store_byte_d16_hi v[0:1], v2, off offset:2
	s_or_b32 exec_lo, exec_lo, s0
	s_and_saveexec_b32 s0, s3
	s_cbranch_execz .LBB127_98
.LBB127_102:
	v_lshrrev_b32_e32 v2, 24, v2
	global_store_byte v[0:1], v2, off offset:3
	s_endpgm
	.section	.rodata,"a",@progbits
	.p2align	6, 0x0
	.amdhsa_kernel _Z20sort_pairs_segmentedILj256ELj32ELj4EhN10test_utils4lessEEvPKT2_PS2_PKjT3_
		.amdhsa_group_segment_fixed_size 1032
		.amdhsa_private_segment_fixed_size 0
		.amdhsa_kernarg_size 28
		.amdhsa_user_sgpr_count 6
		.amdhsa_user_sgpr_private_segment_buffer 1
		.amdhsa_user_sgpr_dispatch_ptr 0
		.amdhsa_user_sgpr_queue_ptr 0
		.amdhsa_user_sgpr_kernarg_segment_ptr 1
		.amdhsa_user_sgpr_dispatch_id 0
		.amdhsa_user_sgpr_flat_scratch_init 0
		.amdhsa_user_sgpr_private_segment_size 0
		.amdhsa_wavefront_size32 1
		.amdhsa_uses_dynamic_stack 0
		.amdhsa_system_sgpr_private_segment_wavefront_offset 0
		.amdhsa_system_sgpr_workgroup_id_x 1
		.amdhsa_system_sgpr_workgroup_id_y 0
		.amdhsa_system_sgpr_workgroup_id_z 0
		.amdhsa_system_sgpr_workgroup_info 0
		.amdhsa_system_vgpr_workitem_id 0
		.amdhsa_next_free_vgpr 29
		.amdhsa_next_free_sgpr 12
		.amdhsa_reserve_vcc 1
		.amdhsa_reserve_flat_scratch 0
		.amdhsa_float_round_mode_32 0
		.amdhsa_float_round_mode_16_64 0
		.amdhsa_float_denorm_mode_32 3
		.amdhsa_float_denorm_mode_16_64 3
		.amdhsa_dx10_clamp 1
		.amdhsa_ieee_mode 1
		.amdhsa_fp16_overflow 0
		.amdhsa_workgroup_processor_mode 1
		.amdhsa_memory_ordered 1
		.amdhsa_forward_progress 1
		.amdhsa_shared_vgpr_count 0
		.amdhsa_exception_fp_ieee_invalid_op 0
		.amdhsa_exception_fp_denorm_src 0
		.amdhsa_exception_fp_ieee_div_zero 0
		.amdhsa_exception_fp_ieee_overflow 0
		.amdhsa_exception_fp_ieee_underflow 0
		.amdhsa_exception_fp_ieee_inexact 0
		.amdhsa_exception_int_div_zero 0
	.end_amdhsa_kernel
	.section	.text._Z20sort_pairs_segmentedILj256ELj32ELj4EhN10test_utils4lessEEvPKT2_PS2_PKjT3_,"axG",@progbits,_Z20sort_pairs_segmentedILj256ELj32ELj4EhN10test_utils4lessEEvPKT2_PS2_PKjT3_,comdat
.Lfunc_end127:
	.size	_Z20sort_pairs_segmentedILj256ELj32ELj4EhN10test_utils4lessEEvPKT2_PS2_PKjT3_, .Lfunc_end127-_Z20sort_pairs_segmentedILj256ELj32ELj4EhN10test_utils4lessEEvPKT2_PS2_PKjT3_
                                        ; -- End function
	.set _Z20sort_pairs_segmentedILj256ELj32ELj4EhN10test_utils4lessEEvPKT2_PS2_PKjT3_.num_vgpr, 29
	.set _Z20sort_pairs_segmentedILj256ELj32ELj4EhN10test_utils4lessEEvPKT2_PS2_PKjT3_.num_agpr, 0
	.set _Z20sort_pairs_segmentedILj256ELj32ELj4EhN10test_utils4lessEEvPKT2_PS2_PKjT3_.numbered_sgpr, 12
	.set _Z20sort_pairs_segmentedILj256ELj32ELj4EhN10test_utils4lessEEvPKT2_PS2_PKjT3_.num_named_barrier, 0
	.set _Z20sort_pairs_segmentedILj256ELj32ELj4EhN10test_utils4lessEEvPKT2_PS2_PKjT3_.private_seg_size, 0
	.set _Z20sort_pairs_segmentedILj256ELj32ELj4EhN10test_utils4lessEEvPKT2_PS2_PKjT3_.uses_vcc, 1
	.set _Z20sort_pairs_segmentedILj256ELj32ELj4EhN10test_utils4lessEEvPKT2_PS2_PKjT3_.uses_flat_scratch, 0
	.set _Z20sort_pairs_segmentedILj256ELj32ELj4EhN10test_utils4lessEEvPKT2_PS2_PKjT3_.has_dyn_sized_stack, 0
	.set _Z20sort_pairs_segmentedILj256ELj32ELj4EhN10test_utils4lessEEvPKT2_PS2_PKjT3_.has_recursion, 0
	.set _Z20sort_pairs_segmentedILj256ELj32ELj4EhN10test_utils4lessEEvPKT2_PS2_PKjT3_.has_indirect_call, 0
	.section	.AMDGPU.csdata,"",@progbits
; Kernel info:
; codeLenInByte = 5396
; TotalNumSgprs: 14
; NumVgprs: 29
; ScratchSize: 0
; MemoryBound: 0
; FloatMode: 240
; IeeeMode: 1
; LDSByteSize: 1032 bytes/workgroup (compile time only)
; SGPRBlocks: 0
; VGPRBlocks: 3
; NumSGPRsForWavesPerEU: 14
; NumVGPRsForWavesPerEU: 29
; Occupancy: 16
; WaveLimiterHint : 0
; COMPUTE_PGM_RSRC2:SCRATCH_EN: 0
; COMPUTE_PGM_RSRC2:USER_SGPR: 6
; COMPUTE_PGM_RSRC2:TRAP_HANDLER: 0
; COMPUTE_PGM_RSRC2:TGID_X_EN: 1
; COMPUTE_PGM_RSRC2:TGID_Y_EN: 0
; COMPUTE_PGM_RSRC2:TGID_Z_EN: 0
; COMPUTE_PGM_RSRC2:TIDIG_COMP_CNT: 0
	.section	.text._Z9sort_keysILj256ELj32ELj8EhN10test_utils4lessEEvPKT2_PS2_T3_,"axG",@progbits,_Z9sort_keysILj256ELj32ELj8EhN10test_utils4lessEEvPKT2_PS2_T3_,comdat
	.protected	_Z9sort_keysILj256ELj32ELj8EhN10test_utils4lessEEvPKT2_PS2_T3_ ; -- Begin function _Z9sort_keysILj256ELj32ELj8EhN10test_utils4lessEEvPKT2_PS2_T3_
	.globl	_Z9sort_keysILj256ELj32ELj8EhN10test_utils4lessEEvPKT2_PS2_T3_
	.p2align	8
	.type	_Z9sort_keysILj256ELj32ELj8EhN10test_utils4lessEEvPKT2_PS2_T3_,@function
_Z9sort_keysILj256ELj32ELj8EhN10test_utils4lessEEvPKT2_PS2_T3_: ; @_Z9sort_keysILj256ELj32ELj8EhN10test_utils4lessEEvPKT2_PS2_T3_
; %bb.0:
	s_load_dwordx4 s[8:11], s[4:5], 0x0
	s_lshl_b32 s7, s6, 11
	v_lshlrev_b32_e32 v1, 3, v0
	v_mov_b32_e32 v8, 0xffffff00
	v_lshrrev_b32_e32 v0, 5, v0
	s_waitcnt lgkmcnt(0)
	s_add_u32 s0, s8, s7
	s_addc_u32 s1, s9, 0
	global_load_dwordx2 v[2:3], v1, s[0:1]
	; wave barrier
	s_waitcnt vmcnt(0)
	v_lshrrev_b32_e32 v4, 8, v2
	v_perm_b32 v5, 0, v2, 0xc0c0001
	v_and_b32_e32 v6, 0xff, v2
	v_lshrrev_b32_e32 v9, 8, v3
	v_and_b32_e32 v11, 0xff, v3
	v_and_b32_e32 v4, 0xff, v4
	v_and_or_b32 v5, 0xffff0000, v2, v5
	v_perm_b32 v12, v3, v3, 0x7060405
	v_and_b32_e32 v9, 0xff, v9
	v_cmp_lt_u16_e32 vcc_lo, v4, v6
	v_cndmask_b32_e32 v2, v2, v5, vcc_lo
	v_lshrrev_b32_e32 v5, 16, v2
	v_lshrrev_b32_e32 v10, 24, v2
	v_perm_b32 v7, 0, v5, 0xc0c0001
	v_and_b32_e32 v5, 0xff, v5
	v_lshlrev_b32_e32 v7, 16, v7
	v_cmp_lt_u16_e32 vcc_lo, v10, v5
	v_min_u16 v13, v10, v5
	v_max_u16 v5, v10, v5
	v_and_or_b32 v7, 0xffff, v2, v7
	v_lshlrev_b16 v14, 8, v13
	v_cndmask_b32_e32 v2, v2, v7, vcc_lo
	v_cmp_lt_u16_e32 vcc_lo, v9, v11
	v_mov_b32_e32 v7, 0xff
	v_and_b32_sdwa v15, v2, v8 dst_sel:DWORD dst_unused:UNUSED_PAD src0_sel:WORD_1 src1_sel:DWORD
	v_cndmask_b32_e32 v3, v3, v12, vcc_lo
	v_max_u16 v12, v4, v6
	v_or_b32_sdwa v14, v2, v14 dst_sel:DWORD dst_unused:UNUSED_PAD src0_sel:BYTE_0 src1_sel:DWORD
	v_min_u16 v4, v4, v6
	v_lshrrev_b32_e32 v16, 24, v3
	v_and_b32_sdwa v17, v3, v7 dst_sel:DWORD dst_unused:UNUSED_PAD src0_sel:WORD_1 src1_sel:DWORD
	v_perm_b32 v18, v3, v3, 0x6070504
	v_or_b32_sdwa v15, v12, v15 dst_sel:WORD_1 dst_unused:UNUSED_PAD src0_sel:DWORD src1_sel:DWORD
	v_min_u16 v20, v13, v12
	v_cmp_lt_u16_e32 vcc_lo, v16, v17
	v_or_b32_sdwa v14, v14, v15 dst_sel:DWORD dst_unused:UNUSED_PAD src0_sel:WORD_0 src1_sel:DWORD
	v_min_u16 v15, v9, v11
	v_max_u16 v9, v9, v11
	v_cndmask_b32_e32 v3, v3, v18, vcc_lo
	v_cmp_lt_u16_e32 vcc_lo, v13, v12
	v_lshlrev_b16 v11, 8, v4
	v_lshlrev_b16 v6, 8, v15
	v_min_u16 v18, v16, v17
	v_and_b32_e32 v10, 0xffffff00, v3
	v_cndmask_b32_e32 v2, v2, v14, vcc_lo
	v_cmp_lt_u16_e32 vcc_lo, v15, v5
	v_or_b32_e32 v11, v20, v11
	v_max_u16 v12, v13, v12
	v_or_b32_e32 v10, v5, v10
	v_and_b32_sdwa v14, v2, v7 dst_sel:DWORD dst_unused:UNUSED_PAD src0_sel:WORD_1 src1_sel:DWORD
	v_max_u16 v21, v15, v5
	v_min_u16 v5, v15, v5
	v_max_u16 v19, v18, v9
	v_and_b32_e32 v10, 0xffff, v10
	v_or_b32_sdwa v6, v14, v6 dst_sel:WORD_1 dst_unused:UNUSED_PAD src0_sel:DWORD src1_sel:DWORD
	v_lshlrev_b16 v14, 8, v18
	v_lshlrev_b16 v22, 8, v21
	v_cmp_lt_u16_e64 s0, v18, v9
	v_and_or_b32 v10, 0xffff0000, v3, v10
	v_and_or_b32 v6, 0xffff, v2, v6
	v_cndmask_b32_e32 v3, v3, v10, vcc_lo
	v_cndmask_b32_e32 v2, v2, v6, vcc_lo
	v_and_b32_e32 v10, 0xffff, v11
	v_lshlrev_b16 v6, 8, v12
	v_min_u16 v11, v18, v9
	v_and_b32_sdwa v15, v3, v8 dst_sel:DWORD dst_unused:UNUSED_PAD src0_sel:WORD_1 src1_sel:DWORD
	v_or_b32_sdwa v14, v3, v14 dst_sel:DWORD dst_unused:UNUSED_PAD src0_sel:BYTE_0 src1_sel:DWORD
	v_and_or_b32 v10, 0xffff0000, v2, v10
	v_cmp_lt_u16_e32 vcc_lo, v13, v4
	v_or_b32_sdwa v6, v5, v6 dst_sel:WORD_1 dst_unused:UNUSED_PAD src0_sel:DWORD src1_sel:DWORD
	v_or_b32_sdwa v15, v9, v15 dst_sel:WORD_1 dst_unused:UNUSED_PAD src0_sel:DWORD src1_sel:DWORD
	v_or_b32_e32 v22, v11, v22
	v_cndmask_b32_e32 v2, v2, v10, vcc_lo
	v_max_u16 v10, v16, v17
	v_or_b32_sdwa v13, v14, v15 dst_sel:DWORD dst_unused:UNUSED_PAD src0_sel:WORD_0 src1_sel:DWORD
	v_lshlrev_b16 v14, 8, v19
	v_and_b32_e32 v15, 0xffff, v22
	v_and_or_b32 v6, 0xffff, v2, v6
	v_cndmask_b32_e32 v16, v20, v4, vcc_lo
	v_cndmask_b32_e64 v3, v3, v13, s0
	v_cmp_lt_u16_e64 s0, v5, v12
	v_min_u16 v13, v5, v12
	v_max_u16 v5, v5, v12
	v_cndmask_b32_e32 v4, v4, v20, vcc_lo
	v_cndmask_b32_e64 v2, v2, v6, s0
	v_or_b32_sdwa v6, v10, v14 dst_sel:WORD_1 dst_unused:UNUSED_PAD src0_sel:DWORD src1_sel:DWORD
	v_and_or_b32 v14, 0xffff0000, v3, v15
	v_cmp_lt_u16_e64 s0, v11, v21
	v_lshlrev_b16 v15, 8, v13
	v_and_b32_sdwa v17, v2, v8 dst_sel:DWORD dst_unused:UNUSED_PAD src0_sel:WORD_1 src1_sel:DWORD
	v_cmp_lt_u16_e64 s1, v13, v16
	v_min_u16 v18, v13, v16
	v_cndmask_b32_e64 v3, v3, v14, s0
	v_cmp_gt_u16_e64 s0, v9, v10
	v_or_b32_sdwa v14, v2, v15 dst_sel:DWORD dst_unused:UNUSED_PAD src0_sel:BYTE_0 src1_sel:DWORD
	v_or_b32_sdwa v15, v16, v17 dst_sel:WORD_1 dst_unused:UNUSED_PAD src0_sel:DWORD src1_sel:DWORD
	v_lshlrev_b16 v20, 8, v4
	v_and_or_b32 v6, 0xffff, v3, v6
	v_or_b32_sdwa v14, v14, v15 dst_sel:DWORD dst_unused:UNUSED_PAD src0_sel:WORD_0 src1_sel:DWORD
	v_cndmask_b32_e64 v3, v3, v6, s0
	v_min_u16 v6, v11, v21
	v_max_u16 v11, v11, v21
	v_cndmask_b32_e64 v2, v2, v14, s1
	s_mov_b32 s1, exec_lo
	v_and_b32_e32 v9, 0xffffff00, v3
	v_lshlrev_b16 v12, 8, v6
	v_max_u16 v15, v6, v5
	v_and_b32_sdwa v14, v2, v7 dst_sel:DWORD dst_unused:UNUSED_PAD src0_sel:WORD_1 src1_sel:DWORD
	v_min_u16 v17, v6, v5
	v_or_b32_e32 v9, v5, v9
	v_cmp_lt_u16_e32 vcc_lo, v6, v5
	v_max_u16 v6, v13, v16
	v_or_b32_sdwa v12, v14, v12 dst_sel:WORD_1 dst_unused:UNUSED_PAD src0_sel:DWORD src1_sel:DWORD
	v_cndmask_b32_e64 v13, v19, v10, s0
	v_and_b32_e32 v9, 0xffff, v9
	v_lshlrev_b16 v14, 8, v15
	v_and_or_b32 v12, 0xffff, v2, v12
	v_lshlrev_b16 v16, 8, v13
	v_and_or_b32 v5, 0xffff0000, v3, v9
	v_or_b32_e32 v9, v18, v20
	v_min_u16 v21, v13, v11
	v_cndmask_b32_e32 v2, v2, v12, vcc_lo
	v_min_u16 v12, v17, v6
	v_cndmask_b32_e32 v3, v3, v5, vcc_lo
	v_and_b32_e32 v9, 0xffff, v9
	v_lshlrev_b16 v5, 8, v6
	v_cmp_lt_u16_e32 vcc_lo, v18, v4
	v_or_b32_e32 v14, v21, v14
	v_and_b32_sdwa v20, v3, v8 dst_sel:DWORD dst_unused:UNUSED_PAD src0_sel:WORD_1 src1_sel:DWORD
	v_and_or_b32 v9, 0xffff0000, v2, v9
	v_or_b32_sdwa v16, v3, v16 dst_sel:DWORD dst_unused:UNUSED_PAD src0_sel:BYTE_0 src1_sel:DWORD
	v_or_b32_sdwa v5, v17, v5 dst_sel:WORD_1 dst_unused:UNUSED_PAD src0_sel:DWORD src1_sel:DWORD
	v_and_b32_e32 v14, 0xffff, v14
	v_or_b32_sdwa v20, v11, v20 dst_sel:WORD_1 dst_unused:UNUSED_PAD src0_sel:DWORD src1_sel:DWORD
	v_cndmask_b32_e32 v2, v2, v9, vcc_lo
	v_cndmask_b32_e64 v9, v10, v19, s0
	v_cmp_lt_u16_e32 vcc_lo, v13, v11
	v_or_b32_sdwa v10, v16, v20 dst_sel:DWORD dst_unused:UNUSED_PAD src0_sel:WORD_0 src1_sel:DWORD
	v_max_u16 v16, v13, v11
	v_and_or_b32 v5, 0xffff, v2, v5
	v_lshlrev_b16 v13, 8, v12
	v_cndmask_b32_e32 v3, v3, v10, vcc_lo
	v_cmp_lt_u16_e32 vcc_lo, v17, v6
	v_lshlrev_b16 v10, 8, v16
	v_max_u16 v6, v17, v6
	v_min_u16 v19, v9, v16
	v_and_or_b32 v11, 0xffff0000, v3, v14
	v_cndmask_b32_e32 v2, v2, v5, vcc_lo
	v_cmp_lt_u16_e32 vcc_lo, v21, v15
	v_or_b32_sdwa v10, v9, v10 dst_sel:WORD_1 dst_unused:UNUSED_PAD src0_sel:DWORD src1_sel:DWORD
	v_max_u16 v5, v18, v4
	v_min_u16 v4, v18, v4
	v_and_b32_sdwa v14, v2, v8 dst_sel:DWORD dst_unused:UNUSED_PAD src0_sel:WORD_1 src1_sel:DWORD
	v_cndmask_b32_e32 v3, v3, v11, vcc_lo
	v_cmp_lt_u16_e32 vcc_lo, v9, v16
	v_or_b32_sdwa v11, v2, v13 dst_sel:DWORD dst_unused:UNUSED_PAD src0_sel:BYTE_0 src1_sel:DWORD
	v_max_u16 v9, v9, v16
	v_or_b32_sdwa v13, v5, v14 dst_sel:WORD_1 dst_unused:UNUSED_PAD src0_sel:DWORD src1_sel:DWORD
	v_and_or_b32 v10, 0xffff, v3, v10
	v_lshlrev_b16 v14, 8, v4
	v_or_b32_sdwa v11, v11, v13 dst_sel:DWORD dst_unused:UNUSED_PAD src0_sel:WORD_0 src1_sel:DWORD
	v_cndmask_b32_e32 v3, v3, v10, vcc_lo
	v_cmp_lt_u16_e32 vcc_lo, v12, v5
	v_min_u16 v10, v21, v15
	v_max_u16 v15, v21, v15
	v_and_b32_e32 v13, 0xffffff00, v3
	v_cndmask_b32_e32 v2, v2, v11, vcc_lo
	v_lshlrev_b16 v17, 8, v10
	v_min_u16 v11, v12, v5
	v_cmp_lt_u16_e32 vcc_lo, v10, v6
	v_or_b32_e32 v13, v6, v13
	v_and_b32_sdwa v18, v2, v7 dst_sel:DWORD dst_unused:UNUSED_PAD src0_sel:WORD_1 src1_sel:DWORD
	v_max_u16 v5, v12, v5
	v_or_b32_e32 v14, v11, v14
	v_max_u16 v20, v10, v6
	v_and_b32_e32 v13, 0xffff, v13
	v_or_b32_sdwa v17, v18, v17 dst_sel:WORD_1 dst_unused:UNUSED_PAD src0_sel:DWORD src1_sel:DWORD
	v_min_u16 v6, v10, v6
	v_and_b32_e32 v14, 0xffff, v14
	v_lshlrev_b16 v10, 8, v19
	v_and_or_b32 v13, 0xffff0000, v3, v13
	v_and_or_b32 v17, 0xffff, v2, v17
	v_lshlrev_b16 v18, 8, v5
	v_lshlrev_b16 v22, 8, v20
	v_cmp_lt_u16_e64 s0, v19, v15
	v_cndmask_b32_e32 v3, v3, v13, vcc_lo
	v_cndmask_b32_e32 v2, v2, v17, vcc_lo
	v_min_u16 v17, v19, v15
	v_cmp_lt_u16_e32 vcc_lo, v12, v4
	v_or_b32_sdwa v18, v6, v18 dst_sel:WORD_1 dst_unused:UNUSED_PAD src0_sel:DWORD src1_sel:DWORD
	v_and_b32_sdwa v21, v3, v8 dst_sel:DWORD dst_unused:UNUSED_PAD src0_sel:WORD_1 src1_sel:DWORD
	v_and_or_b32 v14, 0xffff0000, v2, v14
	v_or_b32_sdwa v10, v3, v10 dst_sel:DWORD dst_unused:UNUSED_PAD src0_sel:BYTE_0 src1_sel:DWORD
	v_or_b32_e32 v22, v17, v22
	v_max_u16 v13, v19, v15
	v_or_b32_sdwa v21, v15, v21 dst_sel:WORD_1 dst_unused:UNUSED_PAD src0_sel:DWORD src1_sel:DWORD
	v_cndmask_b32_e32 v2, v2, v14, vcc_lo
	v_cndmask_b32_e32 v4, v11, v4, vcc_lo
	v_and_b32_e32 v14, 0xffff, v22
	v_lshlrev_b16 v12, 8, v13
	v_or_b32_sdwa v10, v10, v21 dst_sel:DWORD dst_unused:UNUSED_PAD src0_sel:WORD_0 src1_sel:DWORD
	v_and_or_b32 v16, 0xffff, v2, v18
	v_cmp_lt_u16_e32 vcc_lo, v17, v20
	v_or_b32_sdwa v12, v9, v12 dst_sel:WORD_1 dst_unused:UNUSED_PAD src0_sel:DWORD src1_sel:DWORD
	v_cndmask_b32_e64 v3, v3, v10, s0
	v_cmp_lt_u16_e64 s0, v6, v5
	v_min_u16 v10, v6, v5
	v_and_or_b32 v14, 0xffff0000, v3, v14
	v_cndmask_b32_e64 v2, v2, v16, s0
	v_lshlrev_b16 v16, 8, v10
	v_cmp_lt_u16_e64 s0, v10, v4
	v_mov_b32_e32 v10, 0
	v_cndmask_b32_e32 v3, v3, v14, vcc_lo
	v_and_b32_sdwa v11, v2, v8 dst_sel:DWORD dst_unused:UNUSED_PAD src0_sel:WORD_1 src1_sel:DWORD
	v_or_b32_sdwa v14, v2, v16 dst_sel:DWORD dst_unused:UNUSED_PAD src0_sel:BYTE_0 src1_sel:DWORD
	v_cmp_gt_u16_e32 vcc_lo, v15, v9
	v_and_or_b32 v12, 0xffff, v3, v12
	v_or_b32_sdwa v11, v4, v11 dst_sel:WORD_1 dst_unused:UNUSED_PAD src0_sel:DWORD src1_sel:DWORD
	v_cndmask_b32_e32 v9, v13, v9, vcc_lo
	v_max_u16 v13, v17, v20
	v_cndmask_b32_e32 v3, v3, v12, vcc_lo
	v_or_b32_sdwa v11, v14, v11 dst_sel:DWORD dst_unused:UNUSED_PAD src0_sel:WORD_0 src1_sel:DWORD
	v_min_u16 v12, v17, v20
	v_cmp_lt_u16_e32 vcc_lo, v9, v13
	v_cndmask_b32_e64 v4, v2, v11, s0
	v_max_u16 v2, v6, v5
	v_and_b32_e32 v5, 0xffffff00, v3
	v_lshlrev_b16 v6, 8, v12
	v_and_b32_sdwa v7, v4, v7 dst_sel:DWORD dst_unused:UNUSED_PAD src0_sel:WORD_1 src1_sel:DWORD
	v_cmp_lt_u16_e64 s0, v12, v2
	v_or_b32_e32 v5, v2, v5
	v_or_b32_sdwa v6, v7, v6 dst_sel:WORD_1 dst_unused:UNUSED_PAD src0_sel:DWORD src1_sel:DWORD
	v_mbcnt_lo_u32_b32 v7, -1, 0
	v_and_b32_e32 v5, 0xffff, v5
	v_and_or_b32 v6, 0xffff, v4, v6
	v_lshlrev_b32_e32 v2, 3, v7
	v_and_or_b32 v5, 0xffff0000, v3, v5
	v_cndmask_b32_e64 v11, v4, v6, s0
	v_and_b32_e32 v6, 0xf0, v2
	v_cndmask_b32_e64 v12, v3, v5, s0
	v_lshlrev_b16 v3, 8, v9
	s_mov_b32 s0, 0
	v_or_b32_e32 v4, 8, v6
	v_and_b32_sdwa v5, v12, v8 dst_sel:DWORD dst_unused:UNUSED_PAD src0_sel:WORD_1 src1_sel:DWORD
	v_or_b32_sdwa v3, v12, v3 dst_sel:DWORD dst_unused:UNUSED_PAD src0_sel:BYTE_0 src1_sel:DWORD
	v_and_b32_e32 v8, 8, v2
	v_sub_nc_u32_e32 v14, v4, v6
	v_or_b32_sdwa v7, v13, v5 dst_sel:WORD_1 dst_unused:UNUSED_PAD src0_sel:DWORD src1_sel:DWORD
	v_mov_b32_e32 v5, 0
	v_or_b32_sdwa v15, v3, v7 dst_sel:DWORD dst_unused:UNUSED_PAD src0_sel:WORD_0 src1_sel:DWORD
	v_mad_u32_u24 v3, 0x101, v0, v2
	v_min_i32_e32 v7, v8, v14
	v_mul_u32_u24_e32 v0, 0x101, v0
	v_cndmask_b32_e32 v12, v12, v15, vcc_lo
	ds_write_b64 v3, v[11:12]
	; wave barrier
	v_cmpx_lt_i32_e32 0, v7
	s_cbranch_execz .LBB128_4
; %bb.1:
	v_add_nc_u32_e32 v9, v0, v6
	v_add_nc_u32_e32 v10, v9, v8
	.p2align	6
.LBB128_2:                              ; =>This Inner Loop Header: Depth=1
	v_sub_nc_u32_e32 v11, v7, v5
	v_lshrrev_b32_e32 v11, 1, v11
	v_add_nc_u32_e32 v11, v11, v5
	v_add_nc_u32_e32 v12, v9, v11
	v_xad_u32 v13, v11, -1, v10
	v_add_nc_u32_e32 v14, 1, v11
	ds_read_u8 v12, v12
	ds_read_u8 v13, v13 offset:8
	s_waitcnt lgkmcnt(0)
	v_cmp_lt_u16_e32 vcc_lo, v13, v12
	v_cndmask_b32_e32 v7, v7, v11, vcc_lo
	v_cndmask_b32_e32 v5, v14, v5, vcc_lo
	v_cmp_ge_i32_e32 vcc_lo, v5, v7
	s_or_b32 s0, vcc_lo, s0
	s_andn2_b32 exec_lo, exec_lo, s0
	s_cbranch_execnz .LBB128_2
; %bb.3:
	s_or_b32 exec_lo, exec_lo, s0
	v_mov_b32_e32 v10, v5
.LBB128_4:
	s_or_b32 exec_lo, exec_lo, s1
	v_add_nc_u32_e32 v5, v6, v8
	v_add_nc_u32_e32 v9, v10, v6
	;; [unrolled: 1-line block ×4, first 2 shown]
	v_cmp_lt_i32_e32 vcc_lo, 7, v10
	v_sub_nc_u32_e32 v5, v5, v10
	v_add_nc_u32_e32 v13, v0, v9
	v_sub_nc_u32_e32 v11, v8, v10
                                        ; implicit-def: $vgpr8
	v_add_nc_u32_e32 v12, v0, v5
	ds_read_u8 v5, v13
	ds_read_u8 v7, v12 offset:8
	v_cmp_gt_i32_e64 s0, v6, v11
	s_waitcnt lgkmcnt(0)
	v_cmp_lt_u16_sdwa s1, v7, v5 src0_sel:BYTE_0 src1_sel:BYTE_0
	s_or_b32 s1, vcc_lo, s1
	s_and_b32 s0, s0, s1
	s_xor_b32 s1, s0, -1
	s_and_saveexec_b32 s2, s1
	s_xor_b32 s1, exec_lo, s2
; %bb.5:
	ds_read_u8 v8, v13 offset:1
                                        ; implicit-def: $vgpr12
; %bb.6:
	s_or_saveexec_b32 s1, s1
	v_mov_b32_e32 v10, v7
	s_xor_b32 exec_lo, exec_lo, s1
	s_cbranch_execz .LBB128_8
; %bb.7:
	ds_read_u8 v10, v12 offset:9
	s_waitcnt lgkmcnt(1)
	v_mov_b32_e32 v8, v5
.LBB128_8:
	s_or_b32 exec_lo, exec_lo, s1
	v_add_nc_u32_e32 v12, 1, v9
	v_add_nc_u32_e32 v14, 1, v11
	s_waitcnt lgkmcnt(0)
	v_cmp_lt_u16_sdwa s2, v10, v8 src0_sel:BYTE_0 src1_sel:BYTE_0
	v_cndmask_b32_e64 v13, v12, v9, s0
	v_cndmask_b32_e64 v12, v11, v14, s0
                                        ; implicit-def: $vgpr9
	v_cmp_ge_i32_e32 vcc_lo, v13, v4
	v_cmp_lt_i32_e64 s1, v12, v6
	s_or_b32 s2, vcc_lo, s2
	s_and_b32 s1, s1, s2
	s_xor_b32 s2, s1, -1
	s_and_saveexec_b32 s3, s2
	s_xor_b32 s2, exec_lo, s3
; %bb.9:
	v_add_nc_u32_e32 v9, v0, v13
	ds_read_u8 v9, v9 offset:1
; %bb.10:
	s_or_saveexec_b32 s2, s2
	v_mov_b32_e32 v11, v10
	s_xor_b32 exec_lo, exec_lo, s2
	s_cbranch_execz .LBB128_12
; %bb.11:
	s_waitcnt lgkmcnt(0)
	v_add_nc_u32_e32 v9, v0, v12
	ds_read_u8 v11, v9 offset:1
	v_mov_b32_e32 v9, v8
.LBB128_12:
	s_or_b32 exec_lo, exec_lo, s2
	v_add_nc_u32_e32 v14, 1, v13
	v_add_nc_u32_e32 v16, 1, v12
	s_waitcnt lgkmcnt(0)
	v_cmp_lt_u16_sdwa s3, v11, v9 src0_sel:BYTE_0 src1_sel:BYTE_0
	v_cndmask_b32_e64 v15, v14, v13, s1
	v_cndmask_b32_e64 v14, v12, v16, s1
                                        ; implicit-def: $vgpr12
	v_cmp_ge_i32_e32 vcc_lo, v15, v4
	v_cmp_lt_i32_e64 s2, v14, v6
	s_or_b32 s3, vcc_lo, s3
	s_and_b32 s2, s2, s3
	s_xor_b32 s3, s2, -1
	s_and_saveexec_b32 s4, s3
	s_xor_b32 s3, exec_lo, s4
; %bb.13:
	v_add_nc_u32_e32 v12, v0, v15
	ds_read_u8 v12, v12 offset:1
; %bb.14:
	s_or_saveexec_b32 s3, s3
	v_mov_b32_e32 v13, v11
	s_xor_b32 exec_lo, exec_lo, s3
	s_cbranch_execz .LBB128_16
; %bb.15:
	s_waitcnt lgkmcnt(0)
	v_add_nc_u32_e32 v12, v0, v14
	ds_read_u8 v13, v12 offset:1
	v_mov_b32_e32 v12, v9
.LBB128_16:
	s_or_b32 exec_lo, exec_lo, s3
	v_add_nc_u32_e32 v16, 1, v15
	v_add_nc_u32_e32 v18, 1, v14
	s_waitcnt lgkmcnt(0)
	v_cmp_lt_u16_sdwa s4, v13, v12 src0_sel:BYTE_0 src1_sel:BYTE_0
	v_cndmask_b32_e64 v17, v16, v15, s2
	v_cndmask_b32_e64 v16, v14, v18, s2
                                        ; implicit-def: $vgpr14
	v_cmp_ge_i32_e32 vcc_lo, v17, v4
	v_cmp_lt_i32_e64 s3, v16, v6
	s_or_b32 s4, vcc_lo, s4
	s_and_b32 s3, s3, s4
	s_xor_b32 s4, s3, -1
	s_and_saveexec_b32 s5, s4
	s_xor_b32 s4, exec_lo, s5
; %bb.17:
	v_add_nc_u32_e32 v14, v0, v17
	ds_read_u8 v14, v14 offset:1
; %bb.18:
	s_or_saveexec_b32 s4, s4
	v_mov_b32_e32 v15, v13
	s_xor_b32 exec_lo, exec_lo, s4
	s_cbranch_execz .LBB128_20
; %bb.19:
	s_waitcnt lgkmcnt(0)
	v_add_nc_u32_e32 v14, v0, v16
	ds_read_u8 v15, v14 offset:1
	v_mov_b32_e32 v14, v12
.LBB128_20:
	s_or_b32 exec_lo, exec_lo, s4
	v_add_nc_u32_e32 v18, 1, v17
	v_add_nc_u32_e32 v20, 1, v16
	s_waitcnt lgkmcnt(0)
	v_cmp_lt_u16_sdwa s5, v15, v14 src0_sel:BYTE_0 src1_sel:BYTE_0
	v_cndmask_b32_e64 v19, v18, v17, s3
	v_cndmask_b32_e64 v18, v16, v20, s3
                                        ; implicit-def: $vgpr16
	v_cmp_ge_i32_e32 vcc_lo, v19, v4
	v_cmp_lt_i32_e64 s4, v18, v6
	s_or_b32 s5, vcc_lo, s5
	s_and_b32 s4, s4, s5
	s_xor_b32 s5, s4, -1
	s_and_saveexec_b32 s6, s5
	s_xor_b32 s5, exec_lo, s6
; %bb.21:
	v_add_nc_u32_e32 v16, v0, v19
	ds_read_u8 v16, v16 offset:1
; %bb.22:
	s_or_saveexec_b32 s5, s5
	v_mov_b32_e32 v17, v15
	s_xor_b32 exec_lo, exec_lo, s5
	s_cbranch_execz .LBB128_24
; %bb.23:
	s_waitcnt lgkmcnt(0)
	v_add_nc_u32_e32 v16, v0, v18
	ds_read_u8 v17, v16 offset:1
	v_mov_b32_e32 v16, v14
.LBB128_24:
	s_or_b32 exec_lo, exec_lo, s5
	v_add_nc_u32_e32 v20, 1, v19
	v_add_nc_u32_e32 v22, 1, v18
	s_waitcnt lgkmcnt(0)
	v_cmp_lt_u16_sdwa s6, v17, v16 src0_sel:BYTE_0 src1_sel:BYTE_0
	v_cndmask_b32_e64 v21, v20, v19, s4
	v_cndmask_b32_e64 v19, v18, v22, s4
                                        ; implicit-def: $vgpr18
	v_cmp_ge_i32_e32 vcc_lo, v21, v4
	v_cmp_lt_i32_e64 s5, v19, v6
	s_or_b32 s6, vcc_lo, s6
	s_and_b32 vcc_lo, s5, s6
	s_xor_b32 s5, vcc_lo, -1
	s_and_saveexec_b32 s6, s5
	s_xor_b32 s5, exec_lo, s6
; %bb.25:
	v_add_nc_u32_e32 v18, v0, v21
	ds_read_u8 v18, v18 offset:1
; %bb.26:
	s_or_saveexec_b32 s5, s5
	v_mov_b32_e32 v20, v17
	s_xor_b32 exec_lo, exec_lo, s5
	s_cbranch_execz .LBB128_28
; %bb.27:
	s_waitcnt lgkmcnt(0)
	v_add_nc_u32_e32 v18, v0, v19
	ds_read_u8 v20, v18 offset:1
	v_mov_b32_e32 v18, v16
.LBB128_28:
	s_or_b32 exec_lo, exec_lo, s5
	v_add_nc_u32_e32 v22, 1, v21
	v_add_nc_u32_e32 v23, 1, v19
	s_waitcnt lgkmcnt(0)
	v_cmp_lt_u16_sdwa s8, v20, v18 src0_sel:BYTE_0 src1_sel:BYTE_0
	v_cndmask_b32_e32 v22, v22, v21, vcc_lo
	v_cndmask_b32_e32 v23, v19, v23, vcc_lo
                                        ; implicit-def: $vgpr19
	v_cmp_ge_i32_e64 s5, v22, v4
	v_cmp_lt_i32_e64 s6, v23, v6
	s_or_b32 s5, s5, s8
	s_and_b32 s5, s6, s5
	s_xor_b32 s6, s5, -1
	s_and_saveexec_b32 s8, s6
	s_xor_b32 s6, exec_lo, s8
; %bb.29:
	v_add_nc_u32_e32 v19, v0, v22
	ds_read_u8 v19, v19 offset:1
; %bb.30:
	s_or_saveexec_b32 s6, s6
	v_mov_b32_e32 v21, v20
	s_xor_b32 exec_lo, exec_lo, s6
	s_cbranch_execz .LBB128_32
; %bb.31:
	s_waitcnt lgkmcnt(0)
	v_add_nc_u32_e32 v19, v0, v23
	ds_read_u8 v21, v19 offset:1
	v_mov_b32_e32 v19, v18
.LBB128_32:
	s_or_b32 exec_lo, exec_lo, s6
	v_add_nc_u32_e32 v25, 1, v22
	v_add_nc_u32_e32 v24, 1, v23
	v_cndmask_b32_e64 v18, v18, v20, s5
	v_cndmask_b32_e64 v8, v8, v10, s1
	;; [unrolled: 1-line block ×5, first 2 shown]
	s_waitcnt lgkmcnt(0)
	v_cmp_lt_u16_sdwa s5, v21, v19 src0_sel:BYTE_0 src1_sel:BYTE_0
	v_cndmask_b32_sdwa v7, v16, v17, vcc_lo dst_sel:BYTE_1 dst_unused:UNUSED_PAD src0_sel:DWORD src1_sel:DWORD
	s_mov_b32 vcc_lo, s3
	v_cmp_ge_i32_e64 s1, v22, v4
	v_cmp_lt_i32_e64 s0, v20, v6
	v_cndmask_b32_sdwa v10, v12, v13, vcc_lo dst_sel:BYTE_1 dst_unused:UNUSED_PAD src0_sel:DWORD src1_sel:DWORD
	v_and_b32_e32 v6, 0xe0, v2
	v_lshlrev_b16 v8, 8, v8
	s_or_b32 s1, s1, s5
	v_cndmask_b32_e64 v9, v9, v11, s2
	s_and_b32 vcc_lo, s0, s1
	v_cndmask_b32_e64 v11, v14, v15, s4
	v_cndmask_b32_e32 v12, v19, v21, vcc_lo
	v_or_b32_e32 v4, 16, v6
	v_or_b32_sdwa v13, v5, v8 dst_sel:DWORD dst_unused:UNUSED_PAD src0_sel:BYTE_0 src1_sel:DWORD
	v_or_b32_sdwa v10, v9, v10 dst_sel:WORD_1 dst_unused:UNUSED_PAD src0_sel:BYTE_0 src1_sel:DWORD
	v_and_b32_e32 v8, 24, v2
	v_lshlrev_b16 v5, 8, v12
	v_sub_nc_u32_e32 v12, v4, v6
	v_or_b32_sdwa v7, v11, v7 dst_sel:DWORD dst_unused:UNUSED_PAD src0_sel:BYTE_0 src1_sel:DWORD
	v_or_b32_sdwa v10, v13, v10 dst_sel:DWORD dst_unused:UNUSED_PAD src0_sel:WORD_0 src1_sel:DWORD
	v_sub_nc_u32_e64 v9, v8, 16 clamp
	v_or_b32_sdwa v11, v18, v5 dst_sel:WORD_1 dst_unused:UNUSED_PAD src0_sel:BYTE_0 src1_sel:DWORD
	v_min_i32_e32 v5, v8, v12
	s_mov_b32 s0, exec_lo
	; wave barrier
	v_or_b32_sdwa v11, v7, v11 dst_sel:DWORD dst_unused:UNUSED_PAD src0_sel:WORD_0 src1_sel:DWORD
	ds_write_b64 v3, v[10:11]
	; wave barrier
	v_cmpx_lt_i32_e64 v9, v5
	s_cbranch_execz .LBB128_36
; %bb.33:
	v_add_nc_u32_e32 v7, v0, v6
	s_mov_b32 s1, 0
	v_add_nc_u32_e32 v10, v7, v8
	.p2align	6
.LBB128_34:                             ; =>This Inner Loop Header: Depth=1
	v_sub_nc_u32_e32 v11, v5, v9
	v_lshrrev_b32_e32 v11, 1, v11
	v_add_nc_u32_e32 v11, v11, v9
	v_add_nc_u32_e32 v12, v7, v11
	v_xad_u32 v13, v11, -1, v10
	v_add_nc_u32_e32 v14, 1, v11
	ds_read_u8 v12, v12
	ds_read_u8 v13, v13 offset:16
	s_waitcnt lgkmcnt(0)
	v_cmp_lt_u16_e32 vcc_lo, v13, v12
	v_cndmask_b32_e32 v5, v5, v11, vcc_lo
	v_cndmask_b32_e32 v9, v14, v9, vcc_lo
	v_cmp_ge_i32_e32 vcc_lo, v9, v5
	s_or_b32 s1, vcc_lo, s1
	s_andn2_b32 exec_lo, exec_lo, s1
	s_cbranch_execnz .LBB128_34
; %bb.35:
	s_or_b32 exec_lo, exec_lo, s1
.LBB128_36:
	s_or_b32 exec_lo, exec_lo, s0
	v_add_nc_u32_e32 v5, v6, v8
	v_add_nc_u32_e32 v11, v9, v6
	;; [unrolled: 1-line block ×4, first 2 shown]
	v_cmp_lt_i32_e32 vcc_lo, 15, v9
	v_sub_nc_u32_e32 v5, v5, v9
	v_add_nc_u32_e32 v10, v0, v11
	v_sub_nc_u32_e32 v12, v8, v9
                                        ; implicit-def: $vgpr8
	v_add_nc_u32_e32 v13, v0, v5
	ds_read_u8 v5, v10
	ds_read_u8 v7, v13 offset:16
	v_cmp_gt_i32_e64 s0, v6, v12
	s_waitcnt lgkmcnt(0)
	v_cmp_lt_u16_sdwa s1, v7, v5 src0_sel:BYTE_0 src1_sel:BYTE_0
	s_or_b32 s1, vcc_lo, s1
	s_and_b32 s0, s0, s1
	s_xor_b32 s1, s0, -1
	s_and_saveexec_b32 s2, s1
	s_xor_b32 s1, exec_lo, s2
; %bb.37:
	ds_read_u8 v8, v10 offset:1
                                        ; implicit-def: $vgpr13
; %bb.38:
	s_or_saveexec_b32 s1, s1
	v_mov_b32_e32 v10, v7
	s_xor_b32 exec_lo, exec_lo, s1
	s_cbranch_execz .LBB128_40
; %bb.39:
	ds_read_u8 v10, v13 offset:17
	s_waitcnt lgkmcnt(1)
	v_mov_b32_e32 v8, v5
.LBB128_40:
	s_or_b32 exec_lo, exec_lo, s1
	v_add_nc_u32_e32 v9, 1, v11
	v_add_nc_u32_e32 v14, 1, v12
	s_waitcnt lgkmcnt(0)
	v_cmp_lt_u16_sdwa s2, v10, v8 src0_sel:BYTE_0 src1_sel:BYTE_0
	v_cndmask_b32_e64 v13, v9, v11, s0
	v_cndmask_b32_e64 v12, v12, v14, s0
                                        ; implicit-def: $vgpr9
	v_cmp_ge_i32_e32 vcc_lo, v13, v4
	v_cmp_lt_i32_e64 s1, v12, v6
	s_or_b32 s2, vcc_lo, s2
	s_and_b32 s1, s1, s2
	s_xor_b32 s2, s1, -1
	s_and_saveexec_b32 s3, s2
	s_xor_b32 s2, exec_lo, s3
; %bb.41:
	v_add_nc_u32_e32 v9, v0, v13
	ds_read_u8 v9, v9 offset:1
; %bb.42:
	s_or_saveexec_b32 s2, s2
	v_mov_b32_e32 v11, v10
	s_xor_b32 exec_lo, exec_lo, s2
	s_cbranch_execz .LBB128_44
; %bb.43:
	s_waitcnt lgkmcnt(0)
	v_add_nc_u32_e32 v9, v0, v12
	ds_read_u8 v11, v9 offset:1
	v_mov_b32_e32 v9, v8
.LBB128_44:
	s_or_b32 exec_lo, exec_lo, s2
	v_add_nc_u32_e32 v14, 1, v13
	v_add_nc_u32_e32 v16, 1, v12
	s_waitcnt lgkmcnt(0)
	v_cmp_lt_u16_sdwa s3, v11, v9 src0_sel:BYTE_0 src1_sel:BYTE_0
	v_cndmask_b32_e64 v15, v14, v13, s1
	v_cndmask_b32_e64 v14, v12, v16, s1
                                        ; implicit-def: $vgpr12
	v_cmp_ge_i32_e32 vcc_lo, v15, v4
	v_cmp_lt_i32_e64 s2, v14, v6
	s_or_b32 s3, vcc_lo, s3
	s_and_b32 s2, s2, s3
	s_xor_b32 s3, s2, -1
	s_and_saveexec_b32 s4, s3
	s_xor_b32 s3, exec_lo, s4
; %bb.45:
	v_add_nc_u32_e32 v12, v0, v15
	ds_read_u8 v12, v12 offset:1
; %bb.46:
	s_or_saveexec_b32 s3, s3
	v_mov_b32_e32 v13, v11
	s_xor_b32 exec_lo, exec_lo, s3
	s_cbranch_execz .LBB128_48
; %bb.47:
	s_waitcnt lgkmcnt(0)
	v_add_nc_u32_e32 v12, v0, v14
	ds_read_u8 v13, v12 offset:1
	v_mov_b32_e32 v12, v9
.LBB128_48:
	s_or_b32 exec_lo, exec_lo, s3
	v_add_nc_u32_e32 v16, 1, v15
	v_add_nc_u32_e32 v18, 1, v14
	s_waitcnt lgkmcnt(0)
	v_cmp_lt_u16_sdwa s4, v13, v12 src0_sel:BYTE_0 src1_sel:BYTE_0
	v_cndmask_b32_e64 v17, v16, v15, s2
	v_cndmask_b32_e64 v16, v14, v18, s2
                                        ; implicit-def: $vgpr14
	v_cmp_ge_i32_e32 vcc_lo, v17, v4
	v_cmp_lt_i32_e64 s3, v16, v6
	s_or_b32 s4, vcc_lo, s4
	s_and_b32 s3, s3, s4
	s_xor_b32 s4, s3, -1
	s_and_saveexec_b32 s5, s4
	s_xor_b32 s4, exec_lo, s5
; %bb.49:
	v_add_nc_u32_e32 v14, v0, v17
	ds_read_u8 v14, v14 offset:1
; %bb.50:
	s_or_saveexec_b32 s4, s4
	v_mov_b32_e32 v15, v13
	s_xor_b32 exec_lo, exec_lo, s4
	s_cbranch_execz .LBB128_52
; %bb.51:
	s_waitcnt lgkmcnt(0)
	v_add_nc_u32_e32 v14, v0, v16
	ds_read_u8 v15, v14 offset:1
	v_mov_b32_e32 v14, v12
.LBB128_52:
	s_or_b32 exec_lo, exec_lo, s4
	v_add_nc_u32_e32 v18, 1, v17
	v_add_nc_u32_e32 v20, 1, v16
	s_waitcnt lgkmcnt(0)
	v_cmp_lt_u16_sdwa s5, v15, v14 src0_sel:BYTE_0 src1_sel:BYTE_0
	v_cndmask_b32_e64 v19, v18, v17, s3
	v_cndmask_b32_e64 v18, v16, v20, s3
                                        ; implicit-def: $vgpr16
	v_cmp_ge_i32_e32 vcc_lo, v19, v4
	v_cmp_lt_i32_e64 s4, v18, v6
	s_or_b32 s5, vcc_lo, s5
	s_and_b32 s4, s4, s5
	s_xor_b32 s5, s4, -1
	s_and_saveexec_b32 s6, s5
	s_xor_b32 s5, exec_lo, s6
; %bb.53:
	v_add_nc_u32_e32 v16, v0, v19
	ds_read_u8 v16, v16 offset:1
; %bb.54:
	s_or_saveexec_b32 s5, s5
	v_mov_b32_e32 v17, v15
	s_xor_b32 exec_lo, exec_lo, s5
	s_cbranch_execz .LBB128_56
; %bb.55:
	s_waitcnt lgkmcnt(0)
	v_add_nc_u32_e32 v16, v0, v18
	ds_read_u8 v17, v16 offset:1
	v_mov_b32_e32 v16, v14
.LBB128_56:
	s_or_b32 exec_lo, exec_lo, s5
	v_add_nc_u32_e32 v20, 1, v19
	v_add_nc_u32_e32 v22, 1, v18
	s_waitcnt lgkmcnt(0)
	v_cmp_lt_u16_sdwa s6, v17, v16 src0_sel:BYTE_0 src1_sel:BYTE_0
	v_cndmask_b32_e64 v21, v20, v19, s4
	v_cndmask_b32_e64 v19, v18, v22, s4
                                        ; implicit-def: $vgpr18
	v_cmp_ge_i32_e32 vcc_lo, v21, v4
	v_cmp_lt_i32_e64 s5, v19, v6
	s_or_b32 s6, vcc_lo, s6
	s_and_b32 vcc_lo, s5, s6
	s_xor_b32 s5, vcc_lo, -1
	s_and_saveexec_b32 s6, s5
	s_xor_b32 s5, exec_lo, s6
; %bb.57:
	v_add_nc_u32_e32 v18, v0, v21
	ds_read_u8 v18, v18 offset:1
; %bb.58:
	s_or_saveexec_b32 s5, s5
	v_mov_b32_e32 v20, v17
	s_xor_b32 exec_lo, exec_lo, s5
	s_cbranch_execz .LBB128_60
; %bb.59:
	s_waitcnt lgkmcnt(0)
	v_add_nc_u32_e32 v18, v0, v19
	ds_read_u8 v20, v18 offset:1
	v_mov_b32_e32 v18, v16
.LBB128_60:
	s_or_b32 exec_lo, exec_lo, s5
	v_add_nc_u32_e32 v22, 1, v21
	v_add_nc_u32_e32 v23, 1, v19
	s_waitcnt lgkmcnt(0)
	v_cmp_lt_u16_sdwa s8, v20, v18 src0_sel:BYTE_0 src1_sel:BYTE_0
	v_cndmask_b32_e32 v22, v22, v21, vcc_lo
	v_cndmask_b32_e32 v23, v19, v23, vcc_lo
                                        ; implicit-def: $vgpr19
	v_cmp_ge_i32_e64 s5, v22, v4
	v_cmp_lt_i32_e64 s6, v23, v6
	s_or_b32 s5, s5, s8
	s_and_b32 s5, s6, s5
	s_xor_b32 s6, s5, -1
	s_and_saveexec_b32 s8, s6
	s_xor_b32 s6, exec_lo, s8
; %bb.61:
	v_add_nc_u32_e32 v19, v0, v22
	ds_read_u8 v19, v19 offset:1
; %bb.62:
	s_or_saveexec_b32 s6, s6
	v_mov_b32_e32 v21, v20
	s_xor_b32 exec_lo, exec_lo, s6
	s_cbranch_execz .LBB128_64
; %bb.63:
	s_waitcnt lgkmcnt(0)
	v_add_nc_u32_e32 v19, v0, v23
	ds_read_u8 v21, v19 offset:1
	v_mov_b32_e32 v19, v18
.LBB128_64:
	s_or_b32 exec_lo, exec_lo, s6
	v_add_nc_u32_e32 v25, 1, v22
	v_add_nc_u32_e32 v24, 1, v23
	v_cndmask_b32_e64 v18, v18, v20, s5
	v_cndmask_b32_e64 v8, v8, v10, s1
	v_cndmask_b32_e64 v5, v5, v7, s0
	v_cndmask_b32_e64 v22, v25, v22, s5
	v_cndmask_b32_e64 v20, v23, v24, s5
	s_waitcnt lgkmcnt(0)
	v_cmp_lt_u16_sdwa s5, v21, v19 src0_sel:BYTE_0 src1_sel:BYTE_0
	v_cndmask_b32_sdwa v7, v16, v17, vcc_lo dst_sel:BYTE_1 dst_unused:UNUSED_PAD src0_sel:DWORD src1_sel:DWORD
	s_mov_b32 vcc_lo, s3
	v_cmp_ge_i32_e64 s1, v22, v4
	v_cmp_lt_i32_e64 s0, v20, v6
	v_cndmask_b32_sdwa v10, v12, v13, vcc_lo dst_sel:BYTE_1 dst_unused:UNUSED_PAD src0_sel:DWORD src1_sel:DWORD
	v_and_b32_e32 v6, 0xc0, v2
	v_lshlrev_b16 v8, 8, v8
	s_or_b32 s1, s1, s5
	v_cndmask_b32_e64 v9, v9, v11, s2
	s_and_b32 vcc_lo, s0, s1
	v_cndmask_b32_e64 v11, v14, v15, s4
	v_cndmask_b32_e32 v12, v19, v21, vcc_lo
	v_or_b32_e32 v4, 32, v6
	v_or_b32_sdwa v13, v5, v8 dst_sel:DWORD dst_unused:UNUSED_PAD src0_sel:BYTE_0 src1_sel:DWORD
	v_or_b32_sdwa v10, v9, v10 dst_sel:WORD_1 dst_unused:UNUSED_PAD src0_sel:BYTE_0 src1_sel:DWORD
	v_and_b32_e32 v8, 56, v2
	v_lshlrev_b16 v5, 8, v12
	v_sub_nc_u32_e32 v12, v4, v6
	v_or_b32_sdwa v7, v11, v7 dst_sel:DWORD dst_unused:UNUSED_PAD src0_sel:BYTE_0 src1_sel:DWORD
	v_or_b32_sdwa v10, v13, v10 dst_sel:DWORD dst_unused:UNUSED_PAD src0_sel:WORD_0 src1_sel:DWORD
	v_sub_nc_u32_e64 v9, v8, 32 clamp
	v_or_b32_sdwa v11, v18, v5 dst_sel:WORD_1 dst_unused:UNUSED_PAD src0_sel:BYTE_0 src1_sel:DWORD
	v_min_i32_e32 v5, v8, v12
	s_mov_b32 s0, exec_lo
	; wave barrier
	v_or_b32_sdwa v11, v7, v11 dst_sel:DWORD dst_unused:UNUSED_PAD src0_sel:WORD_0 src1_sel:DWORD
	ds_write_b64 v3, v[10:11]
	; wave barrier
	v_cmpx_lt_i32_e64 v9, v5
	s_cbranch_execz .LBB128_68
; %bb.65:
	v_add_nc_u32_e32 v7, v0, v6
	s_mov_b32 s1, 0
	v_add_nc_u32_e32 v10, v7, v8
	.p2align	6
.LBB128_66:                             ; =>This Inner Loop Header: Depth=1
	v_sub_nc_u32_e32 v11, v5, v9
	v_lshrrev_b32_e32 v11, 1, v11
	v_add_nc_u32_e32 v11, v11, v9
	v_add_nc_u32_e32 v12, v7, v11
	v_xad_u32 v13, v11, -1, v10
	v_add_nc_u32_e32 v14, 1, v11
	ds_read_u8 v12, v12
	ds_read_u8 v13, v13 offset:32
	s_waitcnt lgkmcnt(0)
	v_cmp_lt_u16_e32 vcc_lo, v13, v12
	v_cndmask_b32_e32 v5, v5, v11, vcc_lo
	v_cndmask_b32_e32 v9, v14, v9, vcc_lo
	v_cmp_ge_i32_e32 vcc_lo, v9, v5
	s_or_b32 s1, vcc_lo, s1
	s_andn2_b32 exec_lo, exec_lo, s1
	s_cbranch_execnz .LBB128_66
; %bb.67:
	s_or_b32 exec_lo, exec_lo, s1
.LBB128_68:
	s_or_b32 exec_lo, exec_lo, s0
	v_add_nc_u32_e32 v5, v6, v8
	v_add_nc_u32_e32 v11, v9, v6
	;; [unrolled: 1-line block ×4, first 2 shown]
	v_cmp_lt_i32_e32 vcc_lo, 31, v9
	v_sub_nc_u32_e32 v5, v5, v9
	v_add_nc_u32_e32 v10, v0, v11
	v_sub_nc_u32_e32 v12, v8, v9
                                        ; implicit-def: $vgpr8
	v_add_nc_u32_e32 v13, v0, v5
	ds_read_u8 v5, v10
	ds_read_u8 v7, v13 offset:32
	v_cmp_gt_i32_e64 s0, v6, v12
	s_waitcnt lgkmcnt(0)
	v_cmp_lt_u16_sdwa s1, v7, v5 src0_sel:BYTE_0 src1_sel:BYTE_0
	s_or_b32 s1, vcc_lo, s1
	s_and_b32 s0, s0, s1
	s_xor_b32 s1, s0, -1
	s_and_saveexec_b32 s2, s1
	s_xor_b32 s1, exec_lo, s2
; %bb.69:
	ds_read_u8 v8, v10 offset:1
                                        ; implicit-def: $vgpr13
; %bb.70:
	s_or_saveexec_b32 s1, s1
	v_mov_b32_e32 v10, v7
	s_xor_b32 exec_lo, exec_lo, s1
	s_cbranch_execz .LBB128_72
; %bb.71:
	ds_read_u8 v10, v13 offset:33
	s_waitcnt lgkmcnt(1)
	v_mov_b32_e32 v8, v5
.LBB128_72:
	s_or_b32 exec_lo, exec_lo, s1
	v_add_nc_u32_e32 v9, 1, v11
	v_add_nc_u32_e32 v14, 1, v12
	s_waitcnt lgkmcnt(0)
	v_cmp_lt_u16_sdwa s2, v10, v8 src0_sel:BYTE_0 src1_sel:BYTE_0
	v_cndmask_b32_e64 v13, v9, v11, s0
	v_cndmask_b32_e64 v12, v12, v14, s0
                                        ; implicit-def: $vgpr9
	v_cmp_ge_i32_e32 vcc_lo, v13, v4
	v_cmp_lt_i32_e64 s1, v12, v6
	s_or_b32 s2, vcc_lo, s2
	s_and_b32 s1, s1, s2
	s_xor_b32 s2, s1, -1
	s_and_saveexec_b32 s3, s2
	s_xor_b32 s2, exec_lo, s3
; %bb.73:
	v_add_nc_u32_e32 v9, v0, v13
	ds_read_u8 v9, v9 offset:1
; %bb.74:
	s_or_saveexec_b32 s2, s2
	v_mov_b32_e32 v11, v10
	s_xor_b32 exec_lo, exec_lo, s2
	s_cbranch_execz .LBB128_76
; %bb.75:
	s_waitcnt lgkmcnt(0)
	v_add_nc_u32_e32 v9, v0, v12
	ds_read_u8 v11, v9 offset:1
	v_mov_b32_e32 v9, v8
.LBB128_76:
	s_or_b32 exec_lo, exec_lo, s2
	v_add_nc_u32_e32 v14, 1, v13
	v_add_nc_u32_e32 v16, 1, v12
	s_waitcnt lgkmcnt(0)
	v_cmp_lt_u16_sdwa s3, v11, v9 src0_sel:BYTE_0 src1_sel:BYTE_0
	v_cndmask_b32_e64 v15, v14, v13, s1
	v_cndmask_b32_e64 v14, v12, v16, s1
                                        ; implicit-def: $vgpr12
	v_cmp_ge_i32_e32 vcc_lo, v15, v4
	v_cmp_lt_i32_e64 s2, v14, v6
	s_or_b32 s3, vcc_lo, s3
	s_and_b32 s2, s2, s3
	s_xor_b32 s3, s2, -1
	s_and_saveexec_b32 s4, s3
	s_xor_b32 s3, exec_lo, s4
; %bb.77:
	v_add_nc_u32_e32 v12, v0, v15
	ds_read_u8 v12, v12 offset:1
; %bb.78:
	s_or_saveexec_b32 s3, s3
	v_mov_b32_e32 v13, v11
	s_xor_b32 exec_lo, exec_lo, s3
	s_cbranch_execz .LBB128_80
; %bb.79:
	s_waitcnt lgkmcnt(0)
	v_add_nc_u32_e32 v12, v0, v14
	ds_read_u8 v13, v12 offset:1
	v_mov_b32_e32 v12, v9
.LBB128_80:
	s_or_b32 exec_lo, exec_lo, s3
	v_add_nc_u32_e32 v16, 1, v15
	v_add_nc_u32_e32 v18, 1, v14
	s_waitcnt lgkmcnt(0)
	v_cmp_lt_u16_sdwa s4, v13, v12 src0_sel:BYTE_0 src1_sel:BYTE_0
	v_cndmask_b32_e64 v17, v16, v15, s2
	v_cndmask_b32_e64 v16, v14, v18, s2
                                        ; implicit-def: $vgpr14
	v_cmp_ge_i32_e32 vcc_lo, v17, v4
	v_cmp_lt_i32_e64 s3, v16, v6
	s_or_b32 s4, vcc_lo, s4
	s_and_b32 s3, s3, s4
	s_xor_b32 s4, s3, -1
	s_and_saveexec_b32 s5, s4
	s_xor_b32 s4, exec_lo, s5
; %bb.81:
	v_add_nc_u32_e32 v14, v0, v17
	ds_read_u8 v14, v14 offset:1
; %bb.82:
	s_or_saveexec_b32 s4, s4
	v_mov_b32_e32 v15, v13
	s_xor_b32 exec_lo, exec_lo, s4
	s_cbranch_execz .LBB128_84
; %bb.83:
	s_waitcnt lgkmcnt(0)
	v_add_nc_u32_e32 v14, v0, v16
	ds_read_u8 v15, v14 offset:1
	v_mov_b32_e32 v14, v12
.LBB128_84:
	s_or_b32 exec_lo, exec_lo, s4
	v_add_nc_u32_e32 v18, 1, v17
	v_add_nc_u32_e32 v20, 1, v16
	s_waitcnt lgkmcnt(0)
	v_cmp_lt_u16_sdwa s5, v15, v14 src0_sel:BYTE_0 src1_sel:BYTE_0
	v_cndmask_b32_e64 v19, v18, v17, s3
	v_cndmask_b32_e64 v18, v16, v20, s3
                                        ; implicit-def: $vgpr16
	v_cmp_ge_i32_e32 vcc_lo, v19, v4
	v_cmp_lt_i32_e64 s4, v18, v6
	s_or_b32 s5, vcc_lo, s5
	s_and_b32 s4, s4, s5
	s_xor_b32 s5, s4, -1
	s_and_saveexec_b32 s6, s5
	s_xor_b32 s5, exec_lo, s6
; %bb.85:
	v_add_nc_u32_e32 v16, v0, v19
	ds_read_u8 v16, v16 offset:1
; %bb.86:
	s_or_saveexec_b32 s5, s5
	v_mov_b32_e32 v17, v15
	s_xor_b32 exec_lo, exec_lo, s5
	s_cbranch_execz .LBB128_88
; %bb.87:
	s_waitcnt lgkmcnt(0)
	v_add_nc_u32_e32 v16, v0, v18
	ds_read_u8 v17, v16 offset:1
	v_mov_b32_e32 v16, v14
.LBB128_88:
	s_or_b32 exec_lo, exec_lo, s5
	v_add_nc_u32_e32 v20, 1, v19
	v_add_nc_u32_e32 v22, 1, v18
	s_waitcnt lgkmcnt(0)
	v_cmp_lt_u16_sdwa s6, v17, v16 src0_sel:BYTE_0 src1_sel:BYTE_0
	v_cndmask_b32_e64 v21, v20, v19, s4
	v_cndmask_b32_e64 v19, v18, v22, s4
                                        ; implicit-def: $vgpr18
	v_cmp_ge_i32_e32 vcc_lo, v21, v4
	v_cmp_lt_i32_e64 s5, v19, v6
	s_or_b32 s6, vcc_lo, s6
	s_and_b32 vcc_lo, s5, s6
	s_xor_b32 s5, vcc_lo, -1
	s_and_saveexec_b32 s6, s5
	s_xor_b32 s5, exec_lo, s6
; %bb.89:
	v_add_nc_u32_e32 v18, v0, v21
	ds_read_u8 v18, v18 offset:1
; %bb.90:
	s_or_saveexec_b32 s5, s5
	v_mov_b32_e32 v20, v17
	s_xor_b32 exec_lo, exec_lo, s5
	s_cbranch_execz .LBB128_92
; %bb.91:
	s_waitcnt lgkmcnt(0)
	v_add_nc_u32_e32 v18, v0, v19
	ds_read_u8 v20, v18 offset:1
	v_mov_b32_e32 v18, v16
.LBB128_92:
	s_or_b32 exec_lo, exec_lo, s5
	v_add_nc_u32_e32 v22, 1, v21
	v_add_nc_u32_e32 v23, 1, v19
	s_waitcnt lgkmcnt(0)
	v_cmp_lt_u16_sdwa s8, v20, v18 src0_sel:BYTE_0 src1_sel:BYTE_0
	v_cndmask_b32_e32 v22, v22, v21, vcc_lo
	v_cndmask_b32_e32 v23, v19, v23, vcc_lo
                                        ; implicit-def: $vgpr19
	v_cmp_ge_i32_e64 s5, v22, v4
	v_cmp_lt_i32_e64 s6, v23, v6
	s_or_b32 s5, s5, s8
	s_and_b32 s5, s6, s5
	s_xor_b32 s6, s5, -1
	s_and_saveexec_b32 s8, s6
	s_xor_b32 s6, exec_lo, s8
; %bb.93:
	v_add_nc_u32_e32 v19, v0, v22
	ds_read_u8 v19, v19 offset:1
; %bb.94:
	s_or_saveexec_b32 s6, s6
	v_mov_b32_e32 v21, v20
	s_xor_b32 exec_lo, exec_lo, s6
	s_cbranch_execz .LBB128_96
; %bb.95:
	s_waitcnt lgkmcnt(0)
	v_add_nc_u32_e32 v19, v0, v23
	ds_read_u8 v21, v19 offset:1
	v_mov_b32_e32 v19, v18
.LBB128_96:
	s_or_b32 exec_lo, exec_lo, s6
	v_add_nc_u32_e32 v25, 1, v22
	v_add_nc_u32_e32 v24, 1, v23
	v_cndmask_b32_e64 v18, v18, v20, s5
	v_cndmask_b32_e64 v8, v8, v10, s1
	;; [unrolled: 1-line block ×5, first 2 shown]
	s_waitcnt lgkmcnt(0)
	v_cmp_lt_u16_sdwa s5, v21, v19 src0_sel:BYTE_0 src1_sel:BYTE_0
	v_cndmask_b32_sdwa v10, v16, v17, vcc_lo dst_sel:BYTE_1 dst_unused:UNUSED_PAD src0_sel:DWORD src1_sel:DWORD
	s_mov_b32 vcc_lo, s3
	v_cmp_ge_i32_e64 s1, v22, v4
	v_cmp_lt_i32_e64 s0, v20, v6
	v_cndmask_b32_sdwa v6, v12, v13, vcc_lo dst_sel:BYTE_1 dst_unused:UNUSED_PAD src0_sel:DWORD src1_sel:DWORD
	v_and_b32_e32 v7, 0x80, v2
	v_lshlrev_b16 v8, 8, v8
	s_or_b32 s1, s1, s5
	v_cndmask_b32_e64 v9, v9, v11, s2
	s_and_b32 vcc_lo, s0, s1
	v_cndmask_b32_e64 v11, v14, v15, s4
	v_cndmask_b32_e32 v12, v19, v21, vcc_lo
	v_or_b32_e32 v4, 64, v7
	v_or_b32_sdwa v13, v5, v8 dst_sel:DWORD dst_unused:UNUSED_PAD src0_sel:BYTE_0 src1_sel:DWORD
	v_or_b32_sdwa v6, v9, v6 dst_sel:WORD_1 dst_unused:UNUSED_PAD src0_sel:BYTE_0 src1_sel:DWORD
	v_and_b32_e32 v8, 0x78, v2
	v_lshlrev_b16 v5, 8, v12
	v_sub_nc_u32_e32 v12, v4, v7
	v_or_b32_sdwa v11, v11, v10 dst_sel:DWORD dst_unused:UNUSED_PAD src0_sel:BYTE_0 src1_sel:DWORD
	v_or_b32_sdwa v10, v13, v6 dst_sel:DWORD dst_unused:UNUSED_PAD src0_sel:WORD_0 src1_sel:DWORD
	v_sub_nc_u32_e64 v9, v8, 64 clamp
	v_or_b32_sdwa v14, v18, v5 dst_sel:WORD_1 dst_unused:UNUSED_PAD src0_sel:BYTE_0 src1_sel:DWORD
	v_min_i32_e32 v5, v8, v12
	s_mov_b32 s0, exec_lo
	; wave barrier
	v_or_b32_sdwa v11, v11, v14 dst_sel:DWORD dst_unused:UNUSED_PAD src0_sel:WORD_0 src1_sel:DWORD
	ds_write_b64 v3, v[10:11]
	; wave barrier
	v_cmpx_lt_i32_e64 v9, v5
	s_cbranch_execz .LBB128_100
; %bb.97:
	v_add_nc_u32_e32 v6, v0, v7
	s_mov_b32 s1, 0
	v_add_nc_u32_e32 v10, v6, v8
	.p2align	6
.LBB128_98:                             ; =>This Inner Loop Header: Depth=1
	v_sub_nc_u32_e32 v11, v5, v9
	v_lshrrev_b32_e32 v11, 1, v11
	v_add_nc_u32_e32 v11, v11, v9
	v_add_nc_u32_e32 v12, v6, v11
	v_xad_u32 v13, v11, -1, v10
	v_add_nc_u32_e32 v14, 1, v11
	ds_read_u8 v12, v12
	ds_read_u8 v13, v13 offset:64
	s_waitcnt lgkmcnt(0)
	v_cmp_lt_u16_e32 vcc_lo, v13, v12
	v_cndmask_b32_e32 v5, v5, v11, vcc_lo
	v_cndmask_b32_e32 v9, v14, v9, vcc_lo
	v_cmp_ge_i32_e32 vcc_lo, v9, v5
	s_or_b32 s1, vcc_lo, s1
	s_andn2_b32 exec_lo, exec_lo, s1
	s_cbranch_execnz .LBB128_98
; %bb.99:
	s_or_b32 exec_lo, exec_lo, s1
.LBB128_100:
	s_or_b32 exec_lo, exec_lo, s0
	v_add_nc_u32_e32 v5, v7, v8
	v_add_nc_u32_e32 v10, v9, v7
	v_add_nc_u32_e32 v8, v4, v8
	v_add_nc_u32_e32 v7, 0x80, v7
	v_cmp_lt_i32_e32 vcc_lo, 63, v9
	v_sub_nc_u32_e32 v5, v5, v9
	v_add_nc_u32_e32 v13, v0, v10
	v_sub_nc_u32_e32 v11, v8, v9
                                        ; implicit-def: $vgpr8
	v_add_nc_u32_e32 v12, v0, v5
	ds_read_u8 v5, v13
	ds_read_u8 v6, v12 offset:64
	v_cmp_gt_i32_e64 s0, v7, v11
	s_waitcnt lgkmcnt(0)
	v_cmp_lt_u16_sdwa s1, v6, v5 src0_sel:BYTE_0 src1_sel:BYTE_0
	s_or_b32 s1, vcc_lo, s1
	s_and_b32 s0, s0, s1
	s_xor_b32 s1, s0, -1
	s_and_saveexec_b32 s2, s1
	s_xor_b32 s1, exec_lo, s2
; %bb.101:
	ds_read_u8 v8, v13 offset:1
                                        ; implicit-def: $vgpr12
; %bb.102:
	s_or_saveexec_b32 s1, s1
	v_mov_b32_e32 v9, v6
	s_xor_b32 exec_lo, exec_lo, s1
	s_cbranch_execz .LBB128_104
; %bb.103:
	ds_read_u8 v9, v12 offset:65
	s_waitcnt lgkmcnt(1)
	v_mov_b32_e32 v8, v5
.LBB128_104:
	s_or_b32 exec_lo, exec_lo, s1
	v_add_nc_u32_e32 v12, 1, v10
	v_add_nc_u32_e32 v14, 1, v11
	s_waitcnt lgkmcnt(0)
	v_cmp_lt_u16_sdwa s2, v9, v8 src0_sel:BYTE_0 src1_sel:BYTE_0
	v_cndmask_b32_e64 v13, v12, v10, s0
	v_cndmask_b32_e64 v12, v11, v14, s0
                                        ; implicit-def: $vgpr10
	v_cmp_ge_i32_e32 vcc_lo, v13, v4
	v_cmp_lt_i32_e64 s1, v12, v7
	s_or_b32 s2, vcc_lo, s2
	s_and_b32 s1, s1, s2
	s_xor_b32 s2, s1, -1
	s_and_saveexec_b32 s3, s2
	s_xor_b32 s2, exec_lo, s3
; %bb.105:
	v_add_nc_u32_e32 v10, v0, v13
	ds_read_u8 v10, v10 offset:1
; %bb.106:
	s_or_saveexec_b32 s2, s2
	v_mov_b32_e32 v11, v9
	s_xor_b32 exec_lo, exec_lo, s2
	s_cbranch_execz .LBB128_108
; %bb.107:
	s_waitcnt lgkmcnt(0)
	v_add_nc_u32_e32 v10, v0, v12
	ds_read_u8 v11, v10 offset:1
	v_mov_b32_e32 v10, v8
.LBB128_108:
	s_or_b32 exec_lo, exec_lo, s2
	v_add_nc_u32_e32 v14, 1, v13
	v_add_nc_u32_e32 v16, 1, v12
	s_waitcnt lgkmcnt(0)
	v_cmp_lt_u16_sdwa s3, v11, v10 src0_sel:BYTE_0 src1_sel:BYTE_0
	v_cndmask_b32_e64 v15, v14, v13, s1
	v_cndmask_b32_e64 v14, v12, v16, s1
                                        ; implicit-def: $vgpr12
	v_cmp_ge_i32_e32 vcc_lo, v15, v4
	v_cmp_lt_i32_e64 s2, v14, v7
	s_or_b32 s3, vcc_lo, s3
	s_and_b32 s2, s2, s3
	s_xor_b32 s3, s2, -1
	s_and_saveexec_b32 s4, s3
	s_xor_b32 s3, exec_lo, s4
; %bb.109:
	v_add_nc_u32_e32 v12, v0, v15
	ds_read_u8 v12, v12 offset:1
; %bb.110:
	s_or_saveexec_b32 s3, s3
	v_mov_b32_e32 v13, v11
	s_xor_b32 exec_lo, exec_lo, s3
	s_cbranch_execz .LBB128_112
; %bb.111:
	s_waitcnt lgkmcnt(0)
	v_add_nc_u32_e32 v12, v0, v14
	ds_read_u8 v13, v12 offset:1
	v_mov_b32_e32 v12, v10
.LBB128_112:
	s_or_b32 exec_lo, exec_lo, s3
	v_add_nc_u32_e32 v16, 1, v15
	v_add_nc_u32_e32 v18, 1, v14
	s_waitcnt lgkmcnt(0)
	v_cmp_lt_u16_sdwa s4, v13, v12 src0_sel:BYTE_0 src1_sel:BYTE_0
	v_cndmask_b32_e64 v17, v16, v15, s2
	v_cndmask_b32_e64 v16, v14, v18, s2
                                        ; implicit-def: $vgpr14
	v_cmp_ge_i32_e32 vcc_lo, v17, v4
	v_cmp_lt_i32_e64 s3, v16, v7
	s_or_b32 s4, vcc_lo, s4
	s_and_b32 s3, s3, s4
	s_xor_b32 s4, s3, -1
	s_and_saveexec_b32 s5, s4
	s_xor_b32 s4, exec_lo, s5
; %bb.113:
	v_add_nc_u32_e32 v14, v0, v17
	ds_read_u8 v14, v14 offset:1
; %bb.114:
	s_or_saveexec_b32 s4, s4
	v_mov_b32_e32 v15, v13
	s_xor_b32 exec_lo, exec_lo, s4
	s_cbranch_execz .LBB128_116
; %bb.115:
	s_waitcnt lgkmcnt(0)
	v_add_nc_u32_e32 v14, v0, v16
	ds_read_u8 v15, v14 offset:1
	v_mov_b32_e32 v14, v12
.LBB128_116:
	s_or_b32 exec_lo, exec_lo, s4
	v_add_nc_u32_e32 v18, 1, v17
	v_add_nc_u32_e32 v20, 1, v16
	s_waitcnt lgkmcnt(0)
	v_cmp_lt_u16_sdwa s5, v15, v14 src0_sel:BYTE_0 src1_sel:BYTE_0
	v_cndmask_b32_e64 v19, v18, v17, s3
	v_cndmask_b32_e64 v18, v16, v20, s3
                                        ; implicit-def: $vgpr16
	v_cmp_ge_i32_e32 vcc_lo, v19, v4
	v_cmp_lt_i32_e64 s4, v18, v7
	s_or_b32 s5, vcc_lo, s5
	s_and_b32 s4, s4, s5
	s_xor_b32 s5, s4, -1
	s_and_saveexec_b32 s6, s5
	s_xor_b32 s5, exec_lo, s6
; %bb.117:
	v_add_nc_u32_e32 v16, v0, v19
	ds_read_u8 v16, v16 offset:1
; %bb.118:
	s_or_saveexec_b32 s5, s5
	v_mov_b32_e32 v17, v15
	s_xor_b32 exec_lo, exec_lo, s5
	s_cbranch_execz .LBB128_120
; %bb.119:
	s_waitcnt lgkmcnt(0)
	v_add_nc_u32_e32 v16, v0, v18
	ds_read_u8 v17, v16 offset:1
	v_mov_b32_e32 v16, v14
.LBB128_120:
	s_or_b32 exec_lo, exec_lo, s5
	v_add_nc_u32_e32 v20, 1, v19
	v_add_nc_u32_e32 v22, 1, v18
	s_waitcnt lgkmcnt(0)
	v_cmp_lt_u16_sdwa s6, v17, v16 src0_sel:BYTE_0 src1_sel:BYTE_0
	v_cndmask_b32_e64 v21, v20, v19, s4
	v_cndmask_b32_e64 v20, v18, v22, s4
                                        ; implicit-def: $vgpr18
	v_cmp_ge_i32_e32 vcc_lo, v21, v4
	v_cmp_lt_i32_e64 s5, v20, v7
	s_or_b32 s6, vcc_lo, s6
	s_and_b32 vcc_lo, s5, s6
	s_xor_b32 s5, vcc_lo, -1
	s_and_saveexec_b32 s6, s5
	s_xor_b32 s5, exec_lo, s6
; %bb.121:
	v_add_nc_u32_e32 v18, v0, v21
	ds_read_u8 v18, v18 offset:1
; %bb.122:
	s_or_saveexec_b32 s5, s5
	v_mov_b32_e32 v19, v17
	s_xor_b32 exec_lo, exec_lo, s5
	s_cbranch_execz .LBB128_124
; %bb.123:
	s_waitcnt lgkmcnt(0)
	v_add_nc_u32_e32 v18, v0, v20
	ds_read_u8 v19, v18 offset:1
	v_mov_b32_e32 v18, v16
.LBB128_124:
	s_or_b32 exec_lo, exec_lo, s5
	v_add_nc_u32_e32 v22, 1, v21
	v_add_nc_u32_e32 v23, 1, v20
	s_waitcnt lgkmcnt(0)
	v_cmp_lt_u16_sdwa s8, v19, v18 src0_sel:BYTE_0 src1_sel:BYTE_0
	v_cndmask_b32_e32 v22, v22, v21, vcc_lo
	v_cndmask_b32_e32 v21, v20, v23, vcc_lo
                                        ; implicit-def: $vgpr20
	v_cmp_ge_i32_e64 s5, v22, v4
	v_cmp_lt_i32_e64 s6, v21, v7
	s_or_b32 s5, s5, s8
	s_and_b32 s5, s6, s5
	s_xor_b32 s6, s5, -1
	s_and_saveexec_b32 s8, s6
	s_xor_b32 s6, exec_lo, s8
; %bb.125:
	v_add_nc_u32_e32 v20, v0, v22
	ds_read_u8 v20, v20 offset:1
; %bb.126:
	s_or_saveexec_b32 s6, s6
	v_mov_b32_e32 v23, v19
	s_xor_b32 exec_lo, exec_lo, s6
	s_cbranch_execz .LBB128_128
; %bb.127:
	s_waitcnt lgkmcnt(0)
	v_add_nc_u32_e32 v20, v0, v21
	ds_read_u8 v23, v20 offset:1
	v_mov_b32_e32 v20, v18
.LBB128_128:
	s_or_b32 exec_lo, exec_lo, s6
	v_add_nc_u32_e32 v24, 1, v22
	v_add_nc_u32_e32 v25, 1, v21
	v_cndmask_b32_e64 v18, v18, v19, s5
	v_cndmask_b32_e64 v14, v14, v15, s4
	v_cndmask_b32_e64 v5, v5, v6, s0
	v_cndmask_b32_e64 v22, v24, v22, s5
	v_cndmask_b32_e64 v19, v21, v25, s5
	s_waitcnt lgkmcnt(0)
	v_cmp_lt_u16_sdwa s5, v23, v20 src0_sel:BYTE_0 src1_sel:BYTE_0
	v_cndmask_b32_sdwa v6, v16, v17, vcc_lo dst_sel:BYTE_1 dst_unused:UNUSED_PAD src0_sel:DWORD src1_sel:DWORD
	v_cmp_ge_i32_e64 s4, v22, v4
	v_cndmask_b32_e64 v4, v10, v11, s2
	v_cmp_lt_i32_e64 s2, v19, v7
	v_cndmask_b32_e64 v7, v8, v9, s1
	v_or_b32_sdwa v10, v14, v6 dst_sel:DWORD dst_unused:UNUSED_PAD src0_sel:BYTE_0 src1_sel:DWORD
	s_or_b32 s0, s4, s5
	v_subrev_nc_u32_e64 v6, 0x80, v2 clamp
	s_and_b32 vcc_lo, s2, s0
	v_lshlrev_b16 v7, 8, v7
	v_cndmask_b32_e32 v8, v20, v23, vcc_lo
	s_mov_b32 vcc_lo, s3
	s_mov_b32 s0, exec_lo
	v_cndmask_b32_sdwa v9, v12, v13, vcc_lo dst_sel:BYTE_1 dst_unused:UNUSED_PAD src0_sel:DWORD src1_sel:DWORD
	v_or_b32_sdwa v5, v5, v7 dst_sel:DWORD dst_unused:UNUSED_PAD src0_sel:BYTE_0 src1_sel:DWORD
	v_lshlrev_b16 v8, 8, v8
	; wave barrier
	v_or_b32_sdwa v9, v4, v9 dst_sel:WORD_1 dst_unused:UNUSED_PAD src0_sel:BYTE_0 src1_sel:DWORD
	v_min_u32_e32 v4, 0x80, v2
	v_or_b32_sdwa v8, v18, v8 dst_sel:WORD_1 dst_unused:UNUSED_PAD src0_sel:BYTE_0 src1_sel:DWORD
	v_or_b32_sdwa v7, v5, v9 dst_sel:DWORD dst_unused:UNUSED_PAD src0_sel:WORD_0 src1_sel:DWORD
	v_or_b32_sdwa v8, v10, v8 dst_sel:DWORD dst_unused:UNUSED_PAD src0_sel:WORD_0 src1_sel:DWORD
	ds_write_b64 v3, v[7:8]
	; wave barrier
	v_cmpx_lt_u32_e64 v6, v4
	s_cbranch_execz .LBB128_132
; %bb.129:
	s_mov_b32 s1, 0
	.p2align	6
.LBB128_130:                            ; =>This Inner Loop Header: Depth=1
	v_sub_nc_u32_e32 v5, v4, v6
	v_lshrrev_b32_e32 v5, 1, v5
	v_add_nc_u32_e32 v5, v5, v6
	v_add_nc_u32_e32 v7, v0, v5
	v_xad_u32 v8, v5, -1, v3
	v_add_nc_u32_e32 v9, 1, v5
	ds_read_u8 v7, v7
	ds_read_u8 v8, v8 offset:128
	s_waitcnt lgkmcnt(0)
	v_cmp_lt_u16_e32 vcc_lo, v8, v7
	v_cndmask_b32_e32 v4, v4, v5, vcc_lo
	v_cndmask_b32_e32 v6, v9, v6, vcc_lo
	v_cmp_ge_i32_e32 vcc_lo, v6, v4
	s_or_b32 s1, vcc_lo, s1
	s_andn2_b32 exec_lo, exec_lo, s1
	s_cbranch_execnz .LBB128_130
; %bb.131:
	s_or_b32 exec_lo, exec_lo, s1
.LBB128_132:
	s_or_b32 exec_lo, exec_lo, s0
	v_sub_nc_u32_e32 v4, v2, v6
	v_add_nc_u32_e32 v5, v0, v6
	v_cmp_lt_i32_e32 vcc_lo, 0x7f, v6
	v_add_nc_u32_e32 v8, v0, v4
	v_add_nc_u32_e32 v7, 0x80, v4
                                        ; implicit-def: $vgpr4
	ds_read_u8 v2, v5
	ds_read_u8 v3, v8 offset:128
	v_cmp_gt_i32_e64 s0, 0x100, v7
	s_waitcnt lgkmcnt(0)
	v_cmp_lt_u16_sdwa s1, v3, v2 src0_sel:BYTE_0 src1_sel:BYTE_0
	s_or_b32 s1, vcc_lo, s1
	s_and_b32 s0, s0, s1
	s_xor_b32 s1, s0, -1
	s_and_saveexec_b32 s2, s1
	s_xor_b32 s1, exec_lo, s2
; %bb.133:
	ds_read_u8 v4, v5 offset:1
                                        ; implicit-def: $vgpr8
; %bb.134:
	s_or_saveexec_b32 s1, s1
	v_mov_b32_e32 v5, v3
	s_xor_b32 exec_lo, exec_lo, s1
	s_cbranch_execz .LBB128_136
; %bb.135:
	ds_read_u8 v5, v8 offset:129
	s_waitcnt lgkmcnt(1)
	v_mov_b32_e32 v4, v2
.LBB128_136:
	s_or_b32 exec_lo, exec_lo, s1
	v_add_nc_u32_e32 v8, 1, v6
	v_add_nc_u32_e32 v10, 1, v7
	s_waitcnt lgkmcnt(0)
	v_cmp_lt_u16_sdwa s2, v5, v4 src0_sel:BYTE_0 src1_sel:BYTE_0
	v_cndmask_b32_e64 v9, v8, v6, s0
	v_cndmask_b32_e64 v8, v7, v10, s0
                                        ; implicit-def: $vgpr6
	v_cmp_lt_i32_e32 vcc_lo, 0x7f, v9
	v_cmp_gt_i32_e64 s1, 0x100, v8
	s_or_b32 s2, vcc_lo, s2
	s_and_b32 s1, s1, s2
	s_xor_b32 s2, s1, -1
	s_and_saveexec_b32 s3, s2
	s_xor_b32 s2, exec_lo, s3
; %bb.137:
	v_add_nc_u32_e32 v6, v0, v9
	ds_read_u8 v6, v6 offset:1
; %bb.138:
	s_or_saveexec_b32 s2, s2
	v_mov_b32_e32 v7, v5
	s_xor_b32 exec_lo, exec_lo, s2
	s_cbranch_execz .LBB128_140
; %bb.139:
	s_waitcnt lgkmcnt(0)
	v_add_nc_u32_e32 v6, v0, v8
	ds_read_u8 v7, v6 offset:1
	v_mov_b32_e32 v6, v4
.LBB128_140:
	s_or_b32 exec_lo, exec_lo, s2
	v_add_nc_u32_e32 v10, 1, v9
	v_add_nc_u32_e32 v12, 1, v8
	s_waitcnt lgkmcnt(0)
	v_cmp_lt_u16_sdwa s3, v7, v6 src0_sel:BYTE_0 src1_sel:BYTE_0
	v_cndmask_b32_e64 v11, v10, v9, s1
	v_cndmask_b32_e64 v10, v8, v12, s1
                                        ; implicit-def: $vgpr8
	v_cmp_lt_i32_e32 vcc_lo, 0x7f, v11
	v_cmp_gt_i32_e64 s2, 0x100, v10
	s_or_b32 s3, vcc_lo, s3
	s_and_b32 s2, s2, s3
	s_xor_b32 s3, s2, -1
	s_and_saveexec_b32 s4, s3
	s_xor_b32 s3, exec_lo, s4
; %bb.141:
	v_add_nc_u32_e32 v8, v0, v11
	ds_read_u8 v8, v8 offset:1
; %bb.142:
	s_or_saveexec_b32 s3, s3
	v_mov_b32_e32 v9, v7
	s_xor_b32 exec_lo, exec_lo, s3
	s_cbranch_execz .LBB128_144
; %bb.143:
	s_waitcnt lgkmcnt(0)
	v_add_nc_u32_e32 v8, v0, v10
	ds_read_u8 v9, v8 offset:1
	v_mov_b32_e32 v8, v6
.LBB128_144:
	s_or_b32 exec_lo, exec_lo, s3
	v_add_nc_u32_e32 v12, 1, v11
	v_add_nc_u32_e32 v14, 1, v10
	s_waitcnt lgkmcnt(0)
	v_cmp_lt_u16_sdwa s4, v9, v8 src0_sel:BYTE_0 src1_sel:BYTE_0
	v_cndmask_b32_e64 v13, v12, v11, s2
	v_cndmask_b32_e64 v12, v10, v14, s2
                                        ; implicit-def: $vgpr10
	v_cmp_lt_i32_e32 vcc_lo, 0x7f, v13
	v_cmp_gt_i32_e64 s3, 0x100, v12
	s_or_b32 s4, vcc_lo, s4
	s_and_b32 s3, s3, s4
	s_xor_b32 s4, s3, -1
	s_and_saveexec_b32 s5, s4
	s_xor_b32 s4, exec_lo, s5
; %bb.145:
	v_add_nc_u32_e32 v10, v0, v13
	ds_read_u8 v10, v10 offset:1
; %bb.146:
	s_or_saveexec_b32 s4, s4
	v_mov_b32_e32 v11, v9
	s_xor_b32 exec_lo, exec_lo, s4
	s_cbranch_execz .LBB128_148
; %bb.147:
	s_waitcnt lgkmcnt(0)
	v_add_nc_u32_e32 v10, v0, v12
	ds_read_u8 v11, v10 offset:1
	v_mov_b32_e32 v10, v8
.LBB128_148:
	s_or_b32 exec_lo, exec_lo, s4
	v_add_nc_u32_e32 v14, 1, v13
	v_add_nc_u32_e32 v16, 1, v12
	s_waitcnt lgkmcnt(0)
	v_cmp_lt_u16_sdwa s5, v11, v10 src0_sel:BYTE_0 src1_sel:BYTE_0
	v_cndmask_b32_e64 v15, v14, v13, s3
	v_cndmask_b32_e64 v14, v12, v16, s3
                                        ; implicit-def: $vgpr12
	v_cmp_lt_i32_e32 vcc_lo, 0x7f, v15
	v_cmp_gt_i32_e64 s4, 0x100, v14
	s_or_b32 s5, vcc_lo, s5
	s_and_b32 s4, s4, s5
	s_xor_b32 s5, s4, -1
	s_and_saveexec_b32 s6, s5
	s_xor_b32 s5, exec_lo, s6
; %bb.149:
	v_add_nc_u32_e32 v12, v0, v15
	ds_read_u8 v12, v12 offset:1
; %bb.150:
	s_or_saveexec_b32 s5, s5
	v_mov_b32_e32 v13, v11
	s_xor_b32 exec_lo, exec_lo, s5
	s_cbranch_execz .LBB128_152
; %bb.151:
	s_waitcnt lgkmcnt(0)
	v_add_nc_u32_e32 v12, v0, v14
	ds_read_u8 v13, v12 offset:1
	v_mov_b32_e32 v12, v10
.LBB128_152:
	s_or_b32 exec_lo, exec_lo, s5
	v_add_nc_u32_e32 v16, 1, v15
	v_add_nc_u32_e32 v18, 1, v14
	s_waitcnt lgkmcnt(0)
	v_cmp_lt_u16_sdwa s6, v13, v12 src0_sel:BYTE_0 src1_sel:BYTE_0
	v_cndmask_b32_e64 v17, v16, v15, s4
	v_cndmask_b32_e64 v16, v14, v18, s4
                                        ; implicit-def: $vgpr15
	v_cmp_lt_i32_e32 vcc_lo, 0x7f, v17
	v_cmp_gt_i32_e64 s5, 0x100, v16
	s_or_b32 s6, vcc_lo, s6
	s_and_b32 vcc_lo, s5, s6
	s_xor_b32 s5, vcc_lo, -1
	s_and_saveexec_b32 s6, s5
	s_xor_b32 s5, exec_lo, s6
; %bb.153:
	v_add_nc_u32_e32 v14, v0, v17
	ds_read_u8 v15, v14 offset:1
; %bb.154:
	s_or_saveexec_b32 s5, s5
	v_mov_b32_e32 v14, v13
	s_xor_b32 exec_lo, exec_lo, s5
	s_cbranch_execz .LBB128_156
; %bb.155:
	v_add_nc_u32_e32 v14, v0, v16
	s_waitcnt lgkmcnt(0)
	v_mov_b32_e32 v15, v12
	ds_read_u8 v14, v14 offset:1
.LBB128_156:
	s_or_b32 exec_lo, exec_lo, s5
	v_add_nc_u32_e32 v18, 1, v17
	v_add_nc_u32_e32 v19, 1, v16
	s_waitcnt lgkmcnt(0)
	v_cmp_ge_u16_sdwa s8, v14, v15 src0_sel:BYTE_0 src1_sel:BYTE_0
	v_cndmask_b32_e32 v20, v18, v17, vcc_lo
	v_cndmask_b32_e32 v16, v16, v19, vcc_lo
                                        ; implicit-def: $vgpr18
                                        ; implicit-def: $vgpr19
	v_cmp_gt_i32_e64 s5, 0x80, v20
	v_cmp_lt_i32_e64 s6, 0xff, v16
	s_and_b32 s5, s5, s8
	s_or_b32 s5, s6, s5
	s_and_saveexec_b32 s6, s5
	s_xor_b32 s5, exec_lo, s6
; %bb.157:
	v_add_nc_u32_e32 v0, v0, v20
	v_add_nc_u32_e32 v19, 1, v20
                                        ; implicit-def: $vgpr20
	ds_read_u8 v18, v0 offset:1
                                        ; implicit-def: $vgpr0
; %bb.158:
	s_or_saveexec_b32 s5, s5
	v_mov_b32_e32 v17, v15
	s_xor_b32 exec_lo, exec_lo, s5
	s_cbranch_execz .LBB128_160
; %bb.159:
	v_add_nc_u32_e32 v0, v0, v16
	v_add_nc_u32_e32 v16, 1, v16
	v_mov_b32_e32 v17, v14
	v_mov_b32_e32 v19, v20
	s_waitcnt lgkmcnt(0)
	v_mov_b32_e32 v18, v15
	ds_read_u8 v0, v0 offset:1
	s_waitcnt lgkmcnt(0)
	v_mov_b32_e32 v14, v0
.LBB128_160:
	s_or_b32 exec_lo, exec_lo, s5
	v_cmp_lt_i32_e64 s5, 0x7f, v19
	s_waitcnt lgkmcnt(0)
	v_cmp_lt_u16_sdwa s6, v14, v18 src0_sel:BYTE_0 src1_sel:BYTE_0
	v_cndmask_b32_e64 v10, v10, v11, s4
	v_cmp_gt_i32_e64 s4, 0x100, v16
	v_cndmask_b32_sdwa v0, v12, v13, vcc_lo dst_sel:BYTE_1 dst_unused:UNUSED_PAD src0_sel:DWORD src1_sel:DWORD
	s_mov_b32 vcc_lo, s3
	s_or_b32 s5, s5, s6
	v_cndmask_b32_sdwa v8, v8, v9, vcc_lo dst_sel:BYTE_1 dst_unused:UNUSED_PAD src0_sel:DWORD src1_sel:DWORD
	s_and_b32 vcc_lo, s4, s5
	v_cndmask_b32_e64 v2, v2, v3, s0
	v_cndmask_b32_e32 v9, v18, v14, vcc_lo
	s_mov_b32 vcc_lo, s1
	v_cndmask_b32_e64 v3, v6, v7, s2
	v_cndmask_b32_sdwa v4, v4, v5, vcc_lo dst_sel:BYTE_1 dst_unused:UNUSED_PAD src0_sel:DWORD src1_sel:DWORD
	s_add_u32 s0, s10, s7
	v_lshlrev_b16 v5, 8, v9
	s_addc_u32 s1, s11, 0
	v_or_b32_sdwa v3, v3, v8 dst_sel:WORD_1 dst_unused:UNUSED_PAD src0_sel:BYTE_0 src1_sel:DWORD
	v_or_b32_sdwa v2, v2, v4 dst_sel:DWORD dst_unused:UNUSED_PAD src0_sel:BYTE_0 src1_sel:DWORD
	v_or_b32_sdwa v4, v10, v0 dst_sel:DWORD dst_unused:UNUSED_PAD src0_sel:BYTE_0 src1_sel:DWORD
	v_or_b32_sdwa v5, v17, v5 dst_sel:WORD_1 dst_unused:UNUSED_PAD src0_sel:BYTE_0 src1_sel:DWORD
	v_add_co_u32 v0, s0, s0, v1
	v_add_co_ci_u32_e64 v1, null, s1, 0, s0
	v_or_b32_sdwa v2, v2, v3 dst_sel:DWORD dst_unused:UNUSED_PAD src0_sel:WORD_0 src1_sel:DWORD
	v_or_b32_sdwa v3, v4, v5 dst_sel:DWORD dst_unused:UNUSED_PAD src0_sel:WORD_0 src1_sel:DWORD
	global_store_dwordx2 v[0:1], v[2:3], off
	s_endpgm
	.section	.rodata,"a",@progbits
	.p2align	6, 0x0
	.amdhsa_kernel _Z9sort_keysILj256ELj32ELj8EhN10test_utils4lessEEvPKT2_PS2_T3_
		.amdhsa_group_segment_fixed_size 2056
		.amdhsa_private_segment_fixed_size 0
		.amdhsa_kernarg_size 20
		.amdhsa_user_sgpr_count 6
		.amdhsa_user_sgpr_private_segment_buffer 1
		.amdhsa_user_sgpr_dispatch_ptr 0
		.amdhsa_user_sgpr_queue_ptr 0
		.amdhsa_user_sgpr_kernarg_segment_ptr 1
		.amdhsa_user_sgpr_dispatch_id 0
		.amdhsa_user_sgpr_flat_scratch_init 0
		.amdhsa_user_sgpr_private_segment_size 0
		.amdhsa_wavefront_size32 1
		.amdhsa_uses_dynamic_stack 0
		.amdhsa_system_sgpr_private_segment_wavefront_offset 0
		.amdhsa_system_sgpr_workgroup_id_x 1
		.amdhsa_system_sgpr_workgroup_id_y 0
		.amdhsa_system_sgpr_workgroup_id_z 0
		.amdhsa_system_sgpr_workgroup_info 0
		.amdhsa_system_vgpr_workitem_id 0
		.amdhsa_next_free_vgpr 26
		.amdhsa_next_free_sgpr 12
		.amdhsa_reserve_vcc 1
		.amdhsa_reserve_flat_scratch 0
		.amdhsa_float_round_mode_32 0
		.amdhsa_float_round_mode_16_64 0
		.amdhsa_float_denorm_mode_32 3
		.amdhsa_float_denorm_mode_16_64 3
		.amdhsa_dx10_clamp 1
		.amdhsa_ieee_mode 1
		.amdhsa_fp16_overflow 0
		.amdhsa_workgroup_processor_mode 1
		.amdhsa_memory_ordered 1
		.amdhsa_forward_progress 1
		.amdhsa_shared_vgpr_count 0
		.amdhsa_exception_fp_ieee_invalid_op 0
		.amdhsa_exception_fp_denorm_src 0
		.amdhsa_exception_fp_ieee_div_zero 0
		.amdhsa_exception_fp_ieee_overflow 0
		.amdhsa_exception_fp_ieee_underflow 0
		.amdhsa_exception_fp_ieee_inexact 0
		.amdhsa_exception_int_div_zero 0
	.end_amdhsa_kernel
	.section	.text._Z9sort_keysILj256ELj32ELj8EhN10test_utils4lessEEvPKT2_PS2_T3_,"axG",@progbits,_Z9sort_keysILj256ELj32ELj8EhN10test_utils4lessEEvPKT2_PS2_T3_,comdat
.Lfunc_end128:
	.size	_Z9sort_keysILj256ELj32ELj8EhN10test_utils4lessEEvPKT2_PS2_T3_, .Lfunc_end128-_Z9sort_keysILj256ELj32ELj8EhN10test_utils4lessEEvPKT2_PS2_T3_
                                        ; -- End function
	.set _Z9sort_keysILj256ELj32ELj8EhN10test_utils4lessEEvPKT2_PS2_T3_.num_vgpr, 26
	.set _Z9sort_keysILj256ELj32ELj8EhN10test_utils4lessEEvPKT2_PS2_T3_.num_agpr, 0
	.set _Z9sort_keysILj256ELj32ELj8EhN10test_utils4lessEEvPKT2_PS2_T3_.numbered_sgpr, 12
	.set _Z9sort_keysILj256ELj32ELj8EhN10test_utils4lessEEvPKT2_PS2_T3_.num_named_barrier, 0
	.set _Z9sort_keysILj256ELj32ELj8EhN10test_utils4lessEEvPKT2_PS2_T3_.private_seg_size, 0
	.set _Z9sort_keysILj256ELj32ELj8EhN10test_utils4lessEEvPKT2_PS2_T3_.uses_vcc, 1
	.set _Z9sort_keysILj256ELj32ELj8EhN10test_utils4lessEEvPKT2_PS2_T3_.uses_flat_scratch, 0
	.set _Z9sort_keysILj256ELj32ELj8EhN10test_utils4lessEEvPKT2_PS2_T3_.has_dyn_sized_stack, 0
	.set _Z9sort_keysILj256ELj32ELj8EhN10test_utils4lessEEvPKT2_PS2_T3_.has_recursion, 0
	.set _Z9sort_keysILj256ELj32ELj8EhN10test_utils4lessEEvPKT2_PS2_T3_.has_indirect_call, 0
	.section	.AMDGPU.csdata,"",@progbits
; Kernel info:
; codeLenInByte = 8044
; TotalNumSgprs: 14
; NumVgprs: 26
; ScratchSize: 0
; MemoryBound: 0
; FloatMode: 240
; IeeeMode: 1
; LDSByteSize: 2056 bytes/workgroup (compile time only)
; SGPRBlocks: 0
; VGPRBlocks: 3
; NumSGPRsForWavesPerEU: 14
; NumVGPRsForWavesPerEU: 26
; Occupancy: 16
; WaveLimiterHint : 0
; COMPUTE_PGM_RSRC2:SCRATCH_EN: 0
; COMPUTE_PGM_RSRC2:USER_SGPR: 6
; COMPUTE_PGM_RSRC2:TRAP_HANDLER: 0
; COMPUTE_PGM_RSRC2:TGID_X_EN: 1
; COMPUTE_PGM_RSRC2:TGID_Y_EN: 0
; COMPUTE_PGM_RSRC2:TGID_Z_EN: 0
; COMPUTE_PGM_RSRC2:TIDIG_COMP_CNT: 0
	.section	.text._Z10sort_pairsILj256ELj32ELj8EhN10test_utils4lessEEvPKT2_PS2_T3_,"axG",@progbits,_Z10sort_pairsILj256ELj32ELj8EhN10test_utils4lessEEvPKT2_PS2_T3_,comdat
	.protected	_Z10sort_pairsILj256ELj32ELj8EhN10test_utils4lessEEvPKT2_PS2_T3_ ; -- Begin function _Z10sort_pairsILj256ELj32ELj8EhN10test_utils4lessEEvPKT2_PS2_T3_
	.globl	_Z10sort_pairsILj256ELj32ELj8EhN10test_utils4lessEEvPKT2_PS2_T3_
	.p2align	8
	.type	_Z10sort_pairsILj256ELj32ELj8EhN10test_utils4lessEEvPKT2_PS2_T3_,@function
_Z10sort_pairsILj256ELj32ELj8EhN10test_utils4lessEEvPKT2_PS2_T3_: ; @_Z10sort_pairsILj256ELj32ELj8EhN10test_utils4lessEEvPKT2_PS2_T3_
; %bb.0:
	s_load_dwordx4 s[36:39], s[4:5], 0x0
	s_lshl_b32 s40, s6, 11
	v_lshlrev_b32_e32 v3, 3, v0
	v_mov_b32_e32 v14, 0xff
	v_lshrrev_b32_e32 v0, 5, v0
	v_mov_b32_e32 v16, 0
	s_mov_b32 s28, 0
	s_mov_b32 s29, exec_lo
	s_waitcnt lgkmcnt(0)
	s_add_u32 s0, s36, s40
	s_addc_u32 s1, s37, 0
	global_load_dwordx2 v[1:2], v3, s[0:1]
	; wave barrier
	s_waitcnt vmcnt(0)
	v_lshrrev_b32_e32 v4, 8, v1
	v_lshrrev_b32_e32 v9, 16, v1
	;; [unrolled: 1-line block ×3, first 2 shown]
	v_perm_b32 v13, v2, v2, 0x7060405
	v_lshlrev_b16 v5, 8, v4
	v_and_b32_e32 v7, 0xff, v4
	v_perm_b32 v4, 0, v1, 0xc0c0001
	v_perm_b32 v6, 0, v9, 0xc0c0001
	v_or_b32_sdwa v8, v1, v5 dst_sel:DWORD dst_unused:UNUSED_PAD src0_sel:BYTE_0 src1_sel:DWORD
	v_lshlrev_b16 v5, 8, v11
	v_lshlrev_b32_e32 v12, 16, v6
	v_lshrrev_b32_e32 v6, 8, v2
	v_cmp_lt_u16_sdwa s0, v7, v8 src0_sel:DWORD src1_sel:BYTE_0
	v_or_b32_sdwa v10, v9, v5 dst_sel:DWORD dst_unused:UNUSED_PAD src0_sel:BYTE_0 src1_sel:DWORD
	v_cmp_lt_u16_sdwa s3, v6, v2 src0_sel:BYTE_0 src1_sel:BYTE_0
	v_cndmask_b32_e64 v4, v1, v4, s0
	v_cmp_lt_u16_sdwa s5, v11, v10 src0_sel:DWORD src1_sel:BYTE_0
	v_cndmask_b32_e64 v9, v2, v13, s3
	v_bfi_b32 v1, 0xffff, v4, v1
	v_and_or_b32 v4, 0xffff, v4, v12
	v_perm_b32 v11, v9, v9, 0x6070504
	v_cndmask_b32_e64 v1, v1, v4, s5
	v_and_b32_sdwa v4, v9, v14 dst_sel:DWORD dst_unused:UNUSED_PAD src0_sel:WORD_1 src1_sel:DWORD
	v_and_b32_sdwa v12, v1, v14 dst_sel:DWORD dst_unused:UNUSED_PAD src0_sel:WORD_1 src1_sel:DWORD
	v_lshrrev_b32_e32 v13, 8, v1
	v_perm_b32 v15, v1, v1, 0x7050604
	v_cmp_lt_u16_sdwa s6, v9, v4 src0_sel:BYTE_3 src1_sel:DWORD
	v_cmp_lt_u16_sdwa s7, v12, v13 src0_sel:DWORD src1_sel:BYTE_0
	v_cndmask_b32_e64 v4, v9, v11, s6
	v_cndmask_b32_e64 v1, v1, v15, s7
	v_lshlrev_b16 v9, 8, v4
	v_and_b32_sdwa v11, v1, v14 dst_sel:DWORD dst_unused:UNUSED_PAD src0_sel:WORD_1 src1_sel:DWORD
	v_cmp_lt_u16_sdwa s4, v4, v1 src0_sel:BYTE_0 src1_sel:BYTE_3
	v_or_b32_sdwa v9, v11, v9 dst_sel:WORD_1 dst_unused:UNUSED_PAD src0_sel:DWORD src1_sel:DWORD
	v_and_or_b32 v9, 0xffff, v1, v9
	v_cndmask_b32_e64 v9, v1, v9, s4
	v_perm_b32 v1, v1, v4, 0x3020107
	v_perm_b32 v11, 0, v9, 0xc0c0001
	v_lshrrev_b32_e32 v12, 8, v9
	v_cndmask_b32_e64 v1, v4, v1, s4
	v_and_or_b32 v11, 0xffff0000, v9, v11
	v_cmp_lt_u16_sdwa s9, v12, v9 src0_sel:BYTE_0 src1_sel:BYTE_0
	v_lshrrev_b32_e32 v12, 8, v1
	v_perm_b32 v13, v1, v1, 0x7050604
	v_cndmask_b32_e64 v4, v9, v11, s9
	v_and_b32_sdwa v9, v1, v14 dst_sel:DWORD dst_unused:UNUSED_PAD src0_sel:WORD_1 src1_sel:DWORD
	v_lshrrev_b32_e32 v11, 16, v4
	v_cmp_lt_u16_sdwa s10, v9, v12 src0_sel:DWORD src1_sel:BYTE_0
	v_perm_b32 v15, 0, v11, 0xc0c0001
	v_cndmask_b32_e64 v1, v1, v13, s10
	v_cmp_lt_u16_sdwa s12, v4, v11 src0_sel:BYTE_3 src1_sel:BYTE_0
	v_lshlrev_b32_e32 v9, 16, v15
	v_lshrrev_b32_e32 v12, 8, v1
	v_perm_b32 v13, v1, v1, 0x7060405
	v_and_or_b32 v9, 0xffff, v4, v9
	v_cmp_lt_u16_sdwa s11, v12, v1 src0_sel:BYTE_0 src1_sel:BYTE_0
	v_cndmask_b32_e64 v4, v4, v9, s12
	v_cndmask_b32_e64 v1, v1, v13, s11
	v_and_b32_sdwa v12, v4, v14 dst_sel:DWORD dst_unused:UNUSED_PAD src0_sel:WORD_1 src1_sel:DWORD
	v_and_b32_sdwa v9, v1, v14 dst_sel:DWORD dst_unused:UNUSED_PAD src0_sel:WORD_1 src1_sel:DWORD
	v_lshrrev_b32_e32 v13, 8, v4
	v_perm_b32 v11, v1, v1, 0x6070504
	v_perm_b32 v15, v4, v4, 0x7050604
	v_cmp_lt_u16_sdwa s15, v1, v9 src0_sel:BYTE_3 src1_sel:DWORD
	v_cmp_lt_u16_sdwa s16, v12, v13 src0_sel:DWORD src1_sel:BYTE_0
	v_cndmask_b32_e64 v1, v1, v11, s15
	v_cndmask_b32_e64 v4, v4, v15, s16
	v_lshlrev_b16 v9, 8, v1
	v_and_b32_sdwa v11, v4, v14 dst_sel:DWORD dst_unused:UNUSED_PAD src0_sel:WORD_1 src1_sel:DWORD
	v_cmp_lt_u16_sdwa s14, v1, v4 src0_sel:BYTE_0 src1_sel:BYTE_3
	v_or_b32_sdwa v9, v11, v9 dst_sel:WORD_1 dst_unused:UNUSED_PAD src0_sel:DWORD src1_sel:DWORD
	v_and_or_b32 v9, 0xffff, v4, v9
	v_cndmask_b32_e64 v9, v4, v9, s14
	v_perm_b32 v4, v4, v1, 0x3020107
	v_perm_b32 v11, 0, v9, 0xc0c0001
	v_lshrrev_b32_e32 v12, 8, v9
	v_cndmask_b32_e64 v1, v1, v4, s14
	v_and_or_b32 v11, 0xffff0000, v9, v11
	v_cmp_lt_u16_sdwa s19, v12, v9 src0_sel:BYTE_0 src1_sel:BYTE_0
	v_lshrrev_b32_e32 v12, 8, v1
	v_perm_b32 v13, v1, v1, 0x7050604
	v_cndmask_b32_e64 v4, v9, v11, s19
	v_and_b32_sdwa v9, v1, v14 dst_sel:DWORD dst_unused:UNUSED_PAD src0_sel:WORD_1 src1_sel:DWORD
	v_lshrrev_b32_e32 v11, 16, v4
	v_cmp_lt_u16_sdwa s20, v9, v12 src0_sel:DWORD src1_sel:BYTE_0
	v_perm_b32 v15, 0, v11, 0xc0c0001
	v_cndmask_b32_e64 v1, v1, v13, s20
	v_cmp_lt_u16_sdwa s23, v4, v11 src0_sel:BYTE_3 src1_sel:BYTE_0
	v_lshlrev_b32_e32 v9, 16, v15
	v_lshrrev_b32_e32 v12, 8, v1
	v_perm_b32 v13, v1, v1, 0x7060405
	v_and_or_b32 v9, 0xffff, v4, v9
	v_cmp_lt_u16_sdwa s22, v12, v1 src0_sel:BYTE_0 src1_sel:BYTE_0
	v_cndmask_b32_e64 v4, v4, v9, s23
	v_cndmask_b32_e64 v1, v1, v13, s22
	v_and_b32_sdwa v12, v4, v14 dst_sel:DWORD dst_unused:UNUSED_PAD src0_sel:WORD_1 src1_sel:DWORD
	v_and_b32_sdwa v9, v1, v14 dst_sel:DWORD dst_unused:UNUSED_PAD src0_sel:WORD_1 src1_sel:DWORD
	v_lshrrev_b32_e32 v13, 8, v4
	v_perm_b32 v11, v1, v1, 0x6070504
	;; [unrolled: 37-line block ×3, first 2 shown]
	v_perm_b32 v15, v4, v4, 0x7050604
	v_cmp_lt_u16_sdwa s1, v1, v9 src0_sel:BYTE_3 src1_sel:DWORD
	v_cmp_lt_u16_sdwa s2, v12, v13 src0_sel:DWORD src1_sel:BYTE_0
	v_cndmask_b32_e64 v1, v1, v11, s1
	v_cndmask_b32_e64 v12, v4, v15, s2
	v_mbcnt_lo_u32_b32 v4, -1, 0
	v_lshlrev_b16 v9, 8, v1
	v_and_b32_sdwa v11, v12, v14 dst_sel:DWORD dst_unused:UNUSED_PAD src0_sel:WORD_1 src1_sel:DWORD
	v_lshlrev_b32_e32 v4, 3, v4
	v_perm_b32 v13, v12, v1, 0x3020107
	v_cmp_lt_u16_sdwa s8, v1, v12 src0_sel:BYTE_0 src1_sel:BYTE_3
	v_or_b32_sdwa v9, v11, v9 dst_sel:WORD_1 dst_unused:UNUSED_PAD src0_sel:DWORD src1_sel:DWORD
	v_and_b32_e32 v11, 0xf0, v4
	v_cndmask_b32_e64 v18, v1, v13, s8
	v_mad_u32_u24 v1, 0x101, v0, v4
	v_and_or_b32 v15, 0xffff, v12, v9
	v_or_b32_e32 v9, 8, v11
	v_mul_u32_u24_e32 v0, 0x101, v0
	v_and_b32_sdwa v14, v18, v14 dst_sel:DWORD dst_unused:UNUSED_PAD src0_sel:WORD_1 src1_sel:DWORD
	v_lshrrev_b32_e32 v19, 8, v18
	v_cndmask_b32_e64 v17, v12, v15, s8
	v_and_b32_e32 v15, 8, v4
	v_sub_nc_u32_e32 v13, v9, v11
	v_perm_b32 v20, v18, v18, 0x7050604
	v_cmp_lt_u16_sdwa s13, v14, v19 src0_sel:DWORD src1_sel:BYTE_0
	v_mov_b32_e32 v12, 0
	v_min_i32_e32 v13, v15, v13
	v_cndmask_b32_e64 v18, v18, v20, s13
	ds_write_b64 v1, v[17:18]
	; wave barrier
	v_cmpx_lt_i32_e32 0, v13
	s_cbranch_execz .LBB129_4
; %bb.1:
	v_add_nc_u32_e32 v14, v0, v11
	v_add_nc_u32_e32 v16, v14, v15
	.p2align	6
.LBB129_2:                              ; =>This Inner Loop Header: Depth=1
	v_sub_nc_u32_e32 v17, v13, v12
	v_lshrrev_b32_e32 v17, 1, v17
	v_add_nc_u32_e32 v17, v17, v12
	v_add_nc_u32_e32 v18, v14, v17
	v_xad_u32 v19, v17, -1, v16
	v_add_nc_u32_e32 v20, 1, v17
	ds_read_u8 v18, v18
	ds_read_u8 v19, v19 offset:8
	s_waitcnt lgkmcnt(0)
	v_cmp_lt_u16_e32 vcc_lo, v19, v18
	v_cndmask_b32_e32 v13, v13, v17, vcc_lo
	v_cndmask_b32_e32 v12, v20, v12, vcc_lo
	v_cmp_ge_i32_e32 vcc_lo, v12, v13
	s_or_b32 s28, vcc_lo, s28
	s_andn2_b32 exec_lo, exec_lo, s28
	s_cbranch_execnz .LBB129_2
; %bb.3:
	s_or_b32 exec_lo, exec_lo, s28
	v_mov_b32_e32 v16, v12
.LBB129_4:
	s_or_b32 exec_lo, exec_lo, s29
	v_mov_b32_e32 v12, 24
	v_add_nc_u32_e32 v13, v11, v15
	v_add_nc_u32_e32 v15, v9, v15
	v_cmp_lt_i32_e32 vcc_lo, 7, v16
	v_lshrrev_b32_e32 v27, 16, v2
	v_lshrrev_b32_sdwa v24, v12, v2 dst_sel:BYTE_1 dst_unused:UNUSED_PAD src0_sel:DWORD src1_sel:DWORD
	v_add_nc_u32_e32 v12, v16, v11
	v_sub_nc_u32_e32 v13, v13, v16
	v_add_nc_u32_e32 v11, 16, v11
	v_sub_nc_u32_e32 v15, v15, v16
                                        ; implicit-def: $vgpr16
	v_add_nc_u32_e32 v17, v0, v12
	v_add_nc_u32_e32 v18, v0, v13
	ds_read_u8 v13, v17
	ds_read_u8 v14, v18 offset:8
	v_cmp_gt_i32_e64 s28, v11, v15
	s_waitcnt lgkmcnt(0)
	v_cmp_lt_u16_sdwa s29, v14, v13 src0_sel:BYTE_0 src1_sel:BYTE_0
	s_or_b32 s29, vcc_lo, s29
	s_and_b32 s28, s28, s29
	s_xor_b32 s29, s28, -1
	s_and_saveexec_b32 s30, s29
	s_xor_b32 s29, exec_lo, s30
; %bb.5:
	ds_read_u8 v16, v17 offset:1
                                        ; implicit-def: $vgpr18
; %bb.6:
	s_or_saveexec_b32 s29, s29
	v_mov_b32_e32 v17, v14
	s_xor_b32 exec_lo, exec_lo, s29
	s_cbranch_execz .LBB129_8
; %bb.7:
	ds_read_u8 v17, v18 offset:9
	s_waitcnt lgkmcnt(1)
	v_mov_b32_e32 v16, v13
.LBB129_8:
	s_or_b32 exec_lo, exec_lo, s29
	v_add_nc_u32_e32 v18, 1, v12
	v_add_nc_u32_e32 v19, 1, v15
	s_waitcnt lgkmcnt(0)
	v_cmp_lt_u16_sdwa s30, v17, v16 src0_sel:BYTE_0 src1_sel:BYTE_0
                                        ; implicit-def: $vgpr20
	v_cndmask_b32_e64 v18, v18, v12, s28
	v_cndmask_b32_e64 v19, v15, v19, s28
	v_cmp_ge_i32_e32 vcc_lo, v18, v9
	v_cmp_lt_i32_e64 s29, v19, v11
	s_or_b32 s30, vcc_lo, s30
	s_and_b32 s29, s29, s30
	s_xor_b32 s30, s29, -1
	s_and_saveexec_b32 s31, s30
	s_xor_b32 s30, exec_lo, s31
; %bb.9:
	v_add_nc_u32_e32 v20, v0, v18
	ds_read_u8 v20, v20 offset:1
; %bb.10:
	s_or_saveexec_b32 s30, s30
	v_mov_b32_e32 v21, v17
	s_xor_b32 exec_lo, exec_lo, s30
	s_cbranch_execz .LBB129_12
; %bb.11:
	s_waitcnt lgkmcnt(0)
	v_add_nc_u32_e32 v20, v0, v19
	ds_read_u8 v21, v20 offset:1
	v_mov_b32_e32 v20, v16
.LBB129_12:
	s_or_b32 exec_lo, exec_lo, s30
	v_add_nc_u32_e32 v22, 1, v18
	v_add_nc_u32_e32 v23, 1, v19
	s_waitcnt lgkmcnt(0)
	v_cmp_lt_u16_sdwa s31, v21, v20 src0_sel:BYTE_0 src1_sel:BYTE_0
                                        ; implicit-def: $vgpr25
	v_cndmask_b32_e64 v22, v22, v18, s29
	v_cndmask_b32_e64 v23, v19, v23, s29
	v_cmp_ge_i32_e32 vcc_lo, v22, v9
	v_cmp_lt_i32_e64 s30, v23, v11
	s_or_b32 s31, vcc_lo, s31
	s_and_b32 s30, s30, s31
	s_xor_b32 s31, s30, -1
	s_and_saveexec_b32 s33, s31
	s_xor_b32 s31, exec_lo, s33
; %bb.13:
	v_add_nc_u32_e32 v25, v0, v22
	ds_read_u8 v25, v25 offset:1
; %bb.14:
	s_or_saveexec_b32 s31, s31
	v_mov_b32_e32 v28, v21
	s_xor_b32 exec_lo, exec_lo, s31
	s_cbranch_execz .LBB129_16
; %bb.15:
	s_waitcnt lgkmcnt(0)
	v_add_nc_u32_e32 v25, v0, v23
	ds_read_u8 v28, v25 offset:1
	v_mov_b32_e32 v25, v20
.LBB129_16:
	s_or_b32 exec_lo, exec_lo, s31
	v_add_nc_u32_e32 v26, 1, v22
	v_add_nc_u32_e32 v29, 1, v23
	s_waitcnt lgkmcnt(0)
	v_cmp_lt_u16_sdwa s33, v28, v25 src0_sel:BYTE_0 src1_sel:BYTE_0
                                        ; implicit-def: $vgpr32
	v_cndmask_b32_e64 v30, v26, v22, s30
	v_cndmask_b32_e64 v31, v23, v29, s30
	v_cmp_ge_i32_e32 vcc_lo, v30, v9
	v_cmp_lt_i32_e64 s31, v31, v11
	s_or_b32 s33, vcc_lo, s33
	s_and_b32 s31, s31, s33
	s_xor_b32 s33, s31, -1
	s_and_saveexec_b32 s34, s33
	s_xor_b32 s33, exec_lo, s34
; %bb.17:
	v_add_nc_u32_e32 v26, v0, v30
	ds_read_u8 v32, v26 offset:1
; %bb.18:
	s_or_saveexec_b32 s33, s33
	v_mov_b32_e32 v33, v28
	s_xor_b32 exec_lo, exec_lo, s33
	s_cbranch_execz .LBB129_20
; %bb.19:
	v_add_nc_u32_e32 v26, v0, v31
	s_waitcnt lgkmcnt(0)
	v_mov_b32_e32 v32, v25
	ds_read_u8 v33, v26 offset:1
.LBB129_20:
	s_or_b32 exec_lo, exec_lo, s33
	v_add_nc_u32_e32 v26, 1, v30
	v_add_nc_u32_e32 v29, 1, v31
	s_waitcnt lgkmcnt(0)
	v_cmp_lt_u16_sdwa s34, v33, v32 src0_sel:BYTE_0 src1_sel:BYTE_0
	v_cndmask_b32_e64 v37, v26, v30, s31
	v_cndmask_b32_e64 v38, v31, v29, s31
                                        ; implicit-def: $vgpr26
	v_cmp_ge_i32_e32 vcc_lo, v37, v9
	v_cmp_lt_i32_e64 s33, v38, v11
	s_or_b32 s34, vcc_lo, s34
	s_and_b32 s34, s33, s34
	s_xor_b32 s33, s34, -1
	s_and_saveexec_b32 s35, s33
	s_xor_b32 s33, exec_lo, s35
; %bb.21:
	v_add_nc_u32_e32 v26, v0, v37
	ds_read_u8 v26, v26 offset:1
; %bb.22:
	s_or_saveexec_b32 s33, s33
	v_mov_b32_e32 v29, v33
	s_xor_b32 exec_lo, exec_lo, s33
	s_cbranch_execz .LBB129_24
; %bb.23:
	s_waitcnt lgkmcnt(0)
	v_add_nc_u32_e32 v26, v0, v38
	ds_read_u8 v29, v26 offset:1
	v_mov_b32_e32 v26, v32
.LBB129_24:
	s_or_b32 exec_lo, exec_lo, s33
	v_add_nc_u32_e32 v34, 1, v37
	v_add_nc_u32_e32 v35, 1, v38
	s_waitcnt lgkmcnt(0)
	v_cmp_lt_u16_sdwa s35, v29, v26 src0_sel:BYTE_0 src1_sel:BYTE_0
                                        ; implicit-def: $vgpr42
	v_cndmask_b32_e64 v40, v34, v37, s34
	v_cndmask_b32_e64 v41, v38, v35, s34
	v_cmp_ge_i32_e32 vcc_lo, v40, v9
	v_cmp_lt_i32_e64 s33, v41, v11
	s_or_b32 s35, vcc_lo, s35
	s_and_b32 vcc_lo, s33, s35
	s_xor_b32 s33, vcc_lo, -1
	s_and_saveexec_b32 s35, s33
	s_xor_b32 s33, exec_lo, s35
; %bb.25:
	v_add_nc_u32_e32 v34, v0, v40
	ds_read_u8 v42, v34 offset:1
; %bb.26:
	s_or_saveexec_b32 s33, s33
	v_mov_b32_e32 v43, v29
	s_xor_b32 exec_lo, exec_lo, s33
	s_cbranch_execz .LBB129_28
; %bb.27:
	v_add_nc_u32_e32 v34, v0, v41
	s_waitcnt lgkmcnt(0)
	v_mov_b32_e32 v42, v26
	ds_read_u8 v43, v34 offset:1
.LBB129_28:
	s_or_b32 exec_lo, exec_lo, s33
	v_add_nc_u32_e32 v34, 1, v40
	v_add_nc_u32_e32 v36, 1, v41
	s_waitcnt lgkmcnt(0)
	v_cmp_lt_u16_sdwa s36, v43, v42 src0_sel:BYTE_0 src1_sel:BYTE_0
	v_cndmask_b32_e32 v35, v34, v40, vcc_lo
	v_cndmask_b32_e32 v36, v41, v36, vcc_lo
                                        ; implicit-def: $vgpr34
	v_cmp_ge_i32_e64 s33, v35, v9
	v_cmp_lt_i32_e64 s35, v36, v11
	s_or_b32 s33, s33, s36
	s_and_b32 s33, s35, s33
	s_xor_b32 s35, s33, -1
	s_and_saveexec_b32 s36, s35
	s_xor_b32 s35, exec_lo, s36
; %bb.29:
	v_add_nc_u32_e32 v34, v0, v35
	ds_read_u8 v34, v34 offset:1
; %bb.30:
	s_or_saveexec_b32 s35, s35
	v_mov_b32_e32 v39, v43
	s_xor_b32 exec_lo, exec_lo, s35
	s_cbranch_execz .LBB129_32
; %bb.31:
	s_waitcnt lgkmcnt(0)
	v_add_nc_u32_e32 v34, v0, v36
	ds_read_u8 v39, v34 offset:1
	v_mov_b32_e32 v34, v42
.LBB129_32:
	s_or_b32 exec_lo, exec_lo, s35
	v_add_nc_u16 v10, v10, 1
	v_add_nc_u16 v7, v7, 1
	;; [unrolled: 1-line block ×5, first 2 shown]
	v_or_b32_sdwa v5, v5, v10 dst_sel:DWORD dst_unused:UNUSED_PAD src0_sel:DWORD src1_sel:BYTE_0
	v_lshlrev_b16 v10, 8, v7
	v_lshlrev_b16 v44, 8, v8
	;; [unrolled: 1-line block ×3, first 2 shown]
	v_or_b32_sdwa v24, v24, v27 dst_sel:DWORD dst_unused:UNUSED_PAD src0_sel:DWORD src1_sel:BYTE_0
	v_add_nc_u16 v5, 0x100, v5
	v_or_b32_sdwa v8, v8, v10 dst_sel:DWORD dst_unused:UNUSED_PAD src0_sel:BYTE_0 src1_sel:DWORD
	v_or_b32_sdwa v7, v7, v44 dst_sel:DWORD dst_unused:UNUSED_PAD src0_sel:BYTE_0 src1_sel:DWORD
	v_or_b32_sdwa v2, v6, v2 dst_sel:DWORD dst_unused:UNUSED_PAD src0_sel:DWORD src1_sel:BYTE_0
	v_add_nc_u16 v6, 0x100, v24
	v_lshlrev_b32_e32 v10, 16, v5
	v_and_b32_e32 v8, 0xffff, v8
	v_and_b32_e32 v7, 0xffff, v7
	v_add_nc_u16 v2, 0x100, v2
	v_lshlrev_b32_e32 v6, 16, v6
	v_perm_b32 v5, 0, v5, 0xc0c0001
	v_cndmask_b32_e64 v32, v32, v33, s34
	v_cndmask_b32_e64 v7, v8, v7, s0
	v_mov_b32_e32 v8, 0xff
	v_or_b32_sdwa v2, v2, v6 dst_sel:DWORD dst_unused:UNUSED_PAD src0_sel:WORD_0 src1_sel:DWORD
	v_lshlrev_b32_e32 v5, 16, v5
	v_cndmask_b32_e64 v33, v37, v38, s34
	v_or_b32_e32 v6, v7, v10
	v_cndmask_b32_e64 v16, v16, v17, s29
	v_perm_b32 v7, v2, v2, 0x7060405
	v_cndmask_b32_e64 v17, v18, v19, s29
	v_cndmask_b32_e64 v12, v12, v15, s28
	v_and_or_b32 v5, 0xffff, v6, v5
	v_add_nc_u32_e32 v10, 1, v35
	v_cndmask_b32_e64 v2, v2, v7, s3
	v_cndmask_b32_e32 v40, v40, v41, vcc_lo
	s_waitcnt lgkmcnt(0)
	v_cmp_lt_u16_sdwa s3, v39, v34 src0_sel:BYTE_0 src1_sel:BYTE_0
	v_cndmask_b32_e64 v5, v6, v5, s5
	v_cndmask_b32_e64 v10, v10, v35, s33
	v_perm_b32 v6, v2, v2, 0x6070504
	v_cndmask_b32_e64 v20, v20, v21, s30
	v_cndmask_b32_e64 v21, v22, v23, s30
	v_perm_b32 v7, v5, v5, 0x7050604
	v_cndmask_b32_e64 v25, v25, v28, s31
	v_cndmask_b32_e64 v2, v2, v6, s6
	;; [unrolled: 1-line block ×5, first 2 shown]
	v_add_nc_u32_e32 v12, v0, v12
	v_lshlrev_b16 v6, 8, v2
	v_add_nc_u32_e32 v22, v0, v33
	v_and_b32_sdwa v7, v5, v8 dst_sel:DWORD dst_unused:UNUSED_PAD src0_sel:WORD_1 src1_sel:DWORD
	; wave barrier
	v_cndmask_b32_e64 v13, v13, v14, s28
	v_and_b32_e32 v14, 0xe0, v4
	v_lshlrev_b16 v16, 8, v16
	v_or_b32_sdwa v6, v7, v6 dst_sel:WORD_1 dst_unused:UNUSED_PAD src0_sel:DWORD src1_sel:DWORD
	v_cndmask_b32_e64 v24, v42, v43, s33
	v_lshlrev_b16 v23, 8, v25
	v_or_b32_sdwa v16, v13, v16 dst_sel:DWORD dst_unused:UNUSED_PAD src0_sel:BYTE_0 src1_sel:DWORD
	v_and_or_b32 v6, 0xffff, v5, v6
	v_cndmask_b32_e64 v6, v5, v6, s4
	v_perm_b32 v5, v5, v2, 0x3020107
	v_perm_b32 v7, 0, v6, 0xc0c0001
	v_cndmask_b32_e64 v2, v2, v5, s4
	v_and_or_b32 v7, 0xffff0000, v6, v7
	v_cndmask_b32_e64 v6, v6, v7, s9
	v_perm_b32 v7, v2, v2, 0x7050604
	v_lshrrev_b32_e32 v5, 16, v6
	v_cndmask_b32_e64 v2, v2, v7, s10
	v_perm_b32 v5, 0, v5, 0xc0c0001
	v_perm_b32 v7, v2, v2, 0x7060405
	v_lshlrev_b32_e32 v5, 16, v5
	v_cndmask_b32_e64 v2, v2, v7, s11
	v_and_or_b32 v5, 0xffff, v6, v5
	v_cndmask_b32_e64 v5, v6, v5, s12
	v_perm_b32 v6, v2, v2, 0x6070504
	v_perm_b32 v7, v5, v5, 0x7050604
	v_cndmask_b32_e64 v2, v2, v6, s15
	v_cndmask_b32_e64 v5, v5, v7, s16
	v_lshlrev_b16 v6, 8, v2
	v_and_b32_sdwa v7, v5, v8 dst_sel:DWORD dst_unused:UNUSED_PAD src0_sel:WORD_1 src1_sel:DWORD
	v_or_b32_sdwa v6, v7, v6 dst_sel:WORD_1 dst_unused:UNUSED_PAD src0_sel:DWORD src1_sel:DWORD
	v_and_or_b32 v6, 0xffff, v5, v6
	v_cndmask_b32_e64 v6, v5, v6, s14
	v_perm_b32 v5, v5, v2, 0x3020107
	v_perm_b32 v7, 0, v6, 0xc0c0001
	v_cndmask_b32_e64 v2, v2, v5, s14
	v_and_or_b32 v7, 0xffff0000, v6, v7
	v_cndmask_b32_e64 v6, v6, v7, s19
	v_perm_b32 v7, v2, v2, 0x7050604
	v_lshrrev_b32_e32 v5, 16, v6
	v_cndmask_b32_e64 v2, v2, v7, s20
	v_perm_b32 v5, 0, v5, 0xc0c0001
	v_perm_b32 v7, v2, v2, 0x7060405
	v_lshlrev_b32_e32 v5, 16, v5
	v_cndmask_b32_e64 v2, v2, v7, s22
	v_and_or_b32 v5, 0xffff, v6, v5
	v_cndmask_b32_e64 v5, v6, v5, s23
	v_perm_b32 v6, v2, v2, 0x6070504
	v_perm_b32 v7, v5, v5, 0x7050604
	v_cndmask_b32_e64 v2, v2, v6, s24
	v_cndmask_b32_e64 v5, v5, v7, s25
	v_lshlrev_b16 v6, 8, v2
	v_and_b32_sdwa v7, v5, v8 dst_sel:DWORD dst_unused:UNUSED_PAD src0_sel:WORD_1 src1_sel:DWORD
	v_or_b32_sdwa v6, v7, v6 dst_sel:WORD_1 dst_unused:UNUSED_PAD src0_sel:DWORD src1_sel:DWORD
	v_and_or_b32 v6, 0xffff, v5, v6
	v_cndmask_b32_e64 v6, v5, v6, s21
	v_perm_b32 v5, v5, v2, 0x3020107
	v_perm_b32 v7, 0, v6, 0xc0c0001
	v_cndmask_b32_e64 v2, v2, v5, s21
	v_and_or_b32 v7, 0xffff0000, v6, v7
	v_perm_b32 v37, v2, v2, 0x7050604
	v_cndmask_b32_e64 v6, v6, v7, s27
	v_cndmask_b32_e64 v2, v2, v37, s26
	v_add_nc_u32_e32 v7, 1, v36
	v_lshrrev_b32_e32 v5, 16, v6
	v_perm_b32 v18, v2, v2, 0x7060405
	v_cndmask_b32_e64 v7, v36, v7, s33
	v_perm_b32 v5, 0, v5, 0xc0c0001
	v_cndmask_b32_e64 v2, v2, v18, s17
	v_cndmask_b32_sdwa v18, v26, v29, vcc_lo dst_sel:BYTE_1 dst_unused:UNUSED_PAD src0_sel:DWORD src1_sel:DWORD
	v_cmp_ge_i32_e32 vcc_lo, v10, v9
	v_cmp_lt_i32_e64 s0, v7, v11
	v_lshlrev_b32_e32 v5, 16, v5
	v_add_nc_u32_e32 v9, v0, v40
	v_and_or_b32 v5, 0xffff, v6, v5
	v_cndmask_b32_e64 v5, v6, v5, s18
	v_perm_b32 v6, v2, v2, 0x6070504
	v_perm_b32 v15, v5, v5, 0x7050604
	v_cndmask_b32_e64 v2, v2, v6, s1
	s_or_b32 s1, vcc_lo, s3
	s_and_b32 vcc_lo, s0, s1
	v_cndmask_b32_e64 v5, v5, v15, s2
	v_lshlrev_b16 v6, 8, v2
	v_cndmask_b32_e32 v7, v10, v7, vcc_lo
	v_add_nc_u32_e32 v15, v0, v17
	v_add_nc_u32_e32 v17, v0, v21
	v_and_b32_sdwa v8, v5, v8 dst_sel:DWORD dst_unused:UNUSED_PAD src0_sel:WORD_1 src1_sel:DWORD
	v_perm_b32 v19, v5, v2, 0x3020107
	v_add_nc_u32_e32 v21, v0, v28
	v_add_nc_u32_e32 v10, v0, v27
	;; [unrolled: 1-line block ×3, first 2 shown]
	v_or_b32_sdwa v6, v8, v6 dst_sel:WORD_1 dst_unused:UNUSED_PAD src0_sel:DWORD src1_sel:DWORD
	v_cndmask_b32_e64 v2, v2, v19, s8
	v_cndmask_b32_e32 v19, v34, v39, vcc_lo
	s_mov_b32 s0, exec_lo
	v_and_or_b32 v6, 0xffff, v5, v6
	v_perm_b32 v8, v2, v2, 0x7050604
	v_lshlrev_b16 v13, 8, v19
	v_cndmask_b32_e64 v5, v5, v6, s8
	v_cndmask_b32_e64 v6, v2, v8, s13
	ds_write_b64 v1, v[5:6]
	; wave barrier
	ds_read_u8 v2, v12
	ds_read_u8 v5, v15
	;; [unrolled: 1-line block ×8, first 2 shown]
	v_or_b32_e32 v12, 16, v14
	v_or_b32_sdwa v17, v20, v23 dst_sel:WORD_1 dst_unused:UNUSED_PAD src0_sel:BYTE_0 src1_sel:DWORD
	v_and_b32_e32 v15, 24, v4
	v_or_b32_sdwa v20, v32, v18 dst_sel:DWORD dst_unused:UNUSED_PAD src0_sel:BYTE_0 src1_sel:DWORD
	v_or_b32_sdwa v21, v24, v13 dst_sel:WORD_1 dst_unused:UNUSED_PAD src0_sel:BYTE_0 src1_sel:DWORD
	v_sub_nc_u32_e32 v19, v12, v14
	v_or_b32_sdwa v16, v16, v17 dst_sel:DWORD dst_unused:UNUSED_PAD src0_sel:WORD_0 src1_sel:DWORD
	v_sub_nc_u32_e64 v18, v15, 16 clamp
	v_or_b32_sdwa v17, v20, v21 dst_sel:DWORD dst_unused:UNUSED_PAD src0_sel:WORD_0 src1_sel:DWORD
	v_min_i32_e32 v13, v15, v19
	; wave barrier
	ds_write_b64 v1, v[16:17]
	; wave barrier
	v_cmpx_lt_i32_e64 v18, v13
	s_cbranch_execz .LBB129_36
; %bb.33:
	v_add_nc_u32_e32 v16, v0, v14
	s_mov_b32 s1, 0
	v_add_nc_u32_e32 v17, v16, v15
	.p2align	6
.LBB129_34:                             ; =>This Inner Loop Header: Depth=1
	v_sub_nc_u32_e32 v19, v13, v18
	v_lshrrev_b32_e32 v19, 1, v19
	v_add_nc_u32_e32 v19, v19, v18
	v_add_nc_u32_e32 v20, v16, v19
	v_xad_u32 v21, v19, -1, v17
	v_add_nc_u32_e32 v22, 1, v19
	ds_read_u8 v20, v20
	ds_read_u8 v21, v21 offset:16
	s_waitcnt lgkmcnt(0)
	v_cmp_lt_u16_e32 vcc_lo, v21, v20
	v_cndmask_b32_e32 v13, v13, v19, vcc_lo
	v_cndmask_b32_e32 v18, v22, v18, vcc_lo
	v_cmp_ge_i32_e32 vcc_lo, v18, v13
	s_or_b32 s1, vcc_lo, s1
	s_andn2_b32 exec_lo, exec_lo, s1
	s_cbranch_execnz .LBB129_34
; %bb.35:
	s_or_b32 exec_lo, exec_lo, s1
.LBB129_36:
	s_or_b32 exec_lo, exec_lo, s0
	v_add_nc_u32_e32 v16, v14, v15
	v_add_nc_u32_e32 v13, v18, v14
	;; [unrolled: 1-line block ×4, first 2 shown]
	v_cmp_lt_i32_e32 vcc_lo, 15, v18
	v_sub_nc_u32_e32 v16, v16, v18
	v_add_nc_u32_e32 v19, v0, v13
	v_sub_nc_u32_e32 v15, v15, v18
                                        ; implicit-def: $vgpr18
	v_add_nc_u32_e32 v20, v0, v16
	ds_read_u8 v16, v19
	ds_read_u8 v17, v20 offset:16
	v_cmp_gt_i32_e64 s0, v14, v15
	s_waitcnt lgkmcnt(0)
	v_cmp_lt_u16_sdwa s1, v17, v16 src0_sel:BYTE_0 src1_sel:BYTE_0
	s_or_b32 s1, vcc_lo, s1
	s_and_b32 s0, s0, s1
	s_xor_b32 s1, s0, -1
	s_and_saveexec_b32 s2, s1
	s_xor_b32 s1, exec_lo, s2
; %bb.37:
	ds_read_u8 v18, v19 offset:1
                                        ; implicit-def: $vgpr20
; %bb.38:
	s_or_saveexec_b32 s1, s1
	v_mov_b32_e32 v19, v17
	s_xor_b32 exec_lo, exec_lo, s1
	s_cbranch_execz .LBB129_40
; %bb.39:
	ds_read_u8 v19, v20 offset:17
	s_waitcnt lgkmcnt(1)
	v_mov_b32_e32 v18, v16
.LBB129_40:
	s_or_b32 exec_lo, exec_lo, s1
	v_add_nc_u32_e32 v20, 1, v13
	v_add_nc_u32_e32 v21, 1, v15
	s_waitcnt lgkmcnt(0)
	v_cmp_lt_u16_sdwa s2, v19, v18 src0_sel:BYTE_0 src1_sel:BYTE_0
                                        ; implicit-def: $vgpr22
	v_cndmask_b32_e64 v20, v20, v13, s0
	v_cndmask_b32_e64 v21, v15, v21, s0
	v_cmp_ge_i32_e32 vcc_lo, v20, v12
	v_cmp_lt_i32_e64 s1, v21, v14
	s_or_b32 s2, vcc_lo, s2
	s_and_b32 s1, s1, s2
	s_xor_b32 s2, s1, -1
	s_and_saveexec_b32 s3, s2
	s_xor_b32 s2, exec_lo, s3
; %bb.41:
	v_add_nc_u32_e32 v22, v0, v20
	ds_read_u8 v22, v22 offset:1
; %bb.42:
	s_or_saveexec_b32 s2, s2
	v_mov_b32_e32 v23, v19
	s_xor_b32 exec_lo, exec_lo, s2
	s_cbranch_execz .LBB129_44
; %bb.43:
	s_waitcnt lgkmcnt(0)
	v_add_nc_u32_e32 v22, v0, v21
	ds_read_u8 v23, v22 offset:1
	v_mov_b32_e32 v22, v18
.LBB129_44:
	s_or_b32 exec_lo, exec_lo, s2
	v_add_nc_u32_e32 v24, 1, v20
	v_add_nc_u32_e32 v25, 1, v21
	s_waitcnt lgkmcnt(0)
	v_cmp_lt_u16_sdwa s3, v23, v22 src0_sel:BYTE_0 src1_sel:BYTE_0
                                        ; implicit-def: $vgpr26
	v_cndmask_b32_e64 v24, v24, v20, s1
	v_cndmask_b32_e64 v25, v21, v25, s1
	v_cmp_ge_i32_e32 vcc_lo, v24, v12
	v_cmp_lt_i32_e64 s2, v25, v14
	s_or_b32 s3, vcc_lo, s3
	s_and_b32 s2, s2, s3
	s_xor_b32 s3, s2, -1
	s_and_saveexec_b32 s4, s3
	s_xor_b32 s3, exec_lo, s4
; %bb.45:
	v_add_nc_u32_e32 v26, v0, v24
	ds_read_u8 v26, v26 offset:1
; %bb.46:
	s_or_saveexec_b32 s3, s3
	v_mov_b32_e32 v27, v23
	s_xor_b32 exec_lo, exec_lo, s3
	s_cbranch_execz .LBB129_48
; %bb.47:
	s_waitcnt lgkmcnt(0)
	v_add_nc_u32_e32 v26, v0, v25
	ds_read_u8 v27, v26 offset:1
	v_mov_b32_e32 v26, v22
.LBB129_48:
	s_or_b32 exec_lo, exec_lo, s3
	v_add_nc_u32_e32 v28, 1, v24
	v_add_nc_u32_e32 v29, 1, v25
	s_waitcnt lgkmcnt(0)
	v_cmp_lt_u16_sdwa s4, v27, v26 src0_sel:BYTE_0 src1_sel:BYTE_0
                                        ; implicit-def: $vgpr30
	v_cndmask_b32_e64 v28, v28, v24, s2
	v_cndmask_b32_e64 v29, v25, v29, s2
	v_cmp_ge_i32_e32 vcc_lo, v28, v12
	v_cmp_lt_i32_e64 s3, v29, v14
	s_or_b32 s4, vcc_lo, s4
	s_and_b32 s3, s3, s4
	s_xor_b32 s4, s3, -1
	s_and_saveexec_b32 s5, s4
	s_xor_b32 s4, exec_lo, s5
; %bb.49:
	v_add_nc_u32_e32 v30, v0, v28
	ds_read_u8 v30, v30 offset:1
; %bb.50:
	s_or_saveexec_b32 s4, s4
	v_mov_b32_e32 v31, v27
	s_xor_b32 exec_lo, exec_lo, s4
	s_cbranch_execz .LBB129_52
; %bb.51:
	s_waitcnt lgkmcnt(0)
	v_add_nc_u32_e32 v30, v0, v29
	ds_read_u8 v31, v30 offset:1
	v_mov_b32_e32 v30, v26
.LBB129_52:
	s_or_b32 exec_lo, exec_lo, s4
	v_add_nc_u32_e32 v32, 1, v28
	v_add_nc_u32_e32 v33, 1, v29
	s_waitcnt lgkmcnt(0)
	v_cmp_lt_u16_sdwa s5, v31, v30 src0_sel:BYTE_0 src1_sel:BYTE_0
                                        ; implicit-def: $vgpr34
	v_cndmask_b32_e64 v32, v32, v28, s3
	v_cndmask_b32_e64 v33, v29, v33, s3
	v_cmp_ge_i32_e32 vcc_lo, v32, v12
	v_cmp_lt_i32_e64 s4, v33, v14
	s_or_b32 s5, vcc_lo, s5
	s_and_b32 s4, s4, s5
	s_xor_b32 s5, s4, -1
	s_and_saveexec_b32 s6, s5
	s_xor_b32 s5, exec_lo, s6
; %bb.53:
	v_add_nc_u32_e32 v34, v0, v32
	ds_read_u8 v34, v34 offset:1
; %bb.54:
	s_or_saveexec_b32 s5, s5
	v_mov_b32_e32 v35, v31
	s_xor_b32 exec_lo, exec_lo, s5
	s_cbranch_execz .LBB129_56
; %bb.55:
	s_waitcnt lgkmcnt(0)
	v_add_nc_u32_e32 v34, v0, v33
	ds_read_u8 v35, v34 offset:1
	v_mov_b32_e32 v34, v30
.LBB129_56:
	s_or_b32 exec_lo, exec_lo, s5
	v_add_nc_u32_e32 v36, 1, v32
	v_add_nc_u32_e32 v37, 1, v33
	s_waitcnt lgkmcnt(0)
	v_cmp_lt_u16_sdwa s6, v35, v34 src0_sel:BYTE_0 src1_sel:BYTE_0
                                        ; implicit-def: $vgpr38
	v_cndmask_b32_e64 v36, v36, v32, s4
	v_cndmask_b32_e64 v37, v33, v37, s4
	v_cmp_ge_i32_e32 vcc_lo, v36, v12
	v_cmp_lt_i32_e64 s5, v37, v14
	s_or_b32 s6, vcc_lo, s6
	s_and_b32 vcc_lo, s5, s6
	s_xor_b32 s5, vcc_lo, -1
	s_and_saveexec_b32 s6, s5
	s_xor_b32 s5, exec_lo, s6
; %bb.57:
	v_add_nc_u32_e32 v38, v0, v36
	ds_read_u8 v38, v38 offset:1
; %bb.58:
	s_or_saveexec_b32 s5, s5
	v_mov_b32_e32 v40, v35
	s_xor_b32 exec_lo, exec_lo, s5
	s_cbranch_execz .LBB129_60
; %bb.59:
	s_waitcnt lgkmcnt(0)
	v_add_nc_u32_e32 v38, v0, v37
	ds_read_u8 v40, v38 offset:1
	v_mov_b32_e32 v38, v34
.LBB129_60:
	s_or_b32 exec_lo, exec_lo, s5
	v_add_nc_u32_e32 v39, 1, v36
	v_add_nc_u32_e32 v41, 1, v37
	s_waitcnt lgkmcnt(0)
	v_cmp_lt_u16_sdwa s7, v40, v38 src0_sel:BYTE_0 src1_sel:BYTE_0
	v_cndmask_b32_e32 v42, v39, v36, vcc_lo
	v_cndmask_b32_e32 v43, v37, v41, vcc_lo
                                        ; implicit-def: $vgpr39
	v_cmp_ge_i32_e64 s5, v42, v12
	v_cmp_lt_i32_e64 s6, v43, v14
	s_or_b32 s5, s5, s7
	s_and_b32 s5, s6, s5
	s_xor_b32 s6, s5, -1
	s_and_saveexec_b32 s7, s6
	s_xor_b32 s6, exec_lo, s7
; %bb.61:
	v_add_nc_u32_e32 v39, v0, v42
	ds_read_u8 v39, v39 offset:1
; %bb.62:
	s_or_saveexec_b32 s6, s6
	v_mov_b32_e32 v41, v40
	s_xor_b32 exec_lo, exec_lo, s6
	s_cbranch_execz .LBB129_64
; %bb.63:
	s_waitcnt lgkmcnt(0)
	v_add_nc_u32_e32 v39, v0, v43
	ds_read_u8 v41, v39 offset:1
	v_mov_b32_e32 v39, v38
.LBB129_64:
	s_or_b32 exec_lo, exec_lo, s6
	v_add_nc_u32_e32 v44, 1, v43
	v_add_nc_u32_e32 v45, 1, v42
	v_cndmask_b32_e64 v38, v38, v40, s5
	v_perm_b32 v8, v8, v9, 0xc0c0004
	v_perm_b32 v9, v10, v11, 0xc0c0004
	v_cndmask_b32_e64 v40, v43, v44, s5
	v_cndmask_b32_e64 v44, v45, v42, s5
	v_perm_b32 v2, v2, v5, 0xc0c0004
	v_perm_b32 v5, v6, v7, 0xc0c0004
	v_cndmask_b32_sdwa v34, v34, v35, vcc_lo dst_sel:BYTE_1 dst_unused:UNUSED_PAD src0_sel:DWORD src1_sel:DWORD
	v_cndmask_b32_e32 v35, v36, v37, vcc_lo
	v_cndmask_b32_e64 v22, v22, v23, s2
	v_cndmask_b32_e64 v23, v24, v25, s2
	v_cmp_ge_i32_e32 vcc_lo, v44, v12
	s_waitcnt lgkmcnt(0)
	v_cmp_lt_u16_sdwa s2, v41, v39 src0_sel:BYTE_0 src1_sel:BYTE_0
	v_cndmask_b32_e64 v18, v18, v19, s1
	v_cndmask_b32_e64 v19, v20, v21, s1
	v_cmp_lt_i32_e64 s1, v40, v14
	v_cndmask_b32_e64 v7, v13, v15, s0
	v_lshl_or_b32 v6, v9, 16, v8
	v_lshl_or_b32 v5, v5, 16, v2
	v_cndmask_b32_e64 v16, v16, v17, s0
	s_or_b32 s0, vcc_lo, s2
	v_cndmask_b32_e64 v26, v26, v27, s3
	v_cndmask_b32_e64 v27, v28, v29, s3
	s_and_b32 vcc_lo, s1, s0
	v_cndmask_b32_e64 v42, v42, v43, s5
	v_cndmask_b32_e64 v30, v30, v31, s4
	;; [unrolled: 1-line block ×3, first 2 shown]
	v_cndmask_b32_e32 v2, v44, v40, vcc_lo
	; wave barrier
	ds_write_b64 v1, v[5:6]
	v_add_nc_u32_e32 v5, v0, v7
	v_add_nc_u32_e32 v6, v0, v19
	;; [unrolled: 1-line block ×7, first 2 shown]
	; wave barrier
	v_add_nc_u32_e32 v12, v0, v2
	ds_read_u8 v2, v5
	ds_read_u8 v5, v6
	;; [unrolled: 1-line block ×8, first 2 shown]
	v_cndmask_b32_e32 v13, v39, v41, vcc_lo
	v_and_b32_e32 v14, 0xc0, v4
	v_lshlrev_b16 v15, 8, v18
	v_lshlrev_b16 v17, 8, v26
	v_or_b32_sdwa v20, v30, v34 dst_sel:DWORD dst_unused:UNUSED_PAD src0_sel:BYTE_0 src1_sel:DWORD
	v_lshlrev_b16 v13, 8, v13
	v_or_b32_e32 v12, 32, v14
	v_or_b32_sdwa v16, v16, v15 dst_sel:DWORD dst_unused:UNUSED_PAD src0_sel:BYTE_0 src1_sel:DWORD
	v_or_b32_sdwa v17, v22, v17 dst_sel:WORD_1 dst_unused:UNUSED_PAD src0_sel:BYTE_0 src1_sel:DWORD
	v_and_b32_e32 v15, 56, v4
	v_or_b32_sdwa v21, v38, v13 dst_sel:WORD_1 dst_unused:UNUSED_PAD src0_sel:BYTE_0 src1_sel:DWORD
	v_sub_nc_u32_e32 v19, v12, v14
	s_mov_b32 s0, exec_lo
	v_or_b32_sdwa v16, v16, v17 dst_sel:DWORD dst_unused:UNUSED_PAD src0_sel:WORD_0 src1_sel:DWORD
	v_sub_nc_u32_e64 v18, v15, 32 clamp
	v_or_b32_sdwa v17, v20, v21 dst_sel:DWORD dst_unused:UNUSED_PAD src0_sel:WORD_0 src1_sel:DWORD
	v_min_i32_e32 v13, v15, v19
	; wave barrier
	ds_write_b64 v1, v[16:17]
	; wave barrier
	v_cmpx_lt_i32_e64 v18, v13
	s_cbranch_execz .LBB129_68
; %bb.65:
	v_add_nc_u32_e32 v16, v0, v14
	s_mov_b32 s1, 0
	v_add_nc_u32_e32 v17, v16, v15
	.p2align	6
.LBB129_66:                             ; =>This Inner Loop Header: Depth=1
	v_sub_nc_u32_e32 v19, v13, v18
	v_lshrrev_b32_e32 v19, 1, v19
	v_add_nc_u32_e32 v19, v19, v18
	v_add_nc_u32_e32 v20, v16, v19
	v_xad_u32 v21, v19, -1, v17
	v_add_nc_u32_e32 v22, 1, v19
	ds_read_u8 v20, v20
	ds_read_u8 v21, v21 offset:32
	s_waitcnt lgkmcnt(0)
	v_cmp_lt_u16_e32 vcc_lo, v21, v20
	v_cndmask_b32_e32 v13, v13, v19, vcc_lo
	v_cndmask_b32_e32 v18, v22, v18, vcc_lo
	v_cmp_ge_i32_e32 vcc_lo, v18, v13
	s_or_b32 s1, vcc_lo, s1
	s_andn2_b32 exec_lo, exec_lo, s1
	s_cbranch_execnz .LBB129_66
; %bb.67:
	s_or_b32 exec_lo, exec_lo, s1
.LBB129_68:
	s_or_b32 exec_lo, exec_lo, s0
	v_add_nc_u32_e32 v16, v14, v15
	v_add_nc_u32_e32 v13, v18, v14
	;; [unrolled: 1-line block ×4, first 2 shown]
	v_cmp_lt_i32_e32 vcc_lo, 31, v18
	v_sub_nc_u32_e32 v16, v16, v18
	v_add_nc_u32_e32 v19, v0, v13
	v_sub_nc_u32_e32 v15, v15, v18
                                        ; implicit-def: $vgpr18
	v_add_nc_u32_e32 v20, v0, v16
	ds_read_u8 v16, v19
	ds_read_u8 v17, v20 offset:32
	v_cmp_gt_i32_e64 s0, v14, v15
	s_waitcnt lgkmcnt(0)
	v_cmp_lt_u16_sdwa s1, v17, v16 src0_sel:BYTE_0 src1_sel:BYTE_0
	s_or_b32 s1, vcc_lo, s1
	s_and_b32 s0, s0, s1
	s_xor_b32 s1, s0, -1
	s_and_saveexec_b32 s2, s1
	s_xor_b32 s1, exec_lo, s2
; %bb.69:
	ds_read_u8 v18, v19 offset:1
                                        ; implicit-def: $vgpr20
; %bb.70:
	s_or_saveexec_b32 s1, s1
	v_mov_b32_e32 v19, v17
	s_xor_b32 exec_lo, exec_lo, s1
	s_cbranch_execz .LBB129_72
; %bb.71:
	ds_read_u8 v19, v20 offset:33
	s_waitcnt lgkmcnt(1)
	v_mov_b32_e32 v18, v16
.LBB129_72:
	s_or_b32 exec_lo, exec_lo, s1
	v_add_nc_u32_e32 v20, 1, v13
	v_add_nc_u32_e32 v21, 1, v15
	s_waitcnt lgkmcnt(0)
	v_cmp_lt_u16_sdwa s2, v19, v18 src0_sel:BYTE_0 src1_sel:BYTE_0
                                        ; implicit-def: $vgpr22
	v_cndmask_b32_e64 v20, v20, v13, s0
	v_cndmask_b32_e64 v21, v15, v21, s0
	v_cmp_ge_i32_e32 vcc_lo, v20, v12
	v_cmp_lt_i32_e64 s1, v21, v14
	s_or_b32 s2, vcc_lo, s2
	s_and_b32 s1, s1, s2
	s_xor_b32 s2, s1, -1
	s_and_saveexec_b32 s3, s2
	s_xor_b32 s2, exec_lo, s3
; %bb.73:
	v_add_nc_u32_e32 v22, v0, v20
	ds_read_u8 v22, v22 offset:1
; %bb.74:
	s_or_saveexec_b32 s2, s2
	v_mov_b32_e32 v23, v19
	s_xor_b32 exec_lo, exec_lo, s2
	s_cbranch_execz .LBB129_76
; %bb.75:
	s_waitcnt lgkmcnt(0)
	v_add_nc_u32_e32 v22, v0, v21
	ds_read_u8 v23, v22 offset:1
	v_mov_b32_e32 v22, v18
.LBB129_76:
	s_or_b32 exec_lo, exec_lo, s2
	v_add_nc_u32_e32 v24, 1, v20
	v_add_nc_u32_e32 v25, 1, v21
	s_waitcnt lgkmcnt(0)
	v_cmp_lt_u16_sdwa s3, v23, v22 src0_sel:BYTE_0 src1_sel:BYTE_0
                                        ; implicit-def: $vgpr26
	v_cndmask_b32_e64 v24, v24, v20, s1
	v_cndmask_b32_e64 v25, v21, v25, s1
	v_cmp_ge_i32_e32 vcc_lo, v24, v12
	v_cmp_lt_i32_e64 s2, v25, v14
	s_or_b32 s3, vcc_lo, s3
	s_and_b32 s2, s2, s3
	s_xor_b32 s3, s2, -1
	s_and_saveexec_b32 s4, s3
	s_xor_b32 s3, exec_lo, s4
; %bb.77:
	v_add_nc_u32_e32 v26, v0, v24
	ds_read_u8 v26, v26 offset:1
; %bb.78:
	s_or_saveexec_b32 s3, s3
	v_mov_b32_e32 v27, v23
	s_xor_b32 exec_lo, exec_lo, s3
	s_cbranch_execz .LBB129_80
; %bb.79:
	s_waitcnt lgkmcnt(0)
	v_add_nc_u32_e32 v26, v0, v25
	ds_read_u8 v27, v26 offset:1
	v_mov_b32_e32 v26, v22
.LBB129_80:
	s_or_b32 exec_lo, exec_lo, s3
	v_add_nc_u32_e32 v28, 1, v24
	v_add_nc_u32_e32 v29, 1, v25
	s_waitcnt lgkmcnt(0)
	v_cmp_lt_u16_sdwa s4, v27, v26 src0_sel:BYTE_0 src1_sel:BYTE_0
                                        ; implicit-def: $vgpr30
	v_cndmask_b32_e64 v28, v28, v24, s2
	v_cndmask_b32_e64 v29, v25, v29, s2
	v_cmp_ge_i32_e32 vcc_lo, v28, v12
	v_cmp_lt_i32_e64 s3, v29, v14
	s_or_b32 s4, vcc_lo, s4
	s_and_b32 s3, s3, s4
	s_xor_b32 s4, s3, -1
	s_and_saveexec_b32 s5, s4
	s_xor_b32 s4, exec_lo, s5
; %bb.81:
	v_add_nc_u32_e32 v30, v0, v28
	ds_read_u8 v30, v30 offset:1
; %bb.82:
	s_or_saveexec_b32 s4, s4
	v_mov_b32_e32 v31, v27
	s_xor_b32 exec_lo, exec_lo, s4
	s_cbranch_execz .LBB129_84
; %bb.83:
	s_waitcnt lgkmcnt(0)
	v_add_nc_u32_e32 v30, v0, v29
	ds_read_u8 v31, v30 offset:1
	v_mov_b32_e32 v30, v26
.LBB129_84:
	s_or_b32 exec_lo, exec_lo, s4
	v_add_nc_u32_e32 v32, 1, v28
	v_add_nc_u32_e32 v33, 1, v29
	s_waitcnt lgkmcnt(0)
	v_cmp_lt_u16_sdwa s5, v31, v30 src0_sel:BYTE_0 src1_sel:BYTE_0
                                        ; implicit-def: $vgpr34
	v_cndmask_b32_e64 v32, v32, v28, s3
	v_cndmask_b32_e64 v33, v29, v33, s3
	v_cmp_ge_i32_e32 vcc_lo, v32, v12
	v_cmp_lt_i32_e64 s4, v33, v14
	s_or_b32 s5, vcc_lo, s5
	s_and_b32 s4, s4, s5
	s_xor_b32 s5, s4, -1
	s_and_saveexec_b32 s6, s5
	s_xor_b32 s5, exec_lo, s6
; %bb.85:
	v_add_nc_u32_e32 v34, v0, v32
	ds_read_u8 v34, v34 offset:1
; %bb.86:
	s_or_saveexec_b32 s5, s5
	v_mov_b32_e32 v35, v31
	s_xor_b32 exec_lo, exec_lo, s5
	s_cbranch_execz .LBB129_88
; %bb.87:
	s_waitcnt lgkmcnt(0)
	v_add_nc_u32_e32 v34, v0, v33
	ds_read_u8 v35, v34 offset:1
	v_mov_b32_e32 v34, v30
.LBB129_88:
	s_or_b32 exec_lo, exec_lo, s5
	v_add_nc_u32_e32 v36, 1, v32
	v_add_nc_u32_e32 v37, 1, v33
	s_waitcnt lgkmcnt(0)
	v_cmp_lt_u16_sdwa s6, v35, v34 src0_sel:BYTE_0 src1_sel:BYTE_0
                                        ; implicit-def: $vgpr38
	v_cndmask_b32_e64 v36, v36, v32, s4
	v_cndmask_b32_e64 v37, v33, v37, s4
	v_cmp_ge_i32_e32 vcc_lo, v36, v12
	v_cmp_lt_i32_e64 s5, v37, v14
	s_or_b32 s6, vcc_lo, s6
	s_and_b32 vcc_lo, s5, s6
	s_xor_b32 s5, vcc_lo, -1
	s_and_saveexec_b32 s6, s5
	s_xor_b32 s5, exec_lo, s6
; %bb.89:
	v_add_nc_u32_e32 v38, v0, v36
	ds_read_u8 v38, v38 offset:1
; %bb.90:
	s_or_saveexec_b32 s5, s5
	v_mov_b32_e32 v40, v35
	s_xor_b32 exec_lo, exec_lo, s5
	s_cbranch_execz .LBB129_92
; %bb.91:
	s_waitcnt lgkmcnt(0)
	v_add_nc_u32_e32 v38, v0, v37
	ds_read_u8 v40, v38 offset:1
	v_mov_b32_e32 v38, v34
.LBB129_92:
	s_or_b32 exec_lo, exec_lo, s5
	v_add_nc_u32_e32 v39, 1, v36
	v_add_nc_u32_e32 v41, 1, v37
	s_waitcnt lgkmcnt(0)
	v_cmp_lt_u16_sdwa s7, v40, v38 src0_sel:BYTE_0 src1_sel:BYTE_0
	v_cndmask_b32_e32 v42, v39, v36, vcc_lo
	v_cndmask_b32_e32 v43, v37, v41, vcc_lo
                                        ; implicit-def: $vgpr39
	v_cmp_ge_i32_e64 s5, v42, v12
	v_cmp_lt_i32_e64 s6, v43, v14
	s_or_b32 s5, s5, s7
	s_and_b32 s5, s6, s5
	s_xor_b32 s6, s5, -1
	s_and_saveexec_b32 s7, s6
	s_xor_b32 s6, exec_lo, s7
; %bb.93:
	v_add_nc_u32_e32 v39, v0, v42
	ds_read_u8 v39, v39 offset:1
; %bb.94:
	s_or_saveexec_b32 s6, s6
	v_mov_b32_e32 v41, v40
	s_xor_b32 exec_lo, exec_lo, s6
	s_cbranch_execz .LBB129_96
; %bb.95:
	s_waitcnt lgkmcnt(0)
	v_add_nc_u32_e32 v39, v0, v43
	ds_read_u8 v41, v39 offset:1
	v_mov_b32_e32 v39, v38
.LBB129_96:
	s_or_b32 exec_lo, exec_lo, s6
	v_add_nc_u32_e32 v44, 1, v43
	v_add_nc_u32_e32 v45, 1, v42
	v_cndmask_b32_e64 v38, v38, v40, s5
	v_perm_b32 v8, v8, v9, 0xc0c0004
	v_perm_b32 v9, v10, v11, 0xc0c0004
	v_cndmask_b32_e64 v40, v43, v44, s5
	v_cndmask_b32_e64 v44, v45, v42, s5
	v_perm_b32 v2, v2, v5, 0xc0c0004
	v_perm_b32 v5, v6, v7, 0xc0c0004
	v_cndmask_b32_sdwa v34, v34, v35, vcc_lo dst_sel:BYTE_1 dst_unused:UNUSED_PAD src0_sel:DWORD src1_sel:DWORD
	v_cndmask_b32_e32 v35, v36, v37, vcc_lo
	v_cndmask_b32_e64 v22, v22, v23, s2
	v_cndmask_b32_e64 v23, v24, v25, s2
	v_cmp_ge_i32_e32 vcc_lo, v44, v12
	s_waitcnt lgkmcnt(0)
	v_cmp_lt_u16_sdwa s2, v41, v39 src0_sel:BYTE_0 src1_sel:BYTE_0
	v_cndmask_b32_e64 v18, v18, v19, s1
	v_cndmask_b32_e64 v19, v20, v21, s1
	v_cmp_lt_i32_e64 s1, v40, v14
	v_cndmask_b32_e64 v7, v13, v15, s0
	v_lshl_or_b32 v6, v9, 16, v8
	v_lshl_or_b32 v5, v5, 16, v2
	v_cndmask_b32_e64 v16, v16, v17, s0
	s_or_b32 s0, vcc_lo, s2
	v_cndmask_b32_e64 v26, v26, v27, s3
	v_cndmask_b32_e64 v27, v28, v29, s3
	s_and_b32 vcc_lo, s1, s0
	v_cndmask_b32_e64 v42, v42, v43, s5
	v_cndmask_b32_e64 v30, v30, v31, s4
	;; [unrolled: 1-line block ×3, first 2 shown]
	v_cndmask_b32_e32 v2, v44, v40, vcc_lo
	; wave barrier
	ds_write_b64 v1, v[5:6]
	v_add_nc_u32_e32 v5, v0, v7
	v_add_nc_u32_e32 v6, v0, v19
	;; [unrolled: 1-line block ×7, first 2 shown]
	; wave barrier
	v_add_nc_u32_e32 v12, v0, v2
	ds_read_u8 v2, v5
	ds_read_u8 v5, v6
	;; [unrolled: 1-line block ×8, first 2 shown]
	v_cndmask_b32_e32 v14, v39, v41, vcc_lo
	v_and_b32_e32 v13, 0x80, v4
	v_lshlrev_b16 v15, 8, v18
	v_lshlrev_b16 v17, 8, v26
	v_or_b32_sdwa v20, v30, v34 dst_sel:DWORD dst_unused:UNUSED_PAD src0_sel:BYTE_0 src1_sel:DWORD
	v_lshlrev_b16 v14, 8, v14
	v_or_b32_e32 v12, 64, v13
	v_or_b32_sdwa v15, v16, v15 dst_sel:DWORD dst_unused:UNUSED_PAD src0_sel:BYTE_0 src1_sel:DWORD
	v_or_b32_sdwa v16, v22, v17 dst_sel:WORD_1 dst_unused:UNUSED_PAD src0_sel:BYTE_0 src1_sel:DWORD
	v_and_b32_e32 v17, 0x78, v4
	v_or_b32_sdwa v21, v38, v14 dst_sel:WORD_1 dst_unused:UNUSED_PAD src0_sel:BYTE_0 src1_sel:DWORD
	v_sub_nc_u32_e32 v19, v12, v13
	s_mov_b32 s0, exec_lo
	v_or_b32_sdwa v15, v15, v16 dst_sel:DWORD dst_unused:UNUSED_PAD src0_sel:WORD_0 src1_sel:DWORD
	v_sub_nc_u32_e64 v18, v17, 64 clamp
	v_or_b32_sdwa v16, v20, v21 dst_sel:DWORD dst_unused:UNUSED_PAD src0_sel:WORD_0 src1_sel:DWORD
	v_min_i32_e32 v14, v17, v19
	; wave barrier
	ds_write_b64 v1, v[15:16]
	; wave barrier
	v_cmpx_lt_i32_e64 v18, v14
	s_cbranch_execz .LBB129_100
; %bb.97:
	v_add_nc_u32_e32 v15, v0, v13
	s_mov_b32 s1, 0
	v_add_nc_u32_e32 v16, v15, v17
	.p2align	6
.LBB129_98:                             ; =>This Inner Loop Header: Depth=1
	v_sub_nc_u32_e32 v19, v14, v18
	v_lshrrev_b32_e32 v19, 1, v19
	v_add_nc_u32_e32 v19, v19, v18
	v_add_nc_u32_e32 v20, v15, v19
	v_xad_u32 v21, v19, -1, v16
	v_add_nc_u32_e32 v22, 1, v19
	ds_read_u8 v20, v20
	ds_read_u8 v21, v21 offset:64
	s_waitcnt lgkmcnt(0)
	v_cmp_lt_u16_e32 vcc_lo, v21, v20
	v_cndmask_b32_e32 v14, v14, v19, vcc_lo
	v_cndmask_b32_e32 v18, v22, v18, vcc_lo
	v_cmp_ge_i32_e32 vcc_lo, v18, v14
	s_or_b32 s1, vcc_lo, s1
	s_andn2_b32 exec_lo, exec_lo, s1
	s_cbranch_execnz .LBB129_98
; %bb.99:
	s_or_b32 exec_lo, exec_lo, s1
.LBB129_100:
	s_or_b32 exec_lo, exec_lo, s0
	v_add_nc_u32_e32 v15, v13, v17
	v_add_nc_u32_e32 v14, v18, v13
	;; [unrolled: 1-line block ×4, first 2 shown]
	v_cmp_lt_i32_e32 vcc_lo, 63, v18
	v_sub_nc_u32_e32 v15, v15, v18
	v_add_nc_u32_e32 v19, v0, v14
	v_sub_nc_u32_e32 v17, v17, v18
                                        ; implicit-def: $vgpr18
	v_add_nc_u32_e32 v20, v0, v15
	ds_read_u8 v15, v19
	ds_read_u8 v16, v20 offset:64
	v_cmp_gt_i32_e64 s0, v13, v17
	s_waitcnt lgkmcnt(0)
	v_cmp_lt_u16_sdwa s1, v16, v15 src0_sel:BYTE_0 src1_sel:BYTE_0
	s_or_b32 s1, vcc_lo, s1
	s_and_b32 s0, s0, s1
	s_xor_b32 s1, s0, -1
	s_and_saveexec_b32 s2, s1
	s_xor_b32 s1, exec_lo, s2
; %bb.101:
	ds_read_u8 v18, v19 offset:1
                                        ; implicit-def: $vgpr20
; %bb.102:
	s_or_saveexec_b32 s1, s1
	v_mov_b32_e32 v19, v16
	s_xor_b32 exec_lo, exec_lo, s1
	s_cbranch_execz .LBB129_104
; %bb.103:
	ds_read_u8 v19, v20 offset:65
	s_waitcnt lgkmcnt(1)
	v_mov_b32_e32 v18, v15
.LBB129_104:
	s_or_b32 exec_lo, exec_lo, s1
	v_add_nc_u32_e32 v20, 1, v14
	v_add_nc_u32_e32 v21, 1, v17
	s_waitcnt lgkmcnt(0)
	v_cmp_lt_u16_sdwa s2, v19, v18 src0_sel:BYTE_0 src1_sel:BYTE_0
                                        ; implicit-def: $vgpr22
	v_cndmask_b32_e64 v20, v20, v14, s0
	v_cndmask_b32_e64 v21, v17, v21, s0
	v_cmp_ge_i32_e32 vcc_lo, v20, v12
	v_cmp_lt_i32_e64 s1, v21, v13
	s_or_b32 s2, vcc_lo, s2
	s_and_b32 s1, s1, s2
	s_xor_b32 s2, s1, -1
	s_and_saveexec_b32 s3, s2
	s_xor_b32 s2, exec_lo, s3
; %bb.105:
	v_add_nc_u32_e32 v22, v0, v20
	ds_read_u8 v22, v22 offset:1
; %bb.106:
	s_or_saveexec_b32 s2, s2
	v_mov_b32_e32 v23, v19
	s_xor_b32 exec_lo, exec_lo, s2
	s_cbranch_execz .LBB129_108
; %bb.107:
	s_waitcnt lgkmcnt(0)
	v_add_nc_u32_e32 v22, v0, v21
	ds_read_u8 v23, v22 offset:1
	v_mov_b32_e32 v22, v18
.LBB129_108:
	s_or_b32 exec_lo, exec_lo, s2
	v_add_nc_u32_e32 v24, 1, v20
	v_add_nc_u32_e32 v26, 1, v21
	s_waitcnt lgkmcnt(0)
	v_cmp_lt_u16_sdwa s3, v23, v22 src0_sel:BYTE_0 src1_sel:BYTE_0
                                        ; implicit-def: $vgpr28
	v_cndmask_b32_e64 v25, v24, v20, s1
	v_cndmask_b32_e64 v26, v21, v26, s1
	v_cmp_ge_i32_e32 vcc_lo, v25, v12
	v_cmp_lt_i32_e64 s2, v26, v13
	s_or_b32 s3, vcc_lo, s3
	s_and_b32 s2, s2, s3
	s_xor_b32 s3, s2, -1
	s_and_saveexec_b32 s4, s3
	s_xor_b32 s3, exec_lo, s4
; %bb.109:
	v_add_nc_u32_e32 v24, v0, v25
	ds_read_u8 v28, v24 offset:1
; %bb.110:
	s_or_saveexec_b32 s3, s3
	v_mov_b32_e32 v29, v23
	s_xor_b32 exec_lo, exec_lo, s3
	s_cbranch_execz .LBB129_112
; %bb.111:
	v_add_nc_u32_e32 v24, v0, v26
	s_waitcnt lgkmcnt(0)
	v_mov_b32_e32 v28, v22
	ds_read_u8 v29, v24 offset:1
.LBB129_112:
	s_or_b32 exec_lo, exec_lo, s3
	v_add_nc_u32_e32 v24, 1, v25
	v_add_nc_u32_e32 v27, 1, v26
	s_waitcnt lgkmcnt(0)
	v_cmp_lt_u16_sdwa s4, v29, v28 src0_sel:BYTE_0 src1_sel:BYTE_0
	v_cndmask_b32_e64 v30, v24, v25, s2
	v_cndmask_b32_e64 v31, v26, v27, s2
                                        ; implicit-def: $vgpr24
	v_cmp_ge_i32_e32 vcc_lo, v30, v12
	v_cmp_lt_i32_e64 s3, v31, v13
	s_or_b32 s4, vcc_lo, s4
	s_and_b32 s4, s3, s4
	s_xor_b32 s3, s4, -1
	s_and_saveexec_b32 s5, s3
	s_xor_b32 s3, exec_lo, s5
; %bb.113:
	v_add_nc_u32_e32 v24, v0, v30
	ds_read_u8 v24, v24 offset:1
; %bb.114:
	s_or_saveexec_b32 s3, s3
	v_mov_b32_e32 v27, v29
	s_xor_b32 exec_lo, exec_lo, s3
	s_cbranch_execz .LBB129_116
; %bb.115:
	s_waitcnt lgkmcnt(0)
	v_add_nc_u32_e32 v24, v0, v31
	ds_read_u8 v27, v24 offset:1
	v_mov_b32_e32 v24, v28
.LBB129_116:
	s_or_b32 exec_lo, exec_lo, s3
	v_add_nc_u32_e32 v32, 1, v30
	v_add_nc_u32_e32 v33, 1, v31
	s_waitcnt lgkmcnt(0)
	v_cmp_lt_u16_sdwa s5, v27, v24 src0_sel:BYTE_0 src1_sel:BYTE_0
                                        ; implicit-def: $vgpr34
	v_cndmask_b32_e64 v32, v32, v30, s4
	v_cndmask_b32_e64 v33, v31, v33, s4
	v_cmp_ge_i32_e32 vcc_lo, v32, v12
	v_cmp_lt_i32_e64 s3, v33, v13
	s_or_b32 s5, vcc_lo, s5
	s_and_b32 s3, s3, s5
	s_xor_b32 s5, s3, -1
	s_and_saveexec_b32 s6, s5
	s_xor_b32 s5, exec_lo, s6
; %bb.117:
	v_add_nc_u32_e32 v34, v0, v32
	ds_read_u8 v34, v34 offset:1
; %bb.118:
	s_or_saveexec_b32 s5, s5
	v_mov_b32_e32 v35, v27
	s_xor_b32 exec_lo, exec_lo, s5
	s_cbranch_execz .LBB129_120
; %bb.119:
	s_waitcnt lgkmcnt(0)
	v_add_nc_u32_e32 v34, v0, v33
	ds_read_u8 v35, v34 offset:1
	v_mov_b32_e32 v34, v24
.LBB129_120:
	s_or_b32 exec_lo, exec_lo, s5
	v_add_nc_u32_e32 v36, 1, v32
	v_add_nc_u32_e32 v37, 1, v33
	s_waitcnt lgkmcnt(0)
	v_cmp_lt_u16_sdwa s6, v35, v34 src0_sel:BYTE_0 src1_sel:BYTE_0
                                        ; implicit-def: $vgpr38
	v_cndmask_b32_e64 v36, v36, v32, s3
	v_cndmask_b32_e64 v37, v33, v37, s3
	v_cmp_ge_i32_e32 vcc_lo, v36, v12
	v_cmp_lt_i32_e64 s5, v37, v13
	s_or_b32 s6, vcc_lo, s6
	s_and_b32 vcc_lo, s5, s6
	s_xor_b32 s5, vcc_lo, -1
	s_and_saveexec_b32 s6, s5
	s_xor_b32 s5, exec_lo, s6
; %bb.121:
	v_add_nc_u32_e32 v38, v0, v36
	ds_read_u8 v38, v38 offset:1
; %bb.122:
	s_or_saveexec_b32 s5, s5
	v_mov_b32_e32 v40, v35
	s_xor_b32 exec_lo, exec_lo, s5
	s_cbranch_execz .LBB129_124
; %bb.123:
	s_waitcnt lgkmcnt(0)
	v_add_nc_u32_e32 v38, v0, v37
	ds_read_u8 v40, v38 offset:1
	v_mov_b32_e32 v38, v34
.LBB129_124:
	s_or_b32 exec_lo, exec_lo, s5
	v_add_nc_u32_e32 v39, 1, v36
	v_add_nc_u32_e32 v41, 1, v37
	s_waitcnt lgkmcnt(0)
	v_cmp_lt_u16_sdwa s7, v40, v38 src0_sel:BYTE_0 src1_sel:BYTE_0
	v_cndmask_b32_e32 v42, v39, v36, vcc_lo
	v_cndmask_b32_e32 v43, v37, v41, vcc_lo
                                        ; implicit-def: $vgpr39
	v_cmp_ge_i32_e64 s5, v42, v12
	v_cmp_lt_i32_e64 s6, v43, v13
	s_or_b32 s5, s5, s7
	s_and_b32 s5, s6, s5
	s_xor_b32 s6, s5, -1
	s_and_saveexec_b32 s7, s6
	s_xor_b32 s6, exec_lo, s7
; %bb.125:
	v_add_nc_u32_e32 v39, v0, v42
	ds_read_u8 v39, v39 offset:1
; %bb.126:
	s_or_saveexec_b32 s6, s6
	v_mov_b32_e32 v41, v40
	s_xor_b32 exec_lo, exec_lo, s6
	s_cbranch_execz .LBB129_128
; %bb.127:
	s_waitcnt lgkmcnt(0)
	v_add_nc_u32_e32 v39, v0, v43
	ds_read_u8 v41, v39 offset:1
	v_mov_b32_e32 v39, v38
.LBB129_128:
	s_or_b32 exec_lo, exec_lo, s6
	v_add_nc_u32_e32 v44, 1, v43
	v_add_nc_u32_e32 v45, 1, v42
	v_cndmask_b32_e64 v38, v38, v40, s5
	v_perm_b32 v8, v8, v9, 0xc0c0004
	v_perm_b32 v9, v10, v11, 0xc0c0004
	v_cndmask_b32_e64 v40, v43, v44, s5
	v_cndmask_b32_e64 v44, v45, v42, s5
	v_perm_b32 v2, v2, v5, 0xc0c0004
	v_perm_b32 v5, v6, v7, 0xc0c0004
	v_cndmask_b32_sdwa v34, v34, v35, vcc_lo dst_sel:BYTE_1 dst_unused:UNUSED_PAD src0_sel:DWORD src1_sel:DWORD
	v_cndmask_b32_e32 v35, v36, v37, vcc_lo
	v_cndmask_b32_e64 v18, v18, v19, s1
	v_cndmask_b32_e64 v19, v20, v21, s1
	v_cmp_ge_i32_e32 vcc_lo, v44, v12
	s_waitcnt lgkmcnt(0)
	v_cmp_lt_u16_sdwa s1, v41, v39 src0_sel:BYTE_0 src1_sel:BYTE_0
	v_cndmask_b32_e64 v15, v15, v16, s0
	v_cndmask_b32_e64 v14, v14, v17, s0
	v_cmp_lt_i32_e64 s0, v40, v13
	v_add_nc_u32_e32 v16, v0, v4
	v_lshl_or_b32 v6, v9, 16, v8
	v_lshl_or_b32 v5, v5, 16, v2
	s_or_b32 s1, vcc_lo, s1
	v_cndmask_b32_e64 v22, v22, v23, s2
	v_cndmask_b32_e64 v23, v25, v26, s2
	;; [unrolled: 1-line block ×4, first 2 shown]
	s_and_b32 vcc_lo, s0, s1
	v_cndmask_b32_e64 v42, v42, v43, s5
	v_cndmask_b32_e64 v32, v32, v33, s3
	v_cndmask_b32_e32 v2, v44, v40, vcc_lo
	; wave barrier
	ds_write_b64 v16, v[5:6]
	v_add_nc_u32_e32 v5, v0, v14
	v_add_nc_u32_e32 v6, v0, v19
	;; [unrolled: 1-line block ×7, first 2 shown]
	; wave barrier
	v_add_nc_u32_e32 v13, v0, v2
	ds_read_u8 v2, v5
	ds_read_u8 v5, v6
	;; [unrolled: 1-line block ×8, first 2 shown]
	v_cndmask_b32_e32 v12, v39, v41, vcc_lo
	v_lshlrev_b16 v13, 8, v18
	v_lshlrev_b16 v14, 8, v28
	v_cndmask_b32_e64 v17, v24, v27, s3
	s_mov_b32 s0, exec_lo
	v_lshlrev_b16 v12, 8, v12
	v_or_b32_sdwa v15, v15, v13 dst_sel:DWORD dst_unused:UNUSED_PAD src0_sel:BYTE_0 src1_sel:DWORD
	v_or_b32_sdwa v14, v22, v14 dst_sel:WORD_1 dst_unused:UNUSED_PAD src0_sel:BYTE_0 src1_sel:DWORD
	v_or_b32_sdwa v17, v17, v34 dst_sel:DWORD dst_unused:UNUSED_PAD src0_sel:BYTE_0 src1_sel:DWORD
	v_min_u32_e32 v13, 0x80, v4
	v_or_b32_sdwa v18, v38, v12 dst_sel:WORD_1 dst_unused:UNUSED_PAD src0_sel:BYTE_0 src1_sel:DWORD
	v_subrev_nc_u32_e64 v12, 0x80, v4 clamp
	v_or_b32_sdwa v14, v15, v14 dst_sel:DWORD dst_unused:UNUSED_PAD src0_sel:WORD_0 src1_sel:DWORD
	; wave barrier
	v_or_b32_sdwa v15, v17, v18 dst_sel:DWORD dst_unused:UNUSED_PAD src0_sel:WORD_0 src1_sel:DWORD
	ds_write_b64 v16, v[14:15]
	; wave barrier
	v_cmpx_lt_u32_e64 v12, v13
	s_cbranch_execz .LBB129_132
; %bb.129:
	s_mov_b32 s1, 0
	.p2align	6
.LBB129_130:                            ; =>This Inner Loop Header: Depth=1
	v_sub_nc_u32_e32 v14, v13, v12
	v_lshrrev_b32_e32 v14, 1, v14
	v_add_nc_u32_e32 v14, v14, v12
	v_add_nc_u32_e32 v15, v0, v14
	v_xad_u32 v16, v14, -1, v1
	v_add_nc_u32_e32 v17, 1, v14
	ds_read_u8 v15, v15
	ds_read_u8 v16, v16 offset:128
	s_waitcnt lgkmcnt(0)
	v_cmp_lt_u16_e32 vcc_lo, v16, v15
	v_cndmask_b32_e32 v13, v13, v14, vcc_lo
	v_cndmask_b32_e32 v12, v17, v12, vcc_lo
	v_cmp_ge_i32_e32 vcc_lo, v12, v13
	s_or_b32 s1, vcc_lo, s1
	s_andn2_b32 exec_lo, exec_lo, s1
	s_cbranch_execnz .LBB129_130
; %bb.131:
	s_or_b32 exec_lo, exec_lo, s1
.LBB129_132:
	s_or_b32 exec_lo, exec_lo, s0
	v_sub_nc_u32_e32 v14, v4, v12
	v_add_nc_u32_e32 v15, v0, v12
	v_cmp_lt_i32_e32 vcc_lo, 0x7f, v12
	v_add_nc_u32_e32 v17, v0, v14
	v_add_nc_u32_e32 v16, 0x80, v14
                                        ; implicit-def: $vgpr14
	ds_read_u8 v4, v15
	ds_read_u8 v13, v17 offset:128
	v_cmp_gt_i32_e64 s0, 0x100, v16
	s_waitcnt lgkmcnt(0)
	v_cmp_lt_u16_sdwa s1, v13, v4 src0_sel:BYTE_0 src1_sel:BYTE_0
	s_or_b32 s1, vcc_lo, s1
	s_and_b32 vcc_lo, s0, s1
	s_xor_b32 s0, vcc_lo, -1
	s_and_saveexec_b32 s1, s0
	s_xor_b32 s0, exec_lo, s1
; %bb.133:
	ds_read_u8 v14, v15 offset:1
                                        ; implicit-def: $vgpr17
; %bb.134:
	s_or_saveexec_b32 s0, s0
	v_mov_b32_e32 v15, v13
	s_xor_b32 exec_lo, exec_lo, s0
	s_cbranch_execz .LBB129_136
; %bb.135:
	ds_read_u8 v15, v17 offset:129
	s_waitcnt lgkmcnt(1)
	v_mov_b32_e32 v14, v4
.LBB129_136:
	s_or_b32 exec_lo, exec_lo, s0
	v_add_nc_u32_e32 v17, 1, v12
	v_add_nc_u32_e32 v18, 1, v16
	s_waitcnt lgkmcnt(0)
	v_cmp_lt_u16_sdwa s2, v15, v14 src0_sel:BYTE_0 src1_sel:BYTE_0
	v_cndmask_b32_e32 v20, v17, v12, vcc_lo
	v_cndmask_b32_e32 v21, v16, v18, vcc_lo
                                        ; implicit-def: $vgpr17
	v_cmp_lt_i32_e64 s0, 0x7f, v20
	v_cmp_gt_i32_e64 s1, 0x100, v21
	s_or_b32 s0, s0, s2
	s_and_b32 s0, s1, s0
	s_xor_b32 s1, s0, -1
	s_and_saveexec_b32 s2, s1
	s_xor_b32 s1, exec_lo, s2
; %bb.137:
	v_add_nc_u32_e32 v17, v0, v20
	ds_read_u8 v17, v17 offset:1
; %bb.138:
	s_or_saveexec_b32 s1, s1
	v_mov_b32_e32 v18, v15
	s_xor_b32 exec_lo, exec_lo, s1
	s_cbranch_execz .LBB129_140
; %bb.139:
	s_waitcnt lgkmcnt(0)
	v_add_nc_u32_e32 v17, v0, v21
	ds_read_u8 v18, v17 offset:1
	v_mov_b32_e32 v17, v14
.LBB129_140:
	s_or_b32 exec_lo, exec_lo, s1
	v_add_nc_u32_e32 v19, 1, v20
	v_add_nc_u32_e32 v22, 1, v21
	s_waitcnt lgkmcnt(0)
	v_cmp_lt_u16_sdwa s3, v18, v17 src0_sel:BYTE_0 src1_sel:BYTE_0
	v_cndmask_b32_e64 v24, v19, v20, s0
	v_cndmask_b32_e64 v25, v21, v22, s0
                                        ; implicit-def: $vgpr19
	v_cmp_lt_i32_e64 s1, 0x7f, v24
	v_cmp_gt_i32_e64 s2, 0x100, v25
	s_or_b32 s1, s1, s3
	s_and_b32 s1, s2, s1
	s_xor_b32 s2, s1, -1
	s_and_saveexec_b32 s3, s2
	s_xor_b32 s2, exec_lo, s3
; %bb.141:
	v_add_nc_u32_e32 v19, v0, v24
	ds_read_u8 v19, v19 offset:1
; %bb.142:
	s_or_saveexec_b32 s2, s2
	v_mov_b32_e32 v22, v18
	s_xor_b32 exec_lo, exec_lo, s2
	s_cbranch_execz .LBB129_144
; %bb.143:
	s_waitcnt lgkmcnt(0)
	v_add_nc_u32_e32 v19, v0, v25
	ds_read_u8 v22, v19 offset:1
	v_mov_b32_e32 v19, v17
.LBB129_144:
	s_or_b32 exec_lo, exec_lo, s2
	v_add_nc_u32_e32 v23, 1, v24
	v_add_nc_u32_e32 v26, 1, v25
	s_waitcnt lgkmcnt(0)
	v_cmp_lt_u16_sdwa s4, v22, v19 src0_sel:BYTE_0 src1_sel:BYTE_0
	v_cndmask_b32_e64 v28, v23, v24, s1
	v_cndmask_b32_e64 v29, v25, v26, s1
                                        ; implicit-def: $vgpr23
	v_cmp_lt_i32_e64 s2, 0x7f, v28
	v_cmp_gt_i32_e64 s3, 0x100, v29
	s_or_b32 s2, s2, s4
	s_and_b32 s2, s3, s2
	s_xor_b32 s3, s2, -1
	s_and_saveexec_b32 s4, s3
	s_xor_b32 s3, exec_lo, s4
; %bb.145:
	v_add_nc_u32_e32 v23, v0, v28
	ds_read_u8 v23, v23 offset:1
; %bb.146:
	s_or_saveexec_b32 s3, s3
	v_mov_b32_e32 v26, v22
	s_xor_b32 exec_lo, exec_lo, s3
	s_cbranch_execz .LBB129_148
; %bb.147:
	s_waitcnt lgkmcnt(0)
	v_add_nc_u32_e32 v23, v0, v29
	ds_read_u8 v26, v23 offset:1
	v_mov_b32_e32 v23, v19
.LBB129_148:
	s_or_b32 exec_lo, exec_lo, s3
	v_add_nc_u32_e32 v27, 1, v28
	v_add_nc_u32_e32 v30, 1, v29
	s_waitcnt lgkmcnt(0)
	v_cmp_lt_u16_sdwa s5, v26, v23 src0_sel:BYTE_0 src1_sel:BYTE_0
	v_cndmask_b32_e64 v31, v27, v28, s2
	v_cndmask_b32_e64 v32, v29, v30, s2
                                        ; implicit-def: $vgpr27
	v_cmp_lt_i32_e64 s3, 0x7f, v31
	v_cmp_gt_i32_e64 s4, 0x100, v32
	s_or_b32 s3, s3, s5
	s_and_b32 s3, s4, s3
	s_xor_b32 s4, s3, -1
	s_and_saveexec_b32 s5, s4
	s_xor_b32 s4, exec_lo, s5
; %bb.149:
	v_add_nc_u32_e32 v27, v0, v31
	ds_read_u8 v27, v27 offset:1
; %bb.150:
	s_or_saveexec_b32 s4, s4
	v_mov_b32_e32 v30, v26
	s_xor_b32 exec_lo, exec_lo, s4
	s_cbranch_execz .LBB129_152
; %bb.151:
	s_waitcnt lgkmcnt(0)
	v_add_nc_u32_e32 v27, v0, v32
	ds_read_u8 v30, v27 offset:1
	v_mov_b32_e32 v27, v23
.LBB129_152:
	s_or_b32 exec_lo, exec_lo, s4
	v_add_nc_u32_e32 v33, 1, v31
	v_add_nc_u32_e32 v34, 1, v32
	s_waitcnt lgkmcnt(0)
	v_cmp_lt_u16_sdwa s6, v30, v27 src0_sel:BYTE_0 src1_sel:BYTE_0
                                        ; implicit-def: $vgpr39
	v_cndmask_b32_e64 v33, v33, v31, s3
	v_cndmask_b32_e64 v34, v32, v34, s3
	v_cmp_lt_i32_e64 s4, 0x7f, v33
	v_cmp_gt_i32_e64 s5, 0x100, v34
	s_or_b32 s4, s4, s6
	s_and_b32 s4, s5, s4
	s_xor_b32 s5, s4, -1
	s_and_saveexec_b32 s6, s5
	s_xor_b32 s5, exec_lo, s6
; %bb.153:
	v_add_nc_u32_e32 v35, v0, v33
	ds_read_u8 v39, v35 offset:1
; %bb.154:
	s_or_saveexec_b32 s5, s5
	v_mov_b32_e32 v36, v30
	s_xor_b32 exec_lo, exec_lo, s5
	s_cbranch_execz .LBB129_156
; %bb.155:
	v_add_nc_u32_e32 v35, v0, v34
	s_waitcnt lgkmcnt(0)
	v_mov_b32_e32 v39, v27
	ds_read_u8 v36, v35 offset:1
.LBB129_156:
	s_or_b32 exec_lo, exec_lo, s5
	v_add_nc_u32_e32 v35, 1, v33
	v_add_nc_u32_e32 v37, 1, v34
	s_waitcnt lgkmcnt(0)
	v_cmp_ge_u16_sdwa s7, v36, v39 src0_sel:BYTE_0 src1_sel:BYTE_0
                                        ; implicit-def: $vgpr41
                                        ; implicit-def: $vgpr40
	v_cndmask_b32_e64 v42, v35, v33, s4
	v_cndmask_b32_e64 v37, v34, v37, s4
	v_cmp_gt_i32_e64 s5, 0x80, v42
	v_cmp_lt_i32_e64 s6, 0xff, v37
	s_and_b32 s5, s5, s7
	s_or_b32 s5, s6, s5
	s_and_saveexec_b32 s6, s5
	s_xor_b32 s5, exec_lo, s6
; %bb.157:
	v_add_nc_u32_e32 v35, v0, v42
	v_add_nc_u32_e32 v40, 1, v42
	ds_read_u8 v41, v35 offset:1
; %bb.158:
	s_or_saveexec_b32 s5, s5
	v_mov_b32_e32 v35, v39
	v_mov_b32_e32 v38, v42
	s_xor_b32 exec_lo, exec_lo, s5
	s_cbranch_execz .LBB129_160
; %bb.159:
	v_add_nc_u32_e32 v35, v0, v37
	s_waitcnt lgkmcnt(0)
	v_add_nc_u32_e32 v41, 1, v37
	v_mov_b32_e32 v38, v37
	v_mov_b32_e32 v40, v42
	ds_read_u8 v43, v35 offset:1
	v_mov_b32_e32 v35, v36
	v_mov_b32_e32 v37, v41
	;; [unrolled: 1-line block ×3, first 2 shown]
	s_waitcnt lgkmcnt(0)
	v_mov_b32_e32 v36, v43
.LBB129_160:
	s_or_b32 exec_lo, exec_lo, s5
	v_cmp_lt_i32_e64 s5, 0x7f, v40
	s_waitcnt lgkmcnt(0)
	v_cmp_lt_u16_sdwa s7, v36, v41 src0_sel:BYTE_0 src1_sel:BYTE_0
	v_perm_b32 v8, v8, v9, 0xc0c0004
	v_perm_b32 v9, v10, v11, 0xc0c0004
	;; [unrolled: 1-line block ×4, first 2 shown]
	v_cmp_gt_i32_e64 s6, 0x100, v37
	v_cndmask_b32_e32 v7, v12, v16, vcc_lo
	s_or_b32 s5, s5, s7
	v_lshl_or_b32 v6, v9, 16, v8
	v_lshl_or_b32 v5, v5, 16, v2
	v_cndmask_b32_e64 v20, v20, v21, s0
	v_cndmask_b32_e64 v24, v24, v25, s1
	s_and_b32 s5, s6, s5
	v_cndmask_b32_e64 v28, v28, v29, s2
	v_cndmask_b32_e64 v33, v33, v34, s4
	;; [unrolled: 1-line block ×4, first 2 shown]
	; wave barrier
	ds_write_b64 v1, v[5:6]
	v_add_nc_u32_e32 v1, v0, v7
	v_add_nc_u32_e32 v5, v0, v20
	;; [unrolled: 1-line block ×8, first 2 shown]
	; wave barrier
	ds_read_u8 v1, v1
	ds_read_u8 v5, v5
	;; [unrolled: 1-line block ×8, first 2 shown]
	v_cndmask_b32_e64 v2, v41, v36, s5
	v_cndmask_b32_e64 v11, v27, v30, s4
	v_cndmask_b32_e32 v4, v4, v13, vcc_lo
	v_cndmask_b32_e64 v12, v14, v15, s0
	v_cndmask_b32_e64 v13, v17, v18, s1
	;; [unrolled: 1-line block ×4, first 2 shown]
	s_add_u32 s0, s38, s40
	s_addc_u32 s1, s39, 0
	s_waitcnt lgkmcnt(7)
	v_add_nc_u16 v1, v1, v4
	s_waitcnt lgkmcnt(6)
	v_add_nc_u16 v4, v5, v12
	;; [unrolled: 2-line block ×8, first 2 shown]
	v_lshlrev_b16 v2, 8, v4
	v_lshlrev_b16 v4, 8, v6
	v_lshlrev_b16 v6, 8, v8
	v_lshlrev_b16 v0, 8, v0
	v_or_b32_sdwa v2, v1, v2 dst_sel:DWORD dst_unused:UNUSED_PAD src0_sel:BYTE_0 src1_sel:DWORD
	v_or_b32_sdwa v4, v5, v4 dst_sel:WORD_1 dst_unused:UNUSED_PAD src0_sel:BYTE_0 src1_sel:DWORD
	v_or_b32_sdwa v5, v7, v6 dst_sel:DWORD dst_unused:UNUSED_PAD src0_sel:BYTE_0 src1_sel:DWORD
	v_or_b32_sdwa v6, v9, v0 dst_sel:WORD_1 dst_unused:UNUSED_PAD src0_sel:BYTE_0 src1_sel:DWORD
	v_add_co_u32 v0, s0, s0, v3
	v_add_co_ci_u32_e64 v1, null, s1, 0, s0
	v_or_b32_sdwa v2, v2, v4 dst_sel:DWORD dst_unused:UNUSED_PAD src0_sel:WORD_0 src1_sel:DWORD
	v_or_b32_sdwa v3, v5, v6 dst_sel:DWORD dst_unused:UNUSED_PAD src0_sel:WORD_0 src1_sel:DWORD
	global_store_dwordx2 v[0:1], v[2:3], off
	s_endpgm
	.section	.rodata,"a",@progbits
	.p2align	6, 0x0
	.amdhsa_kernel _Z10sort_pairsILj256ELj32ELj8EhN10test_utils4lessEEvPKT2_PS2_T3_
		.amdhsa_group_segment_fixed_size 2056
		.amdhsa_private_segment_fixed_size 0
		.amdhsa_kernarg_size 20
		.amdhsa_user_sgpr_count 6
		.amdhsa_user_sgpr_private_segment_buffer 1
		.amdhsa_user_sgpr_dispatch_ptr 0
		.amdhsa_user_sgpr_queue_ptr 0
		.amdhsa_user_sgpr_kernarg_segment_ptr 1
		.amdhsa_user_sgpr_dispatch_id 0
		.amdhsa_user_sgpr_flat_scratch_init 0
		.amdhsa_user_sgpr_private_segment_size 0
		.amdhsa_wavefront_size32 1
		.amdhsa_uses_dynamic_stack 0
		.amdhsa_system_sgpr_private_segment_wavefront_offset 0
		.amdhsa_system_sgpr_workgroup_id_x 1
		.amdhsa_system_sgpr_workgroup_id_y 0
		.amdhsa_system_sgpr_workgroup_id_z 0
		.amdhsa_system_sgpr_workgroup_info 0
		.amdhsa_system_vgpr_workitem_id 0
		.amdhsa_next_free_vgpr 46
		.amdhsa_next_free_sgpr 41
		.amdhsa_reserve_vcc 1
		.amdhsa_reserve_flat_scratch 0
		.amdhsa_float_round_mode_32 0
		.amdhsa_float_round_mode_16_64 0
		.amdhsa_float_denorm_mode_32 3
		.amdhsa_float_denorm_mode_16_64 3
		.amdhsa_dx10_clamp 1
		.amdhsa_ieee_mode 1
		.amdhsa_fp16_overflow 0
		.amdhsa_workgroup_processor_mode 1
		.amdhsa_memory_ordered 1
		.amdhsa_forward_progress 1
		.amdhsa_shared_vgpr_count 0
		.amdhsa_exception_fp_ieee_invalid_op 0
		.amdhsa_exception_fp_denorm_src 0
		.amdhsa_exception_fp_ieee_div_zero 0
		.amdhsa_exception_fp_ieee_overflow 0
		.amdhsa_exception_fp_ieee_underflow 0
		.amdhsa_exception_fp_ieee_inexact 0
		.amdhsa_exception_int_div_zero 0
	.end_amdhsa_kernel
	.section	.text._Z10sort_pairsILj256ELj32ELj8EhN10test_utils4lessEEvPKT2_PS2_T3_,"axG",@progbits,_Z10sort_pairsILj256ELj32ELj8EhN10test_utils4lessEEvPKT2_PS2_T3_,comdat
.Lfunc_end129:
	.size	_Z10sort_pairsILj256ELj32ELj8EhN10test_utils4lessEEvPKT2_PS2_T3_, .Lfunc_end129-_Z10sort_pairsILj256ELj32ELj8EhN10test_utils4lessEEvPKT2_PS2_T3_
                                        ; -- End function
	.set _Z10sort_pairsILj256ELj32ELj8EhN10test_utils4lessEEvPKT2_PS2_T3_.num_vgpr, 46
	.set _Z10sort_pairsILj256ELj32ELj8EhN10test_utils4lessEEvPKT2_PS2_T3_.num_agpr, 0
	.set _Z10sort_pairsILj256ELj32ELj8EhN10test_utils4lessEEvPKT2_PS2_T3_.numbered_sgpr, 41
	.set _Z10sort_pairsILj256ELj32ELj8EhN10test_utils4lessEEvPKT2_PS2_T3_.num_named_barrier, 0
	.set _Z10sort_pairsILj256ELj32ELj8EhN10test_utils4lessEEvPKT2_PS2_T3_.private_seg_size, 0
	.set _Z10sort_pairsILj256ELj32ELj8EhN10test_utils4lessEEvPKT2_PS2_T3_.uses_vcc, 1
	.set _Z10sort_pairsILj256ELj32ELj8EhN10test_utils4lessEEvPKT2_PS2_T3_.uses_flat_scratch, 0
	.set _Z10sort_pairsILj256ELj32ELj8EhN10test_utils4lessEEvPKT2_PS2_T3_.has_dyn_sized_stack, 0
	.set _Z10sort_pairsILj256ELj32ELj8EhN10test_utils4lessEEvPKT2_PS2_T3_.has_recursion, 0
	.set _Z10sort_pairsILj256ELj32ELj8EhN10test_utils4lessEEvPKT2_PS2_T3_.has_indirect_call, 0
	.section	.AMDGPU.csdata,"",@progbits
; Kernel info:
; codeLenInByte = 9816
; TotalNumSgprs: 43
; NumVgprs: 46
; ScratchSize: 0
; MemoryBound: 0
; FloatMode: 240
; IeeeMode: 1
; LDSByteSize: 2056 bytes/workgroup (compile time only)
; SGPRBlocks: 0
; VGPRBlocks: 5
; NumSGPRsForWavesPerEU: 43
; NumVGPRsForWavesPerEU: 46
; Occupancy: 16
; WaveLimiterHint : 0
; COMPUTE_PGM_RSRC2:SCRATCH_EN: 0
; COMPUTE_PGM_RSRC2:USER_SGPR: 6
; COMPUTE_PGM_RSRC2:TRAP_HANDLER: 0
; COMPUTE_PGM_RSRC2:TGID_X_EN: 1
; COMPUTE_PGM_RSRC2:TGID_Y_EN: 0
; COMPUTE_PGM_RSRC2:TGID_Z_EN: 0
; COMPUTE_PGM_RSRC2:TIDIG_COMP_CNT: 0
	.section	.text._Z19sort_keys_segmentedILj256ELj32ELj8EhN10test_utils4lessEEvPKT2_PS2_PKjT3_,"axG",@progbits,_Z19sort_keys_segmentedILj256ELj32ELj8EhN10test_utils4lessEEvPKT2_PS2_PKjT3_,comdat
	.protected	_Z19sort_keys_segmentedILj256ELj32ELj8EhN10test_utils4lessEEvPKT2_PS2_PKjT3_ ; -- Begin function _Z19sort_keys_segmentedILj256ELj32ELj8EhN10test_utils4lessEEvPKT2_PS2_PKjT3_
	.globl	_Z19sort_keys_segmentedILj256ELj32ELj8EhN10test_utils4lessEEvPKT2_PS2_PKjT3_
	.p2align	8
	.type	_Z19sort_keys_segmentedILj256ELj32ELj8EhN10test_utils4lessEEvPKT2_PS2_PKjT3_,@function
_Z19sort_keys_segmentedILj256ELj32ELj8EhN10test_utils4lessEEvPKT2_PS2_PKjT3_: ; @_Z19sort_keys_segmentedILj256ELj32ELj8EhN10test_utils4lessEEvPKT2_PS2_PKjT3_
; %bb.0:
	s_clause 0x1
	s_load_dwordx2 s[0:1], s[4:5], 0x10
	s_load_dwordx4 s[16:19], s[4:5], 0x0
	v_lshrrev_b32_e32 v7, 5, v0
	v_mov_b32_e32 v1, 0
	v_mov_b32_e32 v8, 0
	v_mov_b32_e32 v11, 0
	v_mov_b32_e32 v9, 0
	v_lshl_or_b32 v0, s6, 3, v7
	v_mov_b32_e32 v10, 0
	v_mov_b32_e32 v12, 0
	v_lshlrev_b64 v[2:3], 2, v[0:1]
	v_lshlrev_b32_e32 v4, 8, v0
	v_mov_b32_e32 v0, 0
	s_waitcnt lgkmcnt(0)
	v_add_co_u32 v2, vcc_lo, s0, v2
	v_add_co_ci_u32_e64 v3, null, s1, v3, vcc_lo
	global_load_dword v6, v[2:3], off
	v_mbcnt_lo_u32_b32 v2, -1, 0
	v_lshlrev_b32_e32 v5, 3, v2
	v_add_co_u32 v2, s0, s16, v4
	v_add_co_ci_u32_e64 v3, null, s17, 0, s0
	v_add_co_u32 v2, vcc_lo, v2, v5
	v_add_co_ci_u32_e64 v3, null, 0, v3, vcc_lo
	s_waitcnt vmcnt(0)
	v_cmp_lt_u32_e64 s0, v5, v6
	s_and_saveexec_b32 s1, s0
	s_cbranch_execz .LBB130_2
; %bb.1:
	global_load_ubyte v8, v[2:3], off
	v_mov_b32_e32 v11, 0
	v_mov_b32_e32 v0, 0
	;; [unrolled: 1-line block ×5, first 2 shown]
.LBB130_2:
	s_or_b32 exec_lo, exec_lo, s1
	v_or_b32_e32 v13, 1, v5
	v_mov_b32_e32 v14, v1
	v_cmp_lt_u32_e64 s1, v13, v6
	s_and_saveexec_b32 s2, s1
	s_cbranch_execz .LBB130_4
; %bb.3:
	global_load_ubyte v14, v[2:3], off offset:1
.LBB130_4:
	s_or_b32 exec_lo, exec_lo, s2
	v_or_b32_e32 v15, 2, v5
	v_cmp_lt_u32_e64 s2, v15, v6
	s_and_saveexec_b32 s3, s2
	s_cbranch_execz .LBB130_6
; %bb.5:
	global_load_ubyte v1, v[2:3], off offset:2
.LBB130_6:
	s_or_b32 exec_lo, exec_lo, s3
	v_or_b32_e32 v16, 3, v5
	;; [unrolled: 8-line block ×6, first 2 shown]
	v_cmp_lt_u32_e64 s7, v20, v6
	s_and_saveexec_b32 s8, s7
	s_cbranch_execz .LBB130_16
; %bb.15:
	global_load_ubyte v12, v[2:3], off offset:7
.LBB130_16:
	s_or_b32 exec_lo, exec_lo, s8
	s_waitcnt vmcnt(0)
	v_perm_b32 v1, v1, v11, 0xc0c0004
	v_perm_b32 v2, v8, v14, 0xc0c0004
	v_or_b32_e32 v3, 0xffffff00, v8
	v_cmp_lt_i32_e32 vcc_lo, v13, v6
	v_perm_b32 v0, v0, v9, 0xc0c0004
	v_lshlrev_b32_e32 v1, 16, v1
	v_cmp_lt_i32_e64 s8, v16, v6
	s_mov_b32 s9, exec_lo
	v_or_b32_e32 v9, 0xff, v0
	v_or_b32_e32 v8, v2, v1
	v_or_b32_sdwa v1, v3, v1 dst_sel:DWORD dst_unused:UNUSED_PAD src0_sel:WORD_0 src1_sel:DWORD
	v_mov_b32_e32 v3, 0xff
	v_perm_b32 v2, v10, v12, 0xc0c0004
	v_and_b32_e32 v9, 0xffff, v9
	v_cndmask_b32_e32 v1, v1, v8, vcc_lo
	v_cmp_lt_i32_e32 vcc_lo, v15, v6
	v_lshl_or_b32 v0, v2, 16, v0
	v_mov_b32_e32 v2, 0xffffff00
	v_or_b32_sdwa v10, v1, v3 dst_sel:WORD_1 dst_unused:UNUSED_PAD src0_sel:WORD_1 src1_sel:DWORD
	v_and_or_b32 v9, 0xffff0000, v0, v9
	v_and_or_b32 v1, 0xffff, v1, v10
	v_cndmask_b32_e32 v1, v1, v8, vcc_lo
	v_cmp_lt_i32_e32 vcc_lo, v17, v6
	v_or_b32_sdwa v10, v1, v2 dst_sel:WORD_1 dst_unused:UNUSED_PAD src0_sel:WORD_1 src1_sel:DWORD
	v_cndmask_b32_e32 v9, v9, v0, vcc_lo
	v_and_or_b32 v1, 0xffff, v1, v10
	v_or_b32_e32 v11, 0xffffff00, v9
	v_cndmask_b32_e64 v1, v1, v8, s8
	v_and_b32_e32 v10, 0xffff, v11
	v_cmp_lt_i32_e64 s8, v20, v6
	v_cndmask_b32_e32 v1, v1, v8, vcc_lo
	v_and_or_b32 v9, 0xffff0000, v9, v10
	v_cmp_lt_i32_e32 vcc_lo, v18, v6
	v_cndmask_b32_e32 v10, v1, v8, vcc_lo
	v_cndmask_b32_e32 v1, v9, v0, vcc_lo
	v_cmp_lt_i32_e32 vcc_lo, v19, v6
	v_or_b32_sdwa v3, v1, v3 dst_sel:WORD_1 dst_unused:UNUSED_PAD src0_sel:WORD_1 src1_sel:DWORD
	v_and_or_b32 v1, 0xffff, v1, v3
	v_cndmask_b32_e32 v1, v1, v0, vcc_lo
	v_cndmask_b32_e32 v0, v10, v8, vcc_lo
	v_cmpx_ge_i32_e64 v20, v6
; %bb.17:
	v_or_b32_sdwa v2, v1, v2 dst_sel:WORD_1 dst_unused:UNUSED_PAD src0_sel:WORD_1 src1_sel:DWORD
	v_cmp_lt_i32_e32 vcc_lo, v5, v6
	s_andn2_b32 s8, s8, exec_lo
	v_and_or_b32 v1, 0xffff, v1, v2
	s_and_b32 s10, vcc_lo, exec_lo
	s_or_b32 s8, s8, s10
; %bb.18:
	s_or_b32 exec_lo, exec_lo, s9
	s_and_saveexec_b32 s10, s8
	s_cbranch_execz .LBB130_22
; %bb.19:
	v_lshrrev_b32_e32 v2, 8, v0
	v_perm_b32 v3, 0, v0, 0xc0c0001
	v_and_b32_e32 v8, 0xff, v0
	v_lshrrev_b32_e32 v11, 8, v1
	v_and_b32_e32 v14, 0xff, v1
	v_and_b32_e32 v9, 0xff, v2
	v_and_or_b32 v2, 0xffff0000, v0, v3
	v_perm_b32 v10, v1, v1, 0x7060405
	v_and_b32_e32 v11, 0xff, v11
	v_cmp_lt_u16_e32 vcc_lo, v9, v8
	v_cndmask_b32_e32 v0, v0, v2, vcc_lo
	v_lshrrev_b32_e32 v2, 16, v0
	v_lshrrev_b32_e32 v12, 24, v0
	v_perm_b32 v3, 0, v2, 0xc0c0001
	v_and_b32_e32 v13, 0xff, v2
	v_mov_b32_e32 v2, 0xffffff00
	v_lshlrev_b32_e32 v3, 16, v3
	v_cmp_lt_u16_e32 vcc_lo, v12, v13
	v_min_u16 v15, v12, v13
	v_max_u16 v12, v12, v13
	v_and_or_b32 v3, 0xffff, v0, v3
	v_lshlrev_b16 v16, 8, v15
	v_cndmask_b32_e32 v0, v0, v3, vcc_lo
	v_cmp_lt_u16_e32 vcc_lo, v11, v14
	v_mov_b32_e32 v3, 0xff
	v_and_b32_sdwa v17, v0, v2 dst_sel:DWORD dst_unused:UNUSED_PAD src0_sel:WORD_1 src1_sel:DWORD
	v_cndmask_b32_e32 v1, v1, v10, vcc_lo
	v_max_u16 v10, v9, v8
	v_or_b32_sdwa v16, v0, v16 dst_sel:DWORD dst_unused:UNUSED_PAD src0_sel:BYTE_0 src1_sel:DWORD
	v_min_u16 v8, v9, v8
	v_lshrrev_b32_e32 v18, 24, v1
	v_and_b32_sdwa v19, v1, v3 dst_sel:DWORD dst_unused:UNUSED_PAD src0_sel:WORD_1 src1_sel:DWORD
	v_perm_b32 v20, v1, v1, 0x6070504
	v_or_b32_sdwa v17, v10, v17 dst_sel:WORD_1 dst_unused:UNUSED_PAD src0_sel:DWORD src1_sel:DWORD
	v_min_u16 v22, v15, v10
	v_cmp_lt_u16_e32 vcc_lo, v18, v19
	v_or_b32_sdwa v16, v16, v17 dst_sel:DWORD dst_unused:UNUSED_PAD src0_sel:WORD_0 src1_sel:DWORD
	v_min_u16 v17, v11, v14
	v_max_u16 v11, v11, v14
	v_cndmask_b32_e32 v1, v1, v20, vcc_lo
	v_cmp_lt_u16_e32 vcc_lo, v15, v10
	v_lshlrev_b16 v14, 8, v8
	v_lshlrev_b16 v9, 8, v17
	v_min_u16 v20, v18, v19
	v_and_b32_e32 v13, 0xffffff00, v1
	v_cndmask_b32_e32 v0, v0, v16, vcc_lo
	v_cmp_lt_u16_e32 vcc_lo, v17, v12
	v_or_b32_e32 v14, v22, v14
	v_max_u16 v10, v15, v10
	v_or_b32_e32 v13, v12, v13
	v_and_b32_sdwa v16, v0, v3 dst_sel:DWORD dst_unused:UNUSED_PAD src0_sel:WORD_1 src1_sel:DWORD
	v_max_u16 v23, v17, v12
	v_max_u16 v21, v20, v11
	v_cmp_lt_u16_e64 s8, v20, v11
	v_and_b32_e32 v13, 0xffff, v13
	v_or_b32_sdwa v9, v16, v9 dst_sel:WORD_1 dst_unused:UNUSED_PAD src0_sel:DWORD src1_sel:DWORD
	v_lshlrev_b16 v16, 8, v20
	v_lshlrev_b16 v24, 8, v23
	v_and_or_b32 v13, 0xffff0000, v1, v13
	v_and_or_b32 v9, 0xffff, v0, v9
	v_cndmask_b32_e32 v1, v1, v13, vcc_lo
	v_cndmask_b32_e32 v0, v0, v9, vcc_lo
	v_min_u16 v9, v17, v12
	v_and_b32_e32 v13, 0xffff, v14
	v_lshlrev_b16 v12, 8, v10
	v_and_b32_sdwa v17, v1, v2 dst_sel:DWORD dst_unused:UNUSED_PAD src0_sel:WORD_1 src1_sel:DWORD
	v_min_u16 v14, v20, v11
	v_or_b32_sdwa v16, v1, v16 dst_sel:DWORD dst_unused:UNUSED_PAD src0_sel:BYTE_0 src1_sel:DWORD
	v_and_or_b32 v13, 0xffff0000, v0, v13
	v_cmp_lt_u16_e32 vcc_lo, v15, v8
	v_or_b32_sdwa v17, v11, v17 dst_sel:WORD_1 dst_unused:UNUSED_PAD src0_sel:DWORD src1_sel:DWORD
	v_or_b32_sdwa v12, v9, v12 dst_sel:WORD_1 dst_unused:UNUSED_PAD src0_sel:DWORD src1_sel:DWORD
	v_or_b32_e32 v24, v14, v24
	v_cndmask_b32_e32 v0, v0, v13, vcc_lo
	v_or_b32_sdwa v15, v16, v17 dst_sel:DWORD dst_unused:UNUSED_PAD src0_sel:WORD_0 src1_sel:DWORD
	v_max_u16 v13, v18, v19
	v_lshlrev_b16 v16, 8, v21
	v_and_b32_e32 v17, 0xffff, v24
	v_and_or_b32 v12, 0xffff, v0, v12
	v_cndmask_b32_e64 v1, v1, v15, s8
	v_cmp_lt_u16_e64 s8, v9, v10
	v_min_u16 v15, v9, v10
	v_cndmask_b32_e32 v18, v22, v8, vcc_lo
	v_max_u16 v9, v9, v10
	v_cndmask_b32_e32 v8, v8, v22, vcc_lo
	v_cndmask_b32_e64 v0, v0, v12, s8
	v_or_b32_sdwa v12, v13, v16 dst_sel:WORD_1 dst_unused:UNUSED_PAD src0_sel:DWORD src1_sel:DWORD
	v_and_or_b32 v16, 0xffff0000, v1, v17
	v_cmp_lt_u16_e64 s8, v14, v23
	v_lshlrev_b16 v17, 8, v15
	v_and_b32_sdwa v19, v0, v2 dst_sel:DWORD dst_unused:UNUSED_PAD src0_sel:WORD_1 src1_sel:DWORD
	v_cmp_lt_u16_e64 s9, v15, v18
	v_min_u16 v20, v15, v18
	v_cndmask_b32_e64 v1, v1, v16, s8
	v_cmp_gt_u16_e64 s8, v11, v13
	v_or_b32_sdwa v16, v0, v17 dst_sel:DWORD dst_unused:UNUSED_PAD src0_sel:BYTE_0 src1_sel:DWORD
	v_or_b32_sdwa v17, v18, v19 dst_sel:WORD_1 dst_unused:UNUSED_PAD src0_sel:DWORD src1_sel:DWORD
	v_min_u16 v11, v14, v23
	v_and_or_b32 v12, 0xffff, v1, v12
	v_lshlrev_b16 v22, 8, v8
	v_or_b32_sdwa v16, v16, v17 dst_sel:DWORD dst_unused:UNUSED_PAD src0_sel:WORD_0 src1_sel:DWORD
	v_max_u16 v17, v11, v9
	v_cndmask_b32_e64 v1, v1, v12, s8
	v_max_u16 v12, v14, v23
	v_lshlrev_b16 v14, 8, v11
	v_cndmask_b32_e64 v0, v0, v16, s9
	v_min_u16 v19, v11, v9
	v_and_b32_e32 v10, 0xffffff00, v1
	v_cmp_lt_u16_e32 vcc_lo, v11, v9
	v_or_b32_e32 v11, v20, v22
	v_and_b32_sdwa v16, v0, v3 dst_sel:DWORD dst_unused:UNUSED_PAD src0_sel:WORD_1 src1_sel:DWORD
	v_or_b32_e32 v10, v9, v10
	v_and_b32_e32 v11, 0xffff, v11
	v_or_b32_sdwa v14, v16, v14 dst_sel:WORD_1 dst_unused:UNUSED_PAD src0_sel:DWORD src1_sel:DWORD
	v_lshlrev_b16 v16, 8, v17
	v_and_b32_e32 v10, 0xffff, v10
	v_and_or_b32 v14, 0xffff, v0, v14
	v_and_or_b32 v9, 0xffff0000, v1, v10
	v_max_u16 v10, v15, v18
	v_cndmask_b32_e64 v15, v21, v13, s8
	v_cndmask_b32_e32 v0, v0, v14, vcc_lo
	v_cndmask_b32_e32 v1, v1, v9, vcc_lo
	v_lshlrev_b16 v9, 8, v10
	v_lshlrev_b16 v18, 8, v15
	v_min_u16 v23, v15, v12
	v_and_or_b32 v11, 0xffff0000, v0, v11
	v_and_b32_sdwa v22, v1, v2 dst_sel:DWORD dst_unused:UNUSED_PAD src0_sel:WORD_1 src1_sel:DWORD
	v_cmp_lt_u16_e32 vcc_lo, v20, v8
	v_or_b32_sdwa v18, v1, v18 dst_sel:DWORD dst_unused:UNUSED_PAD src0_sel:BYTE_0 src1_sel:DWORD
	v_or_b32_sdwa v9, v19, v9 dst_sel:WORD_1 dst_unused:UNUSED_PAD src0_sel:DWORD src1_sel:DWORD
	v_or_b32_e32 v16, v23, v16
	v_or_b32_sdwa v22, v12, v22 dst_sel:WORD_1 dst_unused:UNUSED_PAD src0_sel:DWORD src1_sel:DWORD
	v_cndmask_b32_e32 v0, v0, v11, vcc_lo
	v_cndmask_b32_e64 v11, v13, v21, s8
	v_cmp_lt_u16_e32 vcc_lo, v15, v12
	v_and_b32_e32 v16, 0xffff, v16
	v_or_b32_sdwa v13, v18, v22 dst_sel:DWORD dst_unused:UNUSED_PAD src0_sel:WORD_0 src1_sel:DWORD
	v_max_u16 v18, v15, v12
	v_and_or_b32 v9, 0xffff, v0, v9
	v_min_u16 v14, v19, v10
	v_cndmask_b32_e32 v1, v1, v13, vcc_lo
	v_cmp_lt_u16_e32 vcc_lo, v19, v10
	v_lshlrev_b16 v12, 8, v18
	v_lshlrev_b16 v15, 8, v14
	v_max_u16 v10, v19, v10
	v_and_or_b32 v13, 0xffff0000, v1, v16
	v_cndmask_b32_e32 v0, v0, v9, vcc_lo
	v_cmp_lt_u16_e32 vcc_lo, v23, v17
	v_or_b32_sdwa v12, v11, v12 dst_sel:WORD_1 dst_unused:UNUSED_PAD src0_sel:DWORD src1_sel:DWORD
	v_max_u16 v9, v20, v8
	v_min_u16 v8, v20, v8
	v_and_b32_sdwa v16, v0, v2 dst_sel:DWORD dst_unused:UNUSED_PAD src0_sel:WORD_1 src1_sel:DWORD
	v_cndmask_b32_e32 v1, v1, v13, vcc_lo
	v_cmp_lt_u16_e32 vcc_lo, v11, v18
	v_or_b32_sdwa v13, v0, v15 dst_sel:DWORD dst_unused:UNUSED_PAD src0_sel:BYTE_0 src1_sel:DWORD
	v_min_u16 v21, v11, v18
	v_or_b32_sdwa v15, v9, v16 dst_sel:WORD_1 dst_unused:UNUSED_PAD src0_sel:DWORD src1_sel:DWORD
	v_and_or_b32 v12, 0xffff, v1, v12
	v_lshlrev_b16 v16, 8, v8
	v_max_u16 v11, v11, v18
	v_or_b32_sdwa v13, v13, v15 dst_sel:DWORD dst_unused:UNUSED_PAD src0_sel:WORD_0 src1_sel:DWORD
	v_cndmask_b32_e32 v1, v1, v12, vcc_lo
	v_cmp_lt_u16_e32 vcc_lo, v14, v9
	v_min_u16 v12, v23, v17
	v_max_u16 v17, v23, v17
	v_and_b32_e32 v15, 0xffffff00, v1
	v_cndmask_b32_e32 v0, v0, v13, vcc_lo
	v_lshlrev_b16 v19, 8, v12
	v_min_u16 v13, v14, v9
	v_cmp_lt_u16_e32 vcc_lo, v12, v10
	v_or_b32_e32 v15, v10, v15
	v_and_b32_sdwa v20, v0, v3 dst_sel:DWORD dst_unused:UNUSED_PAD src0_sel:WORD_1 src1_sel:DWORD
	v_max_u16 v9, v14, v9
	v_or_b32_e32 v16, v13, v16
	v_max_u16 v22, v12, v10
	v_and_b32_e32 v15, 0xffff, v15
	v_or_b32_sdwa v19, v20, v19 dst_sel:WORD_1 dst_unused:UNUSED_PAD src0_sel:DWORD src1_sel:DWORD
	v_min_u16 v10, v12, v10
	v_and_b32_e32 v16, 0xffff, v16
	v_lshlrev_b16 v12, 8, v21
	v_and_or_b32 v15, 0xffff0000, v1, v15
	v_and_or_b32 v19, 0xffff, v0, v19
	v_lshlrev_b16 v20, 8, v9
	v_lshlrev_b16 v24, 8, v22
	v_cmp_lt_u16_e64 s8, v21, v17
	v_cndmask_b32_e32 v1, v1, v15, vcc_lo
	v_cndmask_b32_e32 v0, v0, v19, vcc_lo
	v_min_u16 v19, v21, v17
	v_cmp_lt_u16_e32 vcc_lo, v14, v8
	v_or_b32_sdwa v20, v10, v20 dst_sel:WORD_1 dst_unused:UNUSED_PAD src0_sel:DWORD src1_sel:DWORD
	v_and_b32_sdwa v23, v1, v2 dst_sel:DWORD dst_unused:UNUSED_PAD src0_sel:WORD_1 src1_sel:DWORD
	v_and_or_b32 v16, 0xffff0000, v0, v16
	v_or_b32_sdwa v12, v1, v12 dst_sel:DWORD dst_unused:UNUSED_PAD src0_sel:BYTE_0 src1_sel:DWORD
	v_or_b32_e32 v24, v19, v24
	v_max_u16 v15, v21, v17
	v_or_b32_sdwa v23, v17, v23 dst_sel:WORD_1 dst_unused:UNUSED_PAD src0_sel:DWORD src1_sel:DWORD
	v_cndmask_b32_e32 v0, v0, v16, vcc_lo
	v_cndmask_b32_e32 v8, v13, v8, vcc_lo
	v_and_b32_e32 v16, 0xffff, v24
	v_lshlrev_b16 v14, 8, v15
	v_or_b32_sdwa v12, v12, v23 dst_sel:DWORD dst_unused:UNUSED_PAD src0_sel:WORD_0 src1_sel:DWORD
	v_and_or_b32 v18, 0xffff, v0, v20
	v_cmp_lt_u16_e32 vcc_lo, v19, v22
	v_or_b32_sdwa v14, v11, v14 dst_sel:WORD_1 dst_unused:UNUSED_PAD src0_sel:DWORD src1_sel:DWORD
	v_cndmask_b32_e64 v1, v1, v12, s8
	v_cmp_lt_u16_e64 s8, v10, v9
	v_min_u16 v12, v10, v9
	v_and_or_b32 v16, 0xffff0000, v1, v16
	v_cndmask_b32_e64 v0, v0, v18, s8
	v_lshlrev_b16 v18, 8, v12
	v_cmp_lt_u16_e64 s8, v12, v8
	v_cndmask_b32_e32 v1, v1, v16, vcc_lo
	v_and_b32_sdwa v13, v0, v2 dst_sel:DWORD dst_unused:UNUSED_PAD src0_sel:WORD_1 src1_sel:DWORD
	v_or_b32_sdwa v16, v0, v18 dst_sel:DWORD dst_unused:UNUSED_PAD src0_sel:BYTE_0 src1_sel:DWORD
	v_cmp_gt_u16_e32 vcc_lo, v17, v11
	v_and_or_b32 v14, 0xffff, v1, v14
	v_or_b32_sdwa v13, v8, v13 dst_sel:WORD_1 dst_unused:UNUSED_PAD src0_sel:DWORD src1_sel:DWORD
	v_max_u16 v8, v10, v9
	v_cndmask_b32_e32 v1, v1, v14, vcc_lo
	v_or_b32_sdwa v13, v16, v13 dst_sel:DWORD dst_unused:UNUSED_PAD src0_sel:WORD_0 src1_sel:DWORD
	v_min_u16 v14, v19, v22
	v_and_b32_e32 v9, 0xffffff00, v1
	v_cndmask_b32_e64 v0, v0, v13, s8
	v_lshlrev_b16 v10, 8, v14
	v_cmp_lt_u16_e64 s8, v14, v8
	v_or_b32_e32 v9, v8, v9
	v_and_b32_sdwa v3, v0, v3 dst_sel:DWORD dst_unused:UNUSED_PAD src0_sel:WORD_1 src1_sel:DWORD
	v_cndmask_b32_e32 v8, v15, v11, vcc_lo
	v_and_b32_e32 v9, 0xffff, v9
	v_or_b32_sdwa v10, v3, v10 dst_sel:WORD_1 dst_unused:UNUSED_PAD src0_sel:DWORD src1_sel:DWORD
	v_max_u16 v3, v19, v22
	v_and_or_b32 v9, 0xffff0000, v1, v9
	v_and_or_b32 v10, 0xffff, v0, v10
	v_cndmask_b32_e64 v1, v1, v9, s8
	v_cndmask_b32_e64 v0, v0, v10, s8
	s_mov_b32 s8, exec_lo
	v_cmpx_lt_u16_e64 v8, v3
; %bb.20:
	v_and_b32_sdwa v2, v1, v2 dst_sel:DWORD dst_unused:UNUSED_PAD src0_sel:WORD_1 src1_sel:DWORD
	v_lshlrev_b16 v8, 8, v8
	v_or_b32_sdwa v2, v3, v2 dst_sel:WORD_1 dst_unused:UNUSED_PAD src0_sel:BYTE_0 src1_sel:DWORD
	v_or_b32_sdwa v1, v1, v8 dst_sel:DWORD dst_unused:UNUSED_PAD src0_sel:BYTE_0 src1_sel:DWORD
	v_or_b32_sdwa v1, v1, v2 dst_sel:DWORD dst_unused:UNUSED_PAD src0_sel:WORD_0 src1_sel:DWORD
; %bb.21:
	s_or_b32 exec_lo, exec_lo, s8
.LBB130_22:
	s_or_b32 exec_lo, exec_lo, s10
	v_and_b32_e32 v2, 0xf0, v5
	v_and_b32_e32 v10, 8, v5
	v_mad_u32_u24 v13, 0x101, v7, v5
	s_mov_b32 s9, 0
	s_mov_b32 s8, exec_lo
	v_min_i32_e32 v9, v6, v2
	v_min_i32_e32 v10, v6, v10
	; wave barrier
	ds_write_b64 v13, v[0:1]
	v_add_nc_u32_e32 v2, 8, v9
	; wave barrier
	v_min_i32_e32 v3, v6, v2
	v_add_nc_u32_e32 v2, 8, v3
	v_sub_nc_u32_e32 v12, v3, v9
	v_min_i32_e32 v8, v6, v2
	v_min_i32_e32 v12, v10, v12
	v_sub_nc_u32_e32 v2, v8, v3
	v_sub_nc_u32_e32 v11, v10, v2
	v_cmp_ge_i32_e32 vcc_lo, v10, v2
	v_mul_u32_u24_e32 v2, 0x101, v7
	v_cndmask_b32_e32 v11, 0, v11, vcc_lo
	v_cmpx_lt_i32_e64 v11, v12
	s_cbranch_execz .LBB130_26
; %bb.23:
	v_add_nc_u32_e32 v0, v2, v9
	v_add3_u32 v1, v2, v3, v10
	.p2align	6
.LBB130_24:                             ; =>This Inner Loop Header: Depth=1
	v_sub_nc_u32_e32 v7, v12, v11
	v_lshrrev_b32_e32 v7, 1, v7
	v_add_nc_u32_e32 v7, v7, v11
	v_add_nc_u32_e32 v13, v0, v7
	v_xad_u32 v14, v7, -1, v1
	v_add_nc_u32_e32 v15, 1, v7
	ds_read_u8 v13, v13
	ds_read_u8 v14, v14
	s_waitcnt lgkmcnt(0)
	v_cmp_lt_u16_e32 vcc_lo, v14, v13
	v_cndmask_b32_e32 v12, v12, v7, vcc_lo
	v_cndmask_b32_e32 v11, v15, v11, vcc_lo
	v_cmp_ge_i32_e32 vcc_lo, v11, v12
	s_or_b32 s9, vcc_lo, s9
	s_andn2_b32 exec_lo, exec_lo, s9
	s_cbranch_execnz .LBB130_24
; %bb.25:
	s_or_b32 exec_lo, exec_lo, s9
.LBB130_26:
	s_or_b32 exec_lo, exec_lo, s8
	v_add_nc_u32_e32 v0, v3, v10
	v_add_nc_u32_e32 v10, v11, v9
                                        ; implicit-def: $vgpr7
	v_sub_nc_u32_e32 v11, v0, v11
	v_add_nc_u32_e32 v9, v2, v10
	v_cmp_le_i32_e32 vcc_lo, v3, v10
	v_add_nc_u32_e32 v12, v2, v11
	v_cmp_gt_i32_e64 s8, v8, v11
	ds_read_u8 v0, v9
	ds_read_u8 v1, v12
	s_waitcnt lgkmcnt(0)
	v_cmp_lt_u16_sdwa s9, v1, v0 src0_sel:BYTE_0 src1_sel:BYTE_0
	s_or_b32 s9, vcc_lo, s9
	s_and_b32 s8, s8, s9
	s_xor_b32 s9, s8, -1
	s_and_saveexec_b32 s10, s9
	s_xor_b32 s9, exec_lo, s10
; %bb.27:
	ds_read_u8 v7, v9 offset:1
                                        ; implicit-def: $vgpr12
; %bb.28:
	s_or_saveexec_b32 s9, s9
	v_mov_b32_e32 v9, v1
	s_xor_b32 exec_lo, exec_lo, s9
	s_cbranch_execz .LBB130_30
; %bb.29:
	ds_read_u8 v9, v12 offset:1
	s_waitcnt lgkmcnt(1)
	v_mov_b32_e32 v7, v0
.LBB130_30:
	s_or_b32 exec_lo, exec_lo, s9
	v_add_nc_u32_e32 v12, 1, v10
	v_add_nc_u32_e32 v14, 1, v11
	s_waitcnt lgkmcnt(0)
	v_cmp_lt_u16_sdwa s10, v9, v7 src0_sel:BYTE_0 src1_sel:BYTE_0
	v_cndmask_b32_e64 v13, v12, v10, s8
	v_cndmask_b32_e64 v12, v11, v14, s8
                                        ; implicit-def: $vgpr10
	v_cmp_ge_i32_e32 vcc_lo, v13, v3
	v_cmp_lt_i32_e64 s9, v12, v8
	s_or_b32 s10, vcc_lo, s10
	s_and_b32 s9, s9, s10
	s_xor_b32 s10, s9, -1
	s_and_saveexec_b32 s11, s10
	s_xor_b32 s10, exec_lo, s11
; %bb.31:
	v_add_nc_u32_e32 v10, v2, v13
	ds_read_u8 v10, v10 offset:1
; %bb.32:
	s_or_saveexec_b32 s10, s10
	v_mov_b32_e32 v11, v9
	s_xor_b32 exec_lo, exec_lo, s10
	s_cbranch_execz .LBB130_34
; %bb.33:
	s_waitcnt lgkmcnt(0)
	v_add_nc_u32_e32 v10, v2, v12
	ds_read_u8 v11, v10 offset:1
	v_mov_b32_e32 v10, v7
.LBB130_34:
	s_or_b32 exec_lo, exec_lo, s10
	v_add_nc_u32_e32 v14, 1, v13
	v_add_nc_u32_e32 v16, 1, v12
	s_waitcnt lgkmcnt(0)
	v_cmp_lt_u16_sdwa s11, v11, v10 src0_sel:BYTE_0 src1_sel:BYTE_0
	v_cndmask_b32_e64 v15, v14, v13, s9
	v_cndmask_b32_e64 v14, v12, v16, s9
                                        ; implicit-def: $vgpr12
	v_cmp_ge_i32_e32 vcc_lo, v15, v3
	v_cmp_lt_i32_e64 s10, v14, v8
	s_or_b32 s11, vcc_lo, s11
	s_and_b32 s10, s10, s11
	s_xor_b32 s11, s10, -1
	s_and_saveexec_b32 s12, s11
	s_xor_b32 s11, exec_lo, s12
; %bb.35:
	v_add_nc_u32_e32 v12, v2, v15
	ds_read_u8 v12, v12 offset:1
; %bb.36:
	s_or_saveexec_b32 s11, s11
	v_mov_b32_e32 v13, v11
	s_xor_b32 exec_lo, exec_lo, s11
	s_cbranch_execz .LBB130_38
; %bb.37:
	s_waitcnt lgkmcnt(0)
	v_add_nc_u32_e32 v12, v2, v14
	ds_read_u8 v13, v12 offset:1
	v_mov_b32_e32 v12, v10
.LBB130_38:
	s_or_b32 exec_lo, exec_lo, s11
	v_add_nc_u32_e32 v16, 1, v15
	v_add_nc_u32_e32 v18, 1, v14
	s_waitcnt lgkmcnt(0)
	v_cmp_lt_u16_sdwa s12, v13, v12 src0_sel:BYTE_0 src1_sel:BYTE_0
	v_cndmask_b32_e64 v17, v16, v15, s10
	v_cndmask_b32_e64 v16, v14, v18, s10
                                        ; implicit-def: $vgpr14
	v_cmp_ge_i32_e32 vcc_lo, v17, v3
	v_cmp_lt_i32_e64 s11, v16, v8
	s_or_b32 s12, vcc_lo, s12
	s_and_b32 s11, s11, s12
	s_xor_b32 s12, s11, -1
	s_and_saveexec_b32 s13, s12
	s_xor_b32 s12, exec_lo, s13
; %bb.39:
	v_add_nc_u32_e32 v14, v2, v17
	ds_read_u8 v14, v14 offset:1
; %bb.40:
	s_or_saveexec_b32 s12, s12
	v_mov_b32_e32 v15, v13
	s_xor_b32 exec_lo, exec_lo, s12
	s_cbranch_execz .LBB130_42
; %bb.41:
	s_waitcnt lgkmcnt(0)
	v_add_nc_u32_e32 v14, v2, v16
	ds_read_u8 v15, v14 offset:1
	v_mov_b32_e32 v14, v12
.LBB130_42:
	s_or_b32 exec_lo, exec_lo, s12
	v_add_nc_u32_e32 v18, 1, v17
	v_add_nc_u32_e32 v20, 1, v16
	s_waitcnt lgkmcnt(0)
	v_cmp_lt_u16_sdwa s13, v15, v14 src0_sel:BYTE_0 src1_sel:BYTE_0
	v_cndmask_b32_e64 v19, v18, v17, s11
	v_cndmask_b32_e64 v18, v16, v20, s11
                                        ; implicit-def: $vgpr16
	v_cmp_ge_i32_e32 vcc_lo, v19, v3
	v_cmp_lt_i32_e64 s12, v18, v8
	s_or_b32 s13, vcc_lo, s13
	s_and_b32 s12, s12, s13
	s_xor_b32 s13, s12, -1
	s_and_saveexec_b32 s14, s13
	s_xor_b32 s13, exec_lo, s14
; %bb.43:
	v_add_nc_u32_e32 v16, v2, v19
	ds_read_u8 v16, v16 offset:1
; %bb.44:
	s_or_saveexec_b32 s13, s13
	v_mov_b32_e32 v17, v15
	s_xor_b32 exec_lo, exec_lo, s13
	s_cbranch_execz .LBB130_46
; %bb.45:
	s_waitcnt lgkmcnt(0)
	v_add_nc_u32_e32 v16, v2, v18
	ds_read_u8 v17, v16 offset:1
	v_mov_b32_e32 v16, v14
.LBB130_46:
	s_or_b32 exec_lo, exec_lo, s13
	v_add_nc_u32_e32 v20, 1, v19
	v_add_nc_u32_e32 v21, 1, v18
	s_waitcnt lgkmcnt(0)
	v_cmp_lt_u16_sdwa s14, v17, v16 src0_sel:BYTE_0 src1_sel:BYTE_0
	v_cndmask_b32_e64 v20, v20, v19, s12
	v_cndmask_b32_e64 v21, v18, v21, s12
                                        ; implicit-def: $vgpr18
	v_cmp_ge_i32_e32 vcc_lo, v20, v3
	v_cmp_lt_i32_e64 s13, v21, v8
	s_or_b32 s14, vcc_lo, s14
	s_and_b32 vcc_lo, s13, s14
	s_xor_b32 s13, vcc_lo, -1
	s_and_saveexec_b32 s14, s13
	s_xor_b32 s13, exec_lo, s14
; %bb.47:
	v_add_nc_u32_e32 v18, v2, v20
	ds_read_u8 v18, v18 offset:1
; %bb.48:
	s_or_saveexec_b32 s13, s13
	v_mov_b32_e32 v19, v17
	s_xor_b32 exec_lo, exec_lo, s13
	s_cbranch_execz .LBB130_50
; %bb.49:
	s_waitcnt lgkmcnt(0)
	v_add_nc_u32_e32 v18, v2, v21
	ds_read_u8 v19, v18 offset:1
	v_mov_b32_e32 v18, v16
.LBB130_50:
	s_or_b32 exec_lo, exec_lo, s13
	v_add_nc_u32_e32 v22, 1, v20
	v_add_nc_u32_e32 v23, 1, v21
	s_waitcnt lgkmcnt(0)
	v_cmp_lt_u16_sdwa s15, v19, v18 src0_sel:BYTE_0 src1_sel:BYTE_0
	v_cndmask_b32_e32 v20, v22, v20, vcc_lo
	v_cndmask_b32_e32 v21, v21, v23, vcc_lo
                                        ; implicit-def: $vgpr22
	v_cmp_ge_i32_e64 s13, v20, v3
	v_cmp_lt_i32_e64 s14, v21, v8
	s_or_b32 s13, s13, s15
	s_and_b32 s13, s14, s13
	s_xor_b32 s14, s13, -1
	s_and_saveexec_b32 s15, s14
	s_xor_b32 s14, exec_lo, s15
; %bb.51:
	v_add_nc_u32_e32 v22, v2, v20
	ds_read_u8 v22, v22 offset:1
; %bb.52:
	s_or_saveexec_b32 s14, s14
	v_mov_b32_e32 v23, v19
	s_xor_b32 exec_lo, exec_lo, s14
	s_cbranch_execz .LBB130_54
; %bb.53:
	s_waitcnt lgkmcnt(0)
	v_add_nc_u32_e32 v22, v2, v21
	ds_read_u8 v23, v22 offset:1
	v_mov_b32_e32 v22, v18
.LBB130_54:
	s_or_b32 exec_lo, exec_lo, s14
	v_and_b32_e32 v24, 0xe0, v5
	v_cndmask_b32_e64 v19, v18, v19, s13
	v_add_nc_u32_e32 v26, 1, v20
	v_add_nc_u32_e32 v25, 1, v21
	v_cndmask_b32_e64 v10, v10, v11, s10
	v_min_i32_e32 v18, v6, v24
	v_cndmask_b32_e64 v11, v0, v1, s8
	v_cndmask_b32_e64 v14, v14, v15, s12
	;; [unrolled: 1-line block ×4, first 2 shown]
	v_add_nc_u32_e32 v1, 16, v18
	v_cndmask_b32_e64 v7, v21, v25, s13
	s_waitcnt lgkmcnt(0)
	v_cmp_lt_u16_sdwa s10, v23, v22 src0_sel:BYTE_0 src1_sel:BYTE_0
	v_cmp_ge_i32_e64 s9, v15, v3
	v_cndmask_b32_sdwa v16, v16, v17, vcc_lo dst_sel:BYTE_1 dst_unused:UNUSED_PAD src0_sel:DWORD src1_sel:DWORD
	v_min_i32_e32 v1, v6, v1
	v_cmp_lt_i32_e64 s8, v7, v8
	s_mov_b32 vcc_lo, s11
	s_or_b32 s9, s9, s10
	v_cndmask_b32_sdwa v8, v12, v13, vcc_lo dst_sel:BYTE_1 dst_unused:UNUSED_PAD src0_sel:DWORD src1_sel:DWORD
	v_add_nc_u32_e32 v3, 16, v1
	s_and_b32 vcc_lo, s8, s9
	v_and_b32_e32 v20, 24, v5
	v_cndmask_b32_e32 v12, v22, v23, vcc_lo
	v_lshlrev_b16 v9, 8, v9
	v_min_i32_e32 v7, v6, v3
	v_or_b32_sdwa v8, v10, v8 dst_sel:WORD_1 dst_unused:UNUSED_PAD src0_sel:BYTE_0 src1_sel:DWORD
	v_min_i32_e32 v3, v6, v20
	v_lshlrev_b16 v10, 8, v12
	v_or_b32_sdwa v9, v11, v9 dst_sel:DWORD dst_unused:UNUSED_PAD src0_sel:BYTE_0 src1_sel:DWORD
	v_sub_nc_u32_e32 v13, v7, v1
	v_or_b32_sdwa v11, v14, v16 dst_sel:DWORD dst_unused:UNUSED_PAD src0_sel:BYTE_0 src1_sel:DWORD
	v_sub_nc_u32_e32 v14, v1, v18
	v_or_b32_sdwa v15, v19, v10 dst_sel:WORD_1 dst_unused:UNUSED_PAD src0_sel:BYTE_0 src1_sel:DWORD
	v_add_nc_u32_e32 v0, v2, v5
	v_sub_nc_u32_e32 v12, v3, v13
	v_cmp_ge_i32_e32 vcc_lo, v3, v13
	v_or_b32_sdwa v10, v9, v8 dst_sel:DWORD dst_unused:UNUSED_PAD src0_sel:WORD_0 src1_sel:DWORD
	v_min_i32_e32 v9, v3, v14
	v_or_b32_sdwa v11, v11, v15 dst_sel:DWORD dst_unused:UNUSED_PAD src0_sel:WORD_0 src1_sel:DWORD
	s_mov_b32 s9, 0
	v_cndmask_b32_e32 v8, 0, v12, vcc_lo
	s_mov_b32 s8, exec_lo
	; wave barrier
	ds_write_b64 v0, v[10:11]
	; wave barrier
	v_cmpx_lt_i32_e64 v8, v9
	s_cbranch_execz .LBB130_58
; %bb.55:
	v_add_nc_u32_e32 v10, v2, v18
	v_add3_u32 v11, v2, v1, v3
	.p2align	6
.LBB130_56:                             ; =>This Inner Loop Header: Depth=1
	v_sub_nc_u32_e32 v12, v9, v8
	v_lshrrev_b32_e32 v12, 1, v12
	v_add_nc_u32_e32 v12, v12, v8
	v_add_nc_u32_e32 v13, v10, v12
	v_xad_u32 v14, v12, -1, v11
	v_add_nc_u32_e32 v15, 1, v12
	ds_read_u8 v13, v13
	ds_read_u8 v14, v14
	s_waitcnt lgkmcnt(0)
	v_cmp_lt_u16_e32 vcc_lo, v14, v13
	v_cndmask_b32_e32 v9, v9, v12, vcc_lo
	v_cndmask_b32_e32 v8, v15, v8, vcc_lo
	v_cmp_ge_i32_e32 vcc_lo, v8, v9
	s_or_b32 s9, vcc_lo, s9
	s_andn2_b32 exec_lo, exec_lo, s9
	s_cbranch_execnz .LBB130_56
; %bb.57:
	s_or_b32 exec_lo, exec_lo, s9
.LBB130_58:
	s_or_b32 exec_lo, exec_lo, s8
	v_add_nc_u32_e32 v3, v1, v3
	v_add_nc_u32_e32 v11, v8, v18
                                        ; implicit-def: $vgpr9
	v_sub_nc_u32_e32 v12, v3, v8
	v_add_nc_u32_e32 v10, v2, v11
	v_cmp_le_i32_e32 vcc_lo, v1, v11
	v_add_nc_u32_e32 v13, v2, v12
	v_cmp_gt_i32_e64 s8, v7, v12
	ds_read_u8 v3, v10
	ds_read_u8 v8, v13
	s_waitcnt lgkmcnt(0)
	v_cmp_lt_u16_sdwa s9, v8, v3 src0_sel:BYTE_0 src1_sel:BYTE_0
	s_or_b32 s9, vcc_lo, s9
	s_and_b32 s8, s8, s9
	s_xor_b32 s9, s8, -1
	s_and_saveexec_b32 s10, s9
	s_xor_b32 s9, exec_lo, s10
; %bb.59:
	ds_read_u8 v9, v10 offset:1
                                        ; implicit-def: $vgpr13
; %bb.60:
	s_or_saveexec_b32 s9, s9
	v_mov_b32_e32 v10, v8
	s_xor_b32 exec_lo, exec_lo, s9
	s_cbranch_execz .LBB130_62
; %bb.61:
	ds_read_u8 v10, v13 offset:1
	s_waitcnt lgkmcnt(1)
	v_mov_b32_e32 v9, v3
.LBB130_62:
	s_or_b32 exec_lo, exec_lo, s9
	v_add_nc_u32_e32 v13, 1, v11
	v_add_nc_u32_e32 v15, 1, v12
	s_waitcnt lgkmcnt(0)
	v_cmp_lt_u16_sdwa s10, v10, v9 src0_sel:BYTE_0 src1_sel:BYTE_0
	v_cndmask_b32_e64 v14, v13, v11, s8
	v_cndmask_b32_e64 v13, v12, v15, s8
                                        ; implicit-def: $vgpr11
	v_cmp_ge_i32_e32 vcc_lo, v14, v1
	v_cmp_lt_i32_e64 s9, v13, v7
	s_or_b32 s10, vcc_lo, s10
	s_and_b32 s9, s9, s10
	s_xor_b32 s10, s9, -1
	s_and_saveexec_b32 s11, s10
	s_xor_b32 s10, exec_lo, s11
; %bb.63:
	v_add_nc_u32_e32 v11, v2, v14
	ds_read_u8 v11, v11 offset:1
; %bb.64:
	s_or_saveexec_b32 s10, s10
	v_mov_b32_e32 v12, v10
	s_xor_b32 exec_lo, exec_lo, s10
	s_cbranch_execz .LBB130_66
; %bb.65:
	s_waitcnt lgkmcnt(0)
	v_add_nc_u32_e32 v11, v2, v13
	ds_read_u8 v12, v11 offset:1
	v_mov_b32_e32 v11, v9
.LBB130_66:
	s_or_b32 exec_lo, exec_lo, s10
	v_add_nc_u32_e32 v15, 1, v14
	v_add_nc_u32_e32 v17, 1, v13
	s_waitcnt lgkmcnt(0)
	v_cmp_lt_u16_sdwa s11, v12, v11 src0_sel:BYTE_0 src1_sel:BYTE_0
	v_cndmask_b32_e64 v16, v15, v14, s9
	v_cndmask_b32_e64 v15, v13, v17, s9
                                        ; implicit-def: $vgpr13
	v_cmp_ge_i32_e32 vcc_lo, v16, v1
	v_cmp_lt_i32_e64 s10, v15, v7
	s_or_b32 s11, vcc_lo, s11
	s_and_b32 s10, s10, s11
	s_xor_b32 s11, s10, -1
	s_and_saveexec_b32 s12, s11
	s_xor_b32 s11, exec_lo, s12
; %bb.67:
	v_add_nc_u32_e32 v13, v2, v16
	ds_read_u8 v13, v13 offset:1
; %bb.68:
	s_or_saveexec_b32 s11, s11
	v_mov_b32_e32 v14, v12
	s_xor_b32 exec_lo, exec_lo, s11
	s_cbranch_execz .LBB130_70
; %bb.69:
	s_waitcnt lgkmcnt(0)
	v_add_nc_u32_e32 v13, v2, v15
	ds_read_u8 v14, v13 offset:1
	v_mov_b32_e32 v13, v11
.LBB130_70:
	s_or_b32 exec_lo, exec_lo, s11
	v_add_nc_u32_e32 v17, 1, v16
	v_add_nc_u32_e32 v19, 1, v15
	s_waitcnt lgkmcnt(0)
	v_cmp_lt_u16_sdwa s12, v14, v13 src0_sel:BYTE_0 src1_sel:BYTE_0
	v_cndmask_b32_e64 v18, v17, v16, s10
	v_cndmask_b32_e64 v17, v15, v19, s10
                                        ; implicit-def: $vgpr15
	v_cmp_ge_i32_e32 vcc_lo, v18, v1
	v_cmp_lt_i32_e64 s11, v17, v7
	s_or_b32 s12, vcc_lo, s12
	s_and_b32 s11, s11, s12
	s_xor_b32 s12, s11, -1
	s_and_saveexec_b32 s13, s12
	s_xor_b32 s12, exec_lo, s13
; %bb.71:
	v_add_nc_u32_e32 v15, v2, v18
	ds_read_u8 v15, v15 offset:1
; %bb.72:
	s_or_saveexec_b32 s12, s12
	v_mov_b32_e32 v16, v14
	s_xor_b32 exec_lo, exec_lo, s12
	s_cbranch_execz .LBB130_74
; %bb.73:
	s_waitcnt lgkmcnt(0)
	v_add_nc_u32_e32 v15, v2, v17
	ds_read_u8 v16, v15 offset:1
	v_mov_b32_e32 v15, v13
.LBB130_74:
	s_or_b32 exec_lo, exec_lo, s12
	v_add_nc_u32_e32 v19, 1, v18
	v_add_nc_u32_e32 v21, 1, v17
	s_waitcnt lgkmcnt(0)
	v_cmp_lt_u16_sdwa s13, v16, v15 src0_sel:BYTE_0 src1_sel:BYTE_0
	v_cndmask_b32_e64 v20, v19, v18, s11
	v_cndmask_b32_e64 v19, v17, v21, s11
                                        ; implicit-def: $vgpr17
	v_cmp_ge_i32_e32 vcc_lo, v20, v1
	v_cmp_lt_i32_e64 s12, v19, v7
	s_or_b32 s13, vcc_lo, s13
	s_and_b32 s12, s12, s13
	s_xor_b32 s13, s12, -1
	s_and_saveexec_b32 s14, s13
	s_xor_b32 s13, exec_lo, s14
; %bb.75:
	v_add_nc_u32_e32 v17, v2, v20
	ds_read_u8 v17, v17 offset:1
; %bb.76:
	s_or_saveexec_b32 s13, s13
	v_mov_b32_e32 v18, v16
	s_xor_b32 exec_lo, exec_lo, s13
	s_cbranch_execz .LBB130_78
; %bb.77:
	s_waitcnt lgkmcnt(0)
	v_add_nc_u32_e32 v17, v2, v19
	ds_read_u8 v18, v17 offset:1
	v_mov_b32_e32 v17, v15
.LBB130_78:
	s_or_b32 exec_lo, exec_lo, s13
	v_add_nc_u32_e32 v21, 1, v20
	v_add_nc_u32_e32 v22, 1, v19
	s_waitcnt lgkmcnt(0)
	v_cmp_lt_u16_sdwa s14, v18, v17 src0_sel:BYTE_0 src1_sel:BYTE_0
	v_cndmask_b32_e64 v21, v21, v20, s12
	v_cndmask_b32_e64 v22, v19, v22, s12
                                        ; implicit-def: $vgpr19
	v_cmp_ge_i32_e32 vcc_lo, v21, v1
	v_cmp_lt_i32_e64 s13, v22, v7
	s_or_b32 s14, vcc_lo, s14
	s_and_b32 vcc_lo, s13, s14
	s_xor_b32 s13, vcc_lo, -1
	s_and_saveexec_b32 s14, s13
	s_xor_b32 s13, exec_lo, s14
; %bb.79:
	v_add_nc_u32_e32 v19, v2, v21
	ds_read_u8 v19, v19 offset:1
; %bb.80:
	s_or_saveexec_b32 s13, s13
	v_mov_b32_e32 v20, v18
	s_xor_b32 exec_lo, exec_lo, s13
	s_cbranch_execz .LBB130_82
; %bb.81:
	s_waitcnt lgkmcnt(0)
	v_add_nc_u32_e32 v19, v2, v22
	ds_read_u8 v20, v19 offset:1
	v_mov_b32_e32 v19, v17
.LBB130_82:
	s_or_b32 exec_lo, exec_lo, s13
	v_add_nc_u32_e32 v23, 1, v21
	v_add_nc_u32_e32 v24, 1, v22
	s_waitcnt lgkmcnt(0)
	v_cmp_lt_u16_sdwa s15, v20, v19 src0_sel:BYTE_0 src1_sel:BYTE_0
	v_cndmask_b32_e32 v21, v23, v21, vcc_lo
	v_cndmask_b32_e32 v22, v22, v24, vcc_lo
                                        ; implicit-def: $vgpr23
	v_cmp_ge_i32_e64 s13, v21, v1
	v_cmp_lt_i32_e64 s14, v22, v7
	s_or_b32 s13, s13, s15
	s_and_b32 s13, s14, s13
	s_xor_b32 s14, s13, -1
	s_and_saveexec_b32 s15, s14
	s_xor_b32 s14, exec_lo, s15
; %bb.83:
	v_add_nc_u32_e32 v23, v2, v21
	ds_read_u8 v23, v23 offset:1
; %bb.84:
	s_or_saveexec_b32 s14, s14
	v_mov_b32_e32 v24, v20
	s_xor_b32 exec_lo, exec_lo, s14
	s_cbranch_execz .LBB130_86
; %bb.85:
	s_waitcnt lgkmcnt(0)
	v_add_nc_u32_e32 v23, v2, v22
	ds_read_u8 v24, v23 offset:1
	v_mov_b32_e32 v23, v19
.LBB130_86:
	s_or_b32 exec_lo, exec_lo, s14
	v_and_b32_e32 v25, 0xc0, v5
	v_cndmask_b32_e64 v20, v19, v20, s13
	v_add_nc_u32_e32 v26, 1, v22
	v_cndmask_b32_e64 v9, v9, v10, s9
	v_cndmask_b32_e64 v15, v15, v16, s12
	v_min_i32_e32 v19, v6, v25
	v_add_nc_u32_e32 v25, 1, v21
	v_cndmask_b32_e64 v11, v11, v12, s10
	v_cndmask_b32_e64 v12, v22, v26, s13
	;; [unrolled: 1-line block ×3, first 2 shown]
	v_add_nc_u32_e32 v10, 32, v19
	v_cndmask_b32_e64 v16, v25, v21, s13
	s_waitcnt lgkmcnt(0)
	v_cmp_lt_u16_sdwa s10, v24, v23 src0_sel:BYTE_0 src1_sel:BYTE_0
	v_cmp_lt_i32_e64 s8, v12, v7
	v_cndmask_b32_sdwa v17, v17, v18, vcc_lo dst_sel:BYTE_1 dst_unused:UNUSED_PAD src0_sel:DWORD src1_sel:DWORD
	v_min_i32_e32 v3, v6, v10
	v_cmp_ge_i32_e64 s9, v16, v1
	s_mov_b32 vcc_lo, s11
	v_and_b32_e32 v10, 56, v5
	v_cndmask_b32_sdwa v12, v13, v14, vcc_lo dst_sel:BYTE_1 dst_unused:UNUSED_PAD src0_sel:DWORD src1_sel:DWORD
	v_add_nc_u32_e32 v1, 32, v3
	s_or_b32 s9, s9, s10
	v_lshlrev_b16 v9, 8, v9
	s_and_b32 vcc_lo, s8, s9
	s_mov_b32 s9, 0
	v_min_i32_e32 v7, v6, v1
	v_cndmask_b32_e32 v13, v23, v24, vcc_lo
	v_min_i32_e32 v1, v6, v10
	v_or_b32_sdwa v10, v11, v12 dst_sel:WORD_1 dst_unused:UNUSED_PAD src0_sel:BYTE_0 src1_sel:DWORD
	v_or_b32_sdwa v8, v8, v9 dst_sel:DWORD dst_unused:UNUSED_PAD src0_sel:BYTE_0 src1_sel:DWORD
	v_sub_nc_u32_e32 v14, v7, v3
	v_lshlrev_b16 v11, 8, v13
	v_or_b32_sdwa v12, v15, v17 dst_sel:DWORD dst_unused:UNUSED_PAD src0_sel:BYTE_0 src1_sel:DWORD
	v_sub_nc_u32_e32 v13, v3, v19
	v_or_b32_sdwa v10, v8, v10 dst_sel:DWORD dst_unused:UNUSED_PAD src0_sel:WORD_0 src1_sel:DWORD
	v_sub_nc_u32_e32 v9, v1, v14
	v_or_b32_sdwa v11, v20, v11 dst_sel:WORD_1 dst_unused:UNUSED_PAD src0_sel:BYTE_0 src1_sel:DWORD
	v_cmp_ge_i32_e32 vcc_lo, v1, v14
	s_mov_b32 s8, exec_lo
	; wave barrier
	v_or_b32_sdwa v11, v12, v11 dst_sel:DWORD dst_unused:UNUSED_PAD src0_sel:WORD_0 src1_sel:DWORD
	v_cndmask_b32_e32 v8, 0, v9, vcc_lo
	v_min_i32_e32 v9, v1, v13
	ds_write_b64 v0, v[10:11]
	; wave barrier
	v_cmpx_lt_i32_e64 v8, v9
	s_cbranch_execz .LBB130_90
; %bb.87:
	v_add_nc_u32_e32 v10, v2, v19
	v_add3_u32 v11, v2, v3, v1
	.p2align	6
.LBB130_88:                             ; =>This Inner Loop Header: Depth=1
	v_sub_nc_u32_e32 v12, v9, v8
	v_lshrrev_b32_e32 v12, 1, v12
	v_add_nc_u32_e32 v12, v12, v8
	v_add_nc_u32_e32 v13, v10, v12
	v_xad_u32 v14, v12, -1, v11
	v_add_nc_u32_e32 v15, 1, v12
	ds_read_u8 v13, v13
	ds_read_u8 v14, v14
	s_waitcnt lgkmcnt(0)
	v_cmp_lt_u16_e32 vcc_lo, v14, v13
	v_cndmask_b32_e32 v9, v9, v12, vcc_lo
	v_cndmask_b32_e32 v8, v15, v8, vcc_lo
	v_cmp_ge_i32_e32 vcc_lo, v8, v9
	s_or_b32 s9, vcc_lo, s9
	s_andn2_b32 exec_lo, exec_lo, s9
	s_cbranch_execnz .LBB130_88
; %bb.89:
	s_or_b32 exec_lo, exec_lo, s9
.LBB130_90:
	s_or_b32 exec_lo, exec_lo, s8
	v_add_nc_u32_e32 v1, v3, v1
	v_add_nc_u32_e32 v11, v8, v19
                                        ; implicit-def: $vgpr9
	v_sub_nc_u32_e32 v12, v1, v8
	v_add_nc_u32_e32 v10, v2, v11
	v_cmp_le_i32_e32 vcc_lo, v3, v11
	v_add_nc_u32_e32 v13, v2, v12
	v_cmp_gt_i32_e64 s8, v7, v12
	ds_read_u8 v1, v10
	ds_read_u8 v8, v13
	s_waitcnt lgkmcnt(0)
	v_cmp_lt_u16_sdwa s9, v8, v1 src0_sel:BYTE_0 src1_sel:BYTE_0
	s_or_b32 s9, vcc_lo, s9
	s_and_b32 s8, s8, s9
	s_xor_b32 s9, s8, -1
	s_and_saveexec_b32 s10, s9
	s_xor_b32 s9, exec_lo, s10
; %bb.91:
	ds_read_u8 v9, v10 offset:1
                                        ; implicit-def: $vgpr13
; %bb.92:
	s_or_saveexec_b32 s9, s9
	v_mov_b32_e32 v10, v8
	s_xor_b32 exec_lo, exec_lo, s9
	s_cbranch_execz .LBB130_94
; %bb.93:
	ds_read_u8 v10, v13 offset:1
	s_waitcnt lgkmcnt(1)
	v_mov_b32_e32 v9, v1
.LBB130_94:
	s_or_b32 exec_lo, exec_lo, s9
	v_add_nc_u32_e32 v13, 1, v11
	v_add_nc_u32_e32 v15, 1, v12
	s_waitcnt lgkmcnt(0)
	v_cmp_lt_u16_sdwa s10, v10, v9 src0_sel:BYTE_0 src1_sel:BYTE_0
	v_cndmask_b32_e64 v14, v13, v11, s8
	v_cndmask_b32_e64 v13, v12, v15, s8
                                        ; implicit-def: $vgpr11
	v_cmp_ge_i32_e32 vcc_lo, v14, v3
	v_cmp_lt_i32_e64 s9, v13, v7
	s_or_b32 s10, vcc_lo, s10
	s_and_b32 s9, s9, s10
	s_xor_b32 s10, s9, -1
	s_and_saveexec_b32 s11, s10
	s_xor_b32 s10, exec_lo, s11
; %bb.95:
	v_add_nc_u32_e32 v11, v2, v14
	ds_read_u8 v11, v11 offset:1
; %bb.96:
	s_or_saveexec_b32 s10, s10
	v_mov_b32_e32 v12, v10
	s_xor_b32 exec_lo, exec_lo, s10
	s_cbranch_execz .LBB130_98
; %bb.97:
	s_waitcnt lgkmcnt(0)
	v_add_nc_u32_e32 v11, v2, v13
	ds_read_u8 v12, v11 offset:1
	v_mov_b32_e32 v11, v9
.LBB130_98:
	s_or_b32 exec_lo, exec_lo, s10
	v_add_nc_u32_e32 v15, 1, v14
	v_add_nc_u32_e32 v17, 1, v13
	s_waitcnt lgkmcnt(0)
	v_cmp_lt_u16_sdwa s11, v12, v11 src0_sel:BYTE_0 src1_sel:BYTE_0
	v_cndmask_b32_e64 v16, v15, v14, s9
	v_cndmask_b32_e64 v15, v13, v17, s9
                                        ; implicit-def: $vgpr13
	v_cmp_ge_i32_e32 vcc_lo, v16, v3
	v_cmp_lt_i32_e64 s10, v15, v7
	s_or_b32 s11, vcc_lo, s11
	s_and_b32 s10, s10, s11
	s_xor_b32 s11, s10, -1
	s_and_saveexec_b32 s12, s11
	s_xor_b32 s11, exec_lo, s12
; %bb.99:
	v_add_nc_u32_e32 v13, v2, v16
	ds_read_u8 v13, v13 offset:1
; %bb.100:
	s_or_saveexec_b32 s11, s11
	v_mov_b32_e32 v14, v12
	s_xor_b32 exec_lo, exec_lo, s11
	s_cbranch_execz .LBB130_102
; %bb.101:
	s_waitcnt lgkmcnt(0)
	v_add_nc_u32_e32 v13, v2, v15
	ds_read_u8 v14, v13 offset:1
	v_mov_b32_e32 v13, v11
.LBB130_102:
	s_or_b32 exec_lo, exec_lo, s11
	v_add_nc_u32_e32 v17, 1, v16
	v_add_nc_u32_e32 v19, 1, v15
	s_waitcnt lgkmcnt(0)
	v_cmp_lt_u16_sdwa s12, v14, v13 src0_sel:BYTE_0 src1_sel:BYTE_0
	v_cndmask_b32_e64 v18, v17, v16, s10
	v_cndmask_b32_e64 v17, v15, v19, s10
                                        ; implicit-def: $vgpr15
	v_cmp_ge_i32_e32 vcc_lo, v18, v3
	v_cmp_lt_i32_e64 s11, v17, v7
	s_or_b32 s12, vcc_lo, s12
	s_and_b32 s11, s11, s12
	s_xor_b32 s12, s11, -1
	s_and_saveexec_b32 s13, s12
	s_xor_b32 s12, exec_lo, s13
; %bb.103:
	v_add_nc_u32_e32 v15, v2, v18
	ds_read_u8 v15, v15 offset:1
; %bb.104:
	s_or_saveexec_b32 s12, s12
	v_mov_b32_e32 v16, v14
	s_xor_b32 exec_lo, exec_lo, s12
	s_cbranch_execz .LBB130_106
; %bb.105:
	s_waitcnt lgkmcnt(0)
	v_add_nc_u32_e32 v15, v2, v17
	ds_read_u8 v16, v15 offset:1
	v_mov_b32_e32 v15, v13
.LBB130_106:
	s_or_b32 exec_lo, exec_lo, s12
	v_add_nc_u32_e32 v19, 1, v18
	v_add_nc_u32_e32 v21, 1, v17
	s_waitcnt lgkmcnt(0)
	v_cmp_lt_u16_sdwa s13, v16, v15 src0_sel:BYTE_0 src1_sel:BYTE_0
	v_cndmask_b32_e64 v20, v19, v18, s11
	v_cndmask_b32_e64 v19, v17, v21, s11
                                        ; implicit-def: $vgpr17
	v_cmp_ge_i32_e32 vcc_lo, v20, v3
	v_cmp_lt_i32_e64 s12, v19, v7
	s_or_b32 s13, vcc_lo, s13
	s_and_b32 s12, s12, s13
	s_xor_b32 s13, s12, -1
	s_and_saveexec_b32 s14, s13
	s_xor_b32 s13, exec_lo, s14
; %bb.107:
	v_add_nc_u32_e32 v17, v2, v20
	ds_read_u8 v17, v17 offset:1
; %bb.108:
	s_or_saveexec_b32 s13, s13
	v_mov_b32_e32 v18, v16
	s_xor_b32 exec_lo, exec_lo, s13
	s_cbranch_execz .LBB130_110
; %bb.109:
	s_waitcnt lgkmcnt(0)
	v_add_nc_u32_e32 v17, v2, v19
	ds_read_u8 v18, v17 offset:1
	v_mov_b32_e32 v17, v15
.LBB130_110:
	s_or_b32 exec_lo, exec_lo, s13
	v_add_nc_u32_e32 v21, 1, v20
	v_add_nc_u32_e32 v22, 1, v19
	s_waitcnt lgkmcnt(0)
	v_cmp_lt_u16_sdwa s14, v18, v17 src0_sel:BYTE_0 src1_sel:BYTE_0
	v_cndmask_b32_e64 v21, v21, v20, s12
	v_cndmask_b32_e64 v22, v19, v22, s12
                                        ; implicit-def: $vgpr19
	v_cmp_ge_i32_e32 vcc_lo, v21, v3
	v_cmp_lt_i32_e64 s13, v22, v7
	s_or_b32 s14, vcc_lo, s14
	s_and_b32 vcc_lo, s13, s14
	s_xor_b32 s13, vcc_lo, -1
	s_and_saveexec_b32 s14, s13
	s_xor_b32 s13, exec_lo, s14
; %bb.111:
	v_add_nc_u32_e32 v19, v2, v21
	ds_read_u8 v19, v19 offset:1
; %bb.112:
	s_or_saveexec_b32 s13, s13
	v_mov_b32_e32 v20, v18
	s_xor_b32 exec_lo, exec_lo, s13
	s_cbranch_execz .LBB130_114
; %bb.113:
	s_waitcnt lgkmcnt(0)
	v_add_nc_u32_e32 v19, v2, v22
	ds_read_u8 v20, v19 offset:1
	v_mov_b32_e32 v19, v17
.LBB130_114:
	s_or_b32 exec_lo, exec_lo, s13
	v_add_nc_u32_e32 v23, 1, v21
	v_add_nc_u32_e32 v24, 1, v22
	s_waitcnt lgkmcnt(0)
	v_cmp_lt_u16_sdwa s15, v20, v19 src0_sel:BYTE_0 src1_sel:BYTE_0
	v_cndmask_b32_e32 v21, v23, v21, vcc_lo
	v_cndmask_b32_e32 v22, v22, v24, vcc_lo
                                        ; implicit-def: $vgpr23
	v_cmp_ge_i32_e64 s13, v21, v3
	v_cmp_lt_i32_e64 s14, v22, v7
	s_or_b32 s13, s13, s15
	s_and_b32 s13, s14, s13
	s_xor_b32 s14, s13, -1
	s_and_saveexec_b32 s15, s14
	s_xor_b32 s14, exec_lo, s15
; %bb.115:
	v_add_nc_u32_e32 v23, v2, v21
	ds_read_u8 v23, v23 offset:1
; %bb.116:
	s_or_saveexec_b32 s14, s14
	v_mov_b32_e32 v24, v20
	s_xor_b32 exec_lo, exec_lo, s14
	s_cbranch_execz .LBB130_118
; %bb.117:
	s_waitcnt lgkmcnt(0)
	v_add_nc_u32_e32 v23, v2, v22
	ds_read_u8 v24, v23 offset:1
	v_mov_b32_e32 v23, v19
.LBB130_118:
	s_or_b32 exec_lo, exec_lo, s14
	v_and_b32_e32 v25, 0x80, v5
	v_cndmask_b32_e64 v20, v19, v20, s13
	v_add_nc_u32_e32 v26, 1, v22
	v_cndmask_b32_e64 v9, v9, v10, s9
	v_cndmask_b32_e64 v15, v15, v16, s12
	v_min_i32_e32 v19, v6, v25
	v_add_nc_u32_e32 v25, 1, v21
	v_cndmask_b32_e64 v11, v11, v12, s10
	v_cndmask_b32_e64 v12, v22, v26, s13
	;; [unrolled: 1-line block ×3, first 2 shown]
	v_add_nc_u32_e32 v10, 64, v19
	v_cndmask_b32_e64 v16, v25, v21, s13
	s_waitcnt lgkmcnt(0)
	v_cmp_lt_u16_sdwa s10, v24, v23 src0_sel:BYTE_0 src1_sel:BYTE_0
	v_cmp_lt_i32_e64 s8, v12, v7
	v_cndmask_b32_sdwa v17, v17, v18, vcc_lo dst_sel:BYTE_1 dst_unused:UNUSED_PAD src0_sel:DWORD src1_sel:DWORD
	v_min_i32_e32 v1, v6, v10
	v_cmp_ge_i32_e64 s9, v16, v3
	s_mov_b32 vcc_lo, s11
	v_and_b32_e32 v10, 0x78, v5
	v_cndmask_b32_sdwa v12, v13, v14, vcc_lo dst_sel:BYTE_1 dst_unused:UNUSED_PAD src0_sel:DWORD src1_sel:DWORD
	v_add_nc_u32_e32 v3, 64, v1
	s_or_b32 s9, s9, s10
	v_lshlrev_b16 v9, 8, v9
	s_and_b32 vcc_lo, s8, s9
	s_mov_b32 s9, 0
	v_min_i32_e32 v7, v6, v3
	v_cndmask_b32_e32 v13, v23, v24, vcc_lo
	v_min_i32_e32 v3, v6, v10
	v_or_b32_sdwa v10, v11, v12 dst_sel:WORD_1 dst_unused:UNUSED_PAD src0_sel:BYTE_0 src1_sel:DWORD
	v_or_b32_sdwa v8, v8, v9 dst_sel:DWORD dst_unused:UNUSED_PAD src0_sel:BYTE_0 src1_sel:DWORD
	v_sub_nc_u32_e32 v14, v7, v1
	v_lshlrev_b16 v11, 8, v13
	v_or_b32_sdwa v12, v15, v17 dst_sel:DWORD dst_unused:UNUSED_PAD src0_sel:BYTE_0 src1_sel:DWORD
	v_sub_nc_u32_e32 v13, v1, v19
	v_or_b32_sdwa v10, v8, v10 dst_sel:DWORD dst_unused:UNUSED_PAD src0_sel:WORD_0 src1_sel:DWORD
	v_sub_nc_u32_e32 v9, v3, v14
	v_or_b32_sdwa v11, v20, v11 dst_sel:WORD_1 dst_unused:UNUSED_PAD src0_sel:BYTE_0 src1_sel:DWORD
	v_cmp_ge_i32_e32 vcc_lo, v3, v14
	s_mov_b32 s8, exec_lo
	; wave barrier
	v_or_b32_sdwa v11, v12, v11 dst_sel:DWORD dst_unused:UNUSED_PAD src0_sel:WORD_0 src1_sel:DWORD
	v_cndmask_b32_e32 v8, 0, v9, vcc_lo
	v_min_i32_e32 v9, v3, v13
	ds_write_b64 v0, v[10:11]
	; wave barrier
	v_cmpx_lt_i32_e64 v8, v9
	s_cbranch_execz .LBB130_122
; %bb.119:
	v_add_nc_u32_e32 v10, v2, v19
	v_add3_u32 v11, v2, v1, v3
	.p2align	6
.LBB130_120:                            ; =>This Inner Loop Header: Depth=1
	v_sub_nc_u32_e32 v12, v9, v8
	v_lshrrev_b32_e32 v12, 1, v12
	v_add_nc_u32_e32 v12, v12, v8
	v_add_nc_u32_e32 v13, v10, v12
	v_xad_u32 v14, v12, -1, v11
	v_add_nc_u32_e32 v15, 1, v12
	ds_read_u8 v13, v13
	ds_read_u8 v14, v14
	s_waitcnt lgkmcnt(0)
	v_cmp_lt_u16_e32 vcc_lo, v14, v13
	v_cndmask_b32_e32 v9, v9, v12, vcc_lo
	v_cndmask_b32_e32 v8, v15, v8, vcc_lo
	v_cmp_ge_i32_e32 vcc_lo, v8, v9
	s_or_b32 s9, vcc_lo, s9
	s_andn2_b32 exec_lo, exec_lo, s9
	s_cbranch_execnz .LBB130_120
; %bb.121:
	s_or_b32 exec_lo, exec_lo, s9
.LBB130_122:
	s_or_b32 exec_lo, exec_lo, s8
	v_add_nc_u32_e32 v9, v1, v3
	v_add_nc_u32_e32 v3, v8, v19
                                        ; implicit-def: $vgpr10
	v_sub_nc_u32_e32 v12, v9, v8
	v_add_nc_u32_e32 v11, v2, v3
	v_cmp_le_i32_e32 vcc_lo, v1, v3
	v_add_nc_u32_e32 v13, v2, v12
	v_cmp_gt_i32_e64 s8, v7, v12
	ds_read_u8 v8, v11
	ds_read_u8 v9, v13
	s_waitcnt lgkmcnt(0)
	v_cmp_lt_u16_sdwa s9, v9, v8 src0_sel:BYTE_0 src1_sel:BYTE_0
	s_or_b32 s9, vcc_lo, s9
	s_and_b32 s8, s8, s9
	s_xor_b32 s9, s8, -1
	s_and_saveexec_b32 s10, s9
	s_xor_b32 s9, exec_lo, s10
; %bb.123:
	ds_read_u8 v10, v11 offset:1
                                        ; implicit-def: $vgpr13
; %bb.124:
	s_or_saveexec_b32 s9, s9
	v_mov_b32_e32 v11, v9
	s_xor_b32 exec_lo, exec_lo, s9
	s_cbranch_execz .LBB130_126
; %bb.125:
	ds_read_u8 v11, v13 offset:1
	s_waitcnt lgkmcnt(1)
	v_mov_b32_e32 v10, v8
.LBB130_126:
	s_or_b32 exec_lo, exec_lo, s9
	v_add_nc_u32_e32 v13, 1, v3
	v_add_nc_u32_e32 v15, 1, v12
	s_waitcnt lgkmcnt(0)
	v_cmp_lt_u16_sdwa s10, v11, v10 src0_sel:BYTE_0 src1_sel:BYTE_0
	v_cndmask_b32_e64 v14, v13, v3, s8
	v_cndmask_b32_e64 v3, v12, v15, s8
                                        ; implicit-def: $vgpr12
	v_cmp_ge_i32_e32 vcc_lo, v14, v1
	v_cmp_lt_i32_e64 s9, v3, v7
	s_or_b32 s10, vcc_lo, s10
	s_and_b32 s9, s9, s10
	s_xor_b32 s10, s9, -1
	s_and_saveexec_b32 s11, s10
	s_xor_b32 s10, exec_lo, s11
; %bb.127:
	v_add_nc_u32_e32 v12, v2, v14
	ds_read_u8 v12, v12 offset:1
; %bb.128:
	s_or_saveexec_b32 s10, s10
	v_mov_b32_e32 v13, v11
	s_xor_b32 exec_lo, exec_lo, s10
	s_cbranch_execz .LBB130_130
; %bb.129:
	s_waitcnt lgkmcnt(0)
	v_add_nc_u32_e32 v12, v2, v3
	ds_read_u8 v13, v12 offset:1
	v_mov_b32_e32 v12, v10
.LBB130_130:
	s_or_b32 exec_lo, exec_lo, s10
	v_add_nc_u32_e32 v15, 1, v14
	v_add_nc_u32_e32 v17, 1, v3
	s_waitcnt lgkmcnt(0)
	v_cmp_lt_u16_sdwa s11, v13, v12 src0_sel:BYTE_0 src1_sel:BYTE_0
	v_cndmask_b32_e64 v16, v15, v14, s9
	v_cndmask_b32_e64 v3, v3, v17, s9
                                        ; implicit-def: $vgpr14
	v_cmp_ge_i32_e32 vcc_lo, v16, v1
	v_cmp_lt_i32_e64 s10, v3, v7
	s_or_b32 s11, vcc_lo, s11
	s_and_b32 s10, s10, s11
	s_xor_b32 s11, s10, -1
	s_and_saveexec_b32 s12, s11
	s_xor_b32 s11, exec_lo, s12
; %bb.131:
	v_add_nc_u32_e32 v14, v2, v16
	ds_read_u8 v14, v14 offset:1
; %bb.132:
	s_or_saveexec_b32 s11, s11
	v_mov_b32_e32 v15, v13
	s_xor_b32 exec_lo, exec_lo, s11
	s_cbranch_execz .LBB130_134
; %bb.133:
	s_waitcnt lgkmcnt(0)
	v_add_nc_u32_e32 v14, v2, v3
	ds_read_u8 v15, v14 offset:1
	v_mov_b32_e32 v14, v12
.LBB130_134:
	s_or_b32 exec_lo, exec_lo, s11
	v_add_nc_u32_e32 v17, 1, v16
	v_add_nc_u32_e32 v19, 1, v3
	s_waitcnt lgkmcnt(0)
	v_cmp_lt_u16_sdwa s12, v15, v14 src0_sel:BYTE_0 src1_sel:BYTE_0
	v_cndmask_b32_e64 v18, v17, v16, s10
	v_cndmask_b32_e64 v17, v3, v19, s10
                                        ; implicit-def: $vgpr3
	v_cmp_ge_i32_e32 vcc_lo, v18, v1
	v_cmp_lt_i32_e64 s11, v17, v7
	s_or_b32 s12, vcc_lo, s12
	s_and_b32 s11, s11, s12
	s_xor_b32 s12, s11, -1
	s_and_saveexec_b32 s13, s12
	s_xor_b32 s12, exec_lo, s13
; %bb.135:
	v_add_nc_u32_e32 v3, v2, v18
	ds_read_u8 v3, v3 offset:1
; %bb.136:
	s_or_saveexec_b32 s12, s12
	v_mov_b32_e32 v16, v15
	s_xor_b32 exec_lo, exec_lo, s12
	s_cbranch_execz .LBB130_138
; %bb.137:
	s_waitcnt lgkmcnt(0)
	v_add_nc_u32_e32 v3, v2, v17
	ds_read_u8 v16, v3 offset:1
	v_mov_b32_e32 v3, v14
.LBB130_138:
	s_or_b32 exec_lo, exec_lo, s12
	v_add_nc_u32_e32 v19, 1, v18
	v_add_nc_u32_e32 v21, 1, v17
	s_waitcnt lgkmcnt(0)
	v_cmp_lt_u16_sdwa s13, v16, v3 src0_sel:BYTE_0 src1_sel:BYTE_0
	v_cndmask_b32_e64 v20, v19, v18, s11
	v_cndmask_b32_e64 v19, v17, v21, s11
                                        ; implicit-def: $vgpr17
	v_cmp_ge_i32_e32 vcc_lo, v20, v1
	v_cmp_lt_i32_e64 s12, v19, v7
	s_or_b32 s13, vcc_lo, s13
	s_and_b32 s12, s12, s13
	s_xor_b32 s13, s12, -1
	s_and_saveexec_b32 s14, s13
	s_xor_b32 s13, exec_lo, s14
; %bb.139:
	v_add_nc_u32_e32 v17, v2, v20
	ds_read_u8 v17, v17 offset:1
; %bb.140:
	s_or_saveexec_b32 s13, s13
	v_mov_b32_e32 v18, v16
	s_xor_b32 exec_lo, exec_lo, s13
	s_cbranch_execz .LBB130_142
; %bb.141:
	s_waitcnt lgkmcnt(0)
	v_add_nc_u32_e32 v17, v2, v19
	ds_read_u8 v18, v17 offset:1
	v_mov_b32_e32 v17, v3
.LBB130_142:
	s_or_b32 exec_lo, exec_lo, s13
	v_add_nc_u32_e32 v21, 1, v20
	v_add_nc_u32_e32 v23, 1, v19
	s_waitcnt lgkmcnt(0)
	v_cmp_lt_u16_sdwa s14, v18, v17 src0_sel:BYTE_0 src1_sel:BYTE_0
	v_cndmask_b32_e64 v22, v21, v20, s12
	v_cndmask_b32_e64 v20, v19, v23, s12
                                        ; implicit-def: $vgpr19
	v_cmp_ge_i32_e32 vcc_lo, v22, v1
	v_cmp_lt_i32_e64 s13, v20, v7
	s_or_b32 s14, vcc_lo, s14
	s_and_b32 vcc_lo, s13, s14
	s_xor_b32 s13, vcc_lo, -1
	s_and_saveexec_b32 s14, s13
	s_xor_b32 s13, exec_lo, s14
; %bb.143:
	v_add_nc_u32_e32 v19, v2, v22
	ds_read_u8 v19, v19 offset:1
; %bb.144:
	s_or_saveexec_b32 s13, s13
	v_mov_b32_e32 v21, v18
	s_xor_b32 exec_lo, exec_lo, s13
	s_cbranch_execz .LBB130_146
; %bb.145:
	s_waitcnt lgkmcnt(0)
	v_add_nc_u32_e32 v19, v2, v20
	ds_read_u8 v21, v19 offset:1
	v_mov_b32_e32 v19, v17
.LBB130_146:
	s_or_b32 exec_lo, exec_lo, s13
	v_add_nc_u32_e32 v23, 1, v22
	v_add_nc_u32_e32 v24, 1, v20
	s_waitcnt lgkmcnt(0)
	v_cmp_lt_u16_sdwa s15, v21, v19 src0_sel:BYTE_0 src1_sel:BYTE_0
	v_cndmask_b32_e32 v22, v23, v22, vcc_lo
	v_cndmask_b32_e32 v24, v20, v24, vcc_lo
                                        ; implicit-def: $vgpr23
	v_cmp_ge_i32_e64 s13, v22, v1
	v_cmp_lt_i32_e64 s14, v24, v7
	s_or_b32 s13, s13, s15
	s_and_b32 s13, s14, s13
	s_xor_b32 s14, s13, -1
	s_and_saveexec_b32 s15, s14
	s_xor_b32 s14, exec_lo, s15
; %bb.147:
	v_add_nc_u32_e32 v20, v2, v22
	ds_read_u8 v23, v20 offset:1
; %bb.148:
	s_or_saveexec_b32 s14, s14
	v_mov_b32_e32 v25, v21
	s_xor_b32 exec_lo, exec_lo, s14
	s_cbranch_execz .LBB130_150
; %bb.149:
	v_add_nc_u32_e32 v20, v2, v24
	s_waitcnt lgkmcnt(0)
	v_mov_b32_e32 v23, v19
	ds_read_u8 v25, v20 offset:1
.LBB130_150:
	s_or_b32 exec_lo, exec_lo, s14
	v_min_i32_e32 v20, 0, v6
	v_cndmask_b32_e64 v19, v19, v21, s13
	v_add_nc_u32_e32 v21, 1, v24
	v_add_nc_u32_e32 v26, 1, v22
	v_cndmask_b32_sdwa v17, v17, v18, vcc_lo dst_sel:BYTE_1 dst_unused:UNUSED_PAD src0_sel:DWORD src1_sel:DWORD
	v_add_nc_u32_e32 v27, 0x80, v20
	s_mov_b32 vcc_lo, s11
	v_cndmask_b32_e64 v18, v24, v21, s13
	v_cndmask_b32_e64 v21, v26, v22, s13
	;; [unrolled: 1-line block ×3, first 2 shown]
	v_min_i32_e32 v3, v6, v27
	v_cndmask_b32_sdwa v14, v14, v15, vcc_lo dst_sel:BYTE_1 dst_unused:UNUSED_PAD src0_sel:DWORD src1_sel:DWORD
	s_waitcnt lgkmcnt(0)
	v_cmp_lt_u16_sdwa s11, v25, v23 src0_sel:BYTE_0 src1_sel:BYTE_0
	v_cmp_ge_i32_e32 vcc_lo, v21, v1
	v_cndmask_b32_e64 v1, v10, v11, s9
	v_cmp_lt_i32_e64 s9, v18, v7
	v_add_nc_u32_e32 v10, 0x80, v3
	v_cndmask_b32_e64 v8, v8, v9, s8
	s_or_b32 s8, vcc_lo, s11
	v_lshlrev_b16 v9, 8, v1
	s_and_b32 vcc_lo, s9, s8
	v_min_i32_e32 v7, v6, v10
	v_cndmask_b32_e32 v10, v23, v25, vcc_lo
	v_cndmask_b32_e64 v11, v12, v13, s10
	v_min_i32_e32 v1, v6, v5
	v_or_b32_sdwa v8, v8, v9 dst_sel:DWORD dst_unused:UNUSED_PAD src0_sel:BYTE_0 src1_sel:DWORD
	v_sub_nc_u32_e32 v6, v7, v3
	v_lshlrev_b16 v9, 8, v10
	v_or_b32_sdwa v10, v11, v14 dst_sel:WORD_1 dst_unused:UNUSED_PAD src0_sel:BYTE_0 src1_sel:DWORD
	v_or_b32_sdwa v11, v16, v17 dst_sel:DWORD dst_unused:UNUSED_PAD src0_sel:BYTE_0 src1_sel:DWORD
	v_sub_nc_u32_e32 v13, v3, v20
	v_sub_nc_u32_e32 v12, v1, v6
	v_or_b32_sdwa v14, v19, v9 dst_sel:WORD_1 dst_unused:UNUSED_PAD src0_sel:BYTE_0 src1_sel:DWORD
	v_cmp_ge_i32_e32 vcc_lo, v1, v6
	v_or_b32_sdwa v9, v8, v10 dst_sel:DWORD dst_unused:UNUSED_PAD src0_sel:WORD_0 src1_sel:DWORD
	v_min_i32_e32 v8, v1, v13
	s_mov_b32 s9, 0
	v_or_b32_sdwa v10, v11, v14 dst_sel:DWORD dst_unused:UNUSED_PAD src0_sel:WORD_0 src1_sel:DWORD
	v_cndmask_b32_e32 v6, 0, v12, vcc_lo
	s_mov_b32 s8, exec_lo
	; wave barrier
	ds_write_b64 v0, v[9:10]
	; wave barrier
	v_cmpx_lt_i32_e64 v6, v8
	s_cbranch_execz .LBB130_154
; %bb.151:
	v_add_nc_u32_e32 v0, v2, v20
	v_add3_u32 v9, v2, v3, v1
	.p2align	6
.LBB130_152:                            ; =>This Inner Loop Header: Depth=1
	v_sub_nc_u32_e32 v10, v8, v6
	v_lshrrev_b32_e32 v10, 1, v10
	v_add_nc_u32_e32 v10, v10, v6
	v_add_nc_u32_e32 v11, v0, v10
	v_xad_u32 v12, v10, -1, v9
	v_add_nc_u32_e32 v13, 1, v10
	ds_read_u8 v11, v11
	ds_read_u8 v12, v12
	s_waitcnt lgkmcnt(0)
	v_cmp_lt_u16_e32 vcc_lo, v12, v11
	v_cndmask_b32_e32 v8, v8, v10, vcc_lo
	v_cndmask_b32_e32 v6, v13, v6, vcc_lo
	v_cmp_ge_i32_e32 vcc_lo, v6, v8
	s_or_b32 s9, vcc_lo, s9
	s_andn2_b32 exec_lo, exec_lo, s9
	s_cbranch_execnz .LBB130_152
; %bb.153:
	s_or_b32 exec_lo, exec_lo, s9
.LBB130_154:
	s_or_b32 exec_lo, exec_lo, s8
	v_add_nc_u32_e32 v1, v3, v1
	v_add_nc_u32_e32 v0, v6, v20
                                        ; implicit-def: $vgpr9
	v_sub_nc_u32_e32 v1, v1, v6
	v_add_nc_u32_e32 v10, v2, v0
	v_cmp_le_i32_e32 vcc_lo, v3, v0
	v_add_nc_u32_e32 v11, v2, v1
	v_cmp_gt_i32_e64 s8, v7, v1
	ds_read_u8 v6, v10
	ds_read_u8 v8, v11
	s_waitcnt lgkmcnt(0)
	v_cmp_lt_u16_sdwa s9, v8, v6 src0_sel:BYTE_0 src1_sel:BYTE_0
	s_or_b32 s9, vcc_lo, s9
	s_and_b32 vcc_lo, s8, s9
	s_xor_b32 s8, vcc_lo, -1
	s_and_saveexec_b32 s9, s8
	s_xor_b32 s8, exec_lo, s9
; %bb.155:
	ds_read_u8 v9, v10 offset:1
                                        ; implicit-def: $vgpr11
; %bb.156:
	s_or_saveexec_b32 s8, s8
	v_mov_b32_e32 v10, v8
	s_xor_b32 exec_lo, exec_lo, s8
	s_cbranch_execz .LBB130_158
; %bb.157:
	ds_read_u8 v10, v11 offset:1
	s_waitcnt lgkmcnt(1)
	v_mov_b32_e32 v9, v6
.LBB130_158:
	s_or_b32 exec_lo, exec_lo, s8
	v_add_nc_u32_e32 v11, 1, v0
	v_add_nc_u32_e32 v12, 1, v1
	s_waitcnt lgkmcnt(0)
	v_cmp_lt_u16_sdwa s10, v10, v9 src0_sel:BYTE_0 src1_sel:BYTE_0
	v_cndmask_b32_e32 v13, v11, v0, vcc_lo
	v_cndmask_b32_e32 v0, v1, v12, vcc_lo
                                        ; implicit-def: $vgpr11
	v_cmp_ge_i32_e64 s8, v13, v3
	v_cmp_lt_i32_e64 s9, v0, v7
	s_or_b32 s8, s8, s10
	s_and_b32 s8, s9, s8
	s_xor_b32 s9, s8, -1
	s_and_saveexec_b32 s10, s9
	s_xor_b32 s9, exec_lo, s10
; %bb.159:
	v_add_nc_u32_e32 v1, v2, v13
	ds_read_u8 v11, v1 offset:1
; %bb.160:
	s_or_saveexec_b32 s9, s9
	v_mov_b32_e32 v12, v10
	s_xor_b32 exec_lo, exec_lo, s9
	s_cbranch_execz .LBB130_162
; %bb.161:
	v_add_nc_u32_e32 v1, v2, v0
	s_waitcnt lgkmcnt(0)
	v_mov_b32_e32 v11, v9
	ds_read_u8 v12, v1 offset:1
.LBB130_162:
	s_or_b32 exec_lo, exec_lo, s9
	v_add_nc_u32_e32 v1, 1, v13
	v_add_nc_u32_e32 v14, 1, v0
	s_waitcnt lgkmcnt(0)
	v_cmp_lt_u16_sdwa s11, v12, v11 src0_sel:BYTE_0 src1_sel:BYTE_0
	v_cndmask_b32_e64 v1, v1, v13, s8
	v_cndmask_b32_e64 v0, v0, v14, s8
                                        ; implicit-def: $vgpr13
	v_cmp_ge_i32_e64 s9, v1, v3
	v_cmp_lt_i32_e64 s10, v0, v7
	s_or_b32 s9, s9, s11
	s_and_b32 s9, s10, s9
	s_xor_b32 s10, s9, -1
	s_and_saveexec_b32 s11, s10
	s_xor_b32 s10, exec_lo, s11
; %bb.163:
	v_add_nc_u32_e32 v13, v2, v1
	ds_read_u8 v13, v13 offset:1
; %bb.164:
	s_or_saveexec_b32 s10, s10
	v_mov_b32_e32 v14, v12
	s_xor_b32 exec_lo, exec_lo, s10
	s_cbranch_execz .LBB130_166
; %bb.165:
	s_waitcnt lgkmcnt(0)
	v_add_nc_u32_e32 v13, v2, v0
	ds_read_u8 v14, v13 offset:1
	v_mov_b32_e32 v13, v11
.LBB130_166:
	s_or_b32 exec_lo, exec_lo, s10
	v_add_nc_u32_e32 v15, 1, v1
	v_add_nc_u32_e32 v16, 1, v0
	s_waitcnt lgkmcnt(0)
	v_cmp_lt_u16_sdwa s12, v14, v13 src0_sel:BYTE_0 src1_sel:BYTE_0
	v_cndmask_b32_e64 v1, v15, v1, s9
	v_cndmask_b32_e64 v0, v0, v16, s9
                                        ; implicit-def: $vgpr15
	v_cmp_ge_i32_e64 s10, v1, v3
	v_cmp_lt_i32_e64 s11, v0, v7
	s_or_b32 s10, s10, s12
	s_and_b32 s10, s11, s10
	s_xor_b32 s11, s10, -1
	s_and_saveexec_b32 s12, s11
	s_xor_b32 s11, exec_lo, s12
; %bb.167:
	v_add_nc_u32_e32 v15, v2, v1
	ds_read_u8 v15, v15 offset:1
; %bb.168:
	s_or_saveexec_b32 s11, s11
	v_mov_b32_e32 v16, v14
	s_xor_b32 exec_lo, exec_lo, s11
	s_cbranch_execz .LBB130_170
; %bb.169:
	s_waitcnt lgkmcnt(0)
	v_add_nc_u32_e32 v15, v2, v0
	ds_read_u8 v16, v15 offset:1
	v_mov_b32_e32 v15, v13
.LBB130_170:
	s_or_b32 exec_lo, exec_lo, s11
	v_add_nc_u32_e32 v17, 1, v1
	v_add_nc_u32_e32 v18, 1, v0
	s_waitcnt lgkmcnt(0)
	v_cmp_lt_u16_sdwa s13, v16, v15 src0_sel:BYTE_0 src1_sel:BYTE_0
	v_cndmask_b32_e64 v1, v17, v1, s10
	v_cndmask_b32_e64 v0, v0, v18, s10
                                        ; implicit-def: $vgpr17
	v_cmp_ge_i32_e64 s11, v1, v3
	v_cmp_lt_i32_e64 s12, v0, v7
	s_or_b32 s11, s11, s13
	s_and_b32 s11, s12, s11
	s_xor_b32 s12, s11, -1
	s_and_saveexec_b32 s13, s12
	s_xor_b32 s12, exec_lo, s13
; %bb.171:
	v_add_nc_u32_e32 v17, v2, v1
	ds_read_u8 v17, v17 offset:1
; %bb.172:
	s_or_saveexec_b32 s12, s12
	v_mov_b32_e32 v18, v16
	s_xor_b32 exec_lo, exec_lo, s12
	s_cbranch_execz .LBB130_174
; %bb.173:
	s_waitcnt lgkmcnt(0)
	v_add_nc_u32_e32 v17, v2, v0
	ds_read_u8 v18, v17 offset:1
	v_mov_b32_e32 v17, v15
.LBB130_174:
	s_or_b32 exec_lo, exec_lo, s12
	v_add_nc_u32_e32 v19, 1, v1
	v_add_nc_u32_e32 v20, 1, v0
	s_waitcnt lgkmcnt(0)
	v_cmp_lt_u16_sdwa s14, v18, v17 src0_sel:BYTE_0 src1_sel:BYTE_0
	v_cndmask_b32_e64 v21, v19, v1, s11
	v_cndmask_b32_e64 v1, v0, v20, s11
                                        ; implicit-def: $vgpr19
	v_cmp_ge_i32_e64 s12, v21, v3
	v_cmp_lt_i32_e64 s13, v1, v7
	s_or_b32 s12, s12, s14
	s_and_b32 s12, s13, s12
	s_xor_b32 s13, s12, -1
	s_and_saveexec_b32 s14, s13
	s_xor_b32 s13, exec_lo, s14
; %bb.175:
	v_add_nc_u32_e32 v0, v2, v21
	ds_read_u8 v19, v0 offset:1
; %bb.176:
	s_or_saveexec_b32 s13, s13
	v_mov_b32_e32 v20, v18
	s_xor_b32 exec_lo, exec_lo, s13
	s_cbranch_execz .LBB130_178
; %bb.177:
	v_add_nc_u32_e32 v0, v2, v1
	s_waitcnt lgkmcnt(0)
	v_mov_b32_e32 v19, v17
	ds_read_u8 v20, v0 offset:1
.LBB130_178:
	s_or_b32 exec_lo, exec_lo, s13
	v_add_nc_u32_e32 v0, 1, v21
	v_add_nc_u32_e32 v22, 1, v1
	s_waitcnt lgkmcnt(0)
	v_cmp_lt_u16_sdwa s15, v20, v19 src0_sel:BYTE_0 src1_sel:BYTE_0
                                        ; implicit-def: $vgpr23
	v_cndmask_b32_e64 v0, v0, v21, s12
	v_cndmask_b32_e64 v21, v1, v22, s12
                                        ; implicit-def: $vgpr22
	v_cmp_ge_i32_e64 s13, v0, v3
	v_cmp_lt_i32_e64 s14, v21, v7
	s_or_b32 s13, s13, s15
	s_and_b32 s13, s14, s13
	s_xor_b32 s14, s13, -1
	s_and_saveexec_b32 s15, s14
	s_xor_b32 s14, exec_lo, s15
; %bb.179:
	v_add_nc_u32_e32 v1, v2, v0
	v_add_nc_u32_e32 v23, 1, v0
                                        ; implicit-def: $vgpr2
                                        ; implicit-def: $vgpr0
	ds_read_u8 v22, v1 offset:1
; %bb.180:
	s_or_saveexec_b32 s14, s14
	v_mov_b32_e32 v24, v20
	s_xor_b32 exec_lo, exec_lo, s14
	s_cbranch_execz .LBB130_182
; %bb.181:
	v_add_nc_u32_e32 v1, v2, v21
	v_add_nc_u32_e32 v21, 1, v21
	v_mov_b32_e32 v23, v0
	s_waitcnt lgkmcnt(0)
	v_mov_b32_e32 v22, v19
	ds_read_u8 v24, v1 offset:1
.LBB130_182:
	s_or_b32 exec_lo, exec_lo, s14
	v_add_co_u32 v0, s14, s18, v4
	v_add_co_ci_u32_e64 v1, null, s19, 0, s14
	v_add_co_u32 v0, s14, v0, v5
	v_add_co_ci_u32_e64 v1, null, 0, v1, s14
	s_and_saveexec_b32 s14, s0
	s_cbranch_execnz .LBB130_191
; %bb.183:
	s_or_b32 exec_lo, exec_lo, s14
	s_and_saveexec_b32 s0, s1
	s_cbranch_execnz .LBB130_192
.LBB130_184:
	s_or_b32 exec_lo, exec_lo, s0
	s_and_saveexec_b32 s0, s2
	s_cbranch_execnz .LBB130_193
.LBB130_185:
	s_or_b32 exec_lo, exec_lo, s0
	s_and_saveexec_b32 s0, s3
	s_cbranch_execnz .LBB130_194
.LBB130_186:
	s_or_b32 exec_lo, exec_lo, s0
	s_and_saveexec_b32 s0, s4
	s_cbranch_execnz .LBB130_195
.LBB130_187:
	s_or_b32 exec_lo, exec_lo, s0
	s_and_saveexec_b32 s0, s5
	s_cbranch_execnz .LBB130_196
.LBB130_188:
	s_or_b32 exec_lo, exec_lo, s0
	s_and_saveexec_b32 s0, s6
	s_cbranch_execnz .LBB130_197
.LBB130_189:
	s_or_b32 exec_lo, exec_lo, s0
	s_and_saveexec_b32 s0, s7
	s_cbranch_execnz .LBB130_198
.LBB130_190:
	s_endpgm
.LBB130_191:
	v_cndmask_b32_e32 v2, v6, v8, vcc_lo
	global_store_byte v[0:1], v2, off
	s_or_b32 exec_lo, exec_lo, s14
	s_and_saveexec_b32 s0, s1
	s_cbranch_execz .LBB130_184
.LBB130_192:
	v_cndmask_b32_e64 v2, v9, v10, s8
	global_store_byte v[0:1], v2, off offset:1
	s_or_b32 exec_lo, exec_lo, s0
	s_and_saveexec_b32 s0, s2
	s_cbranch_execz .LBB130_185
.LBB130_193:
	v_cndmask_b32_e64 v2, v11, v12, s9
	global_store_byte v[0:1], v2, off offset:2
	s_or_b32 exec_lo, exec_lo, s0
	s_and_saveexec_b32 s0, s3
	s_cbranch_execz .LBB130_186
.LBB130_194:
	v_cndmask_b32_e64 v2, v13, v14, s10
	global_store_byte v[0:1], v2, off offset:3
	s_or_b32 exec_lo, exec_lo, s0
	s_and_saveexec_b32 s0, s4
	s_cbranch_execz .LBB130_187
.LBB130_195:
	v_cndmask_b32_e64 v2, v15, v16, s11
	global_store_byte v[0:1], v2, off offset:4
	s_or_b32 exec_lo, exec_lo, s0
	s_and_saveexec_b32 s0, s5
	s_cbranch_execz .LBB130_188
.LBB130_196:
	v_cndmask_b32_e64 v2, v17, v18, s12
	global_store_byte v[0:1], v2, off offset:5
	s_or_b32 exec_lo, exec_lo, s0
	s_and_saveexec_b32 s0, s6
	s_cbranch_execz .LBB130_189
.LBB130_197:
	v_cndmask_b32_e64 v2, v19, v20, s13
	global_store_byte v[0:1], v2, off offset:6
	s_or_b32 exec_lo, exec_lo, s0
	s_and_saveexec_b32 s0, s7
	s_cbranch_execz .LBB130_190
.LBB130_198:
	v_cmp_ge_i32_e32 vcc_lo, v23, v3
	s_waitcnt lgkmcnt(0)
	v_cmp_lt_u16_sdwa s1, v24, v22 src0_sel:BYTE_0 src1_sel:BYTE_0
	v_cmp_lt_i32_e64 s0, v21, v7
	s_or_b32 s1, vcc_lo, s1
	s_and_b32 vcc_lo, s0, s1
	v_cndmask_b32_e32 v2, v22, v24, vcc_lo
	global_store_byte v[0:1], v2, off offset:7
	s_endpgm
	.section	.rodata,"a",@progbits
	.p2align	6, 0x0
	.amdhsa_kernel _Z19sort_keys_segmentedILj256ELj32ELj8EhN10test_utils4lessEEvPKT2_PS2_PKjT3_
		.amdhsa_group_segment_fixed_size 2056
		.amdhsa_private_segment_fixed_size 0
		.amdhsa_kernarg_size 28
		.amdhsa_user_sgpr_count 6
		.amdhsa_user_sgpr_private_segment_buffer 1
		.amdhsa_user_sgpr_dispatch_ptr 0
		.amdhsa_user_sgpr_queue_ptr 0
		.amdhsa_user_sgpr_kernarg_segment_ptr 1
		.amdhsa_user_sgpr_dispatch_id 0
		.amdhsa_user_sgpr_flat_scratch_init 0
		.amdhsa_user_sgpr_private_segment_size 0
		.amdhsa_wavefront_size32 1
		.amdhsa_uses_dynamic_stack 0
		.amdhsa_system_sgpr_private_segment_wavefront_offset 0
		.amdhsa_system_sgpr_workgroup_id_x 1
		.amdhsa_system_sgpr_workgroup_id_y 0
		.amdhsa_system_sgpr_workgroup_id_z 0
		.amdhsa_system_sgpr_workgroup_info 0
		.amdhsa_system_vgpr_workitem_id 0
		.amdhsa_next_free_vgpr 28
		.amdhsa_next_free_sgpr 20
		.amdhsa_reserve_vcc 1
		.amdhsa_reserve_flat_scratch 0
		.amdhsa_float_round_mode_32 0
		.amdhsa_float_round_mode_16_64 0
		.amdhsa_float_denorm_mode_32 3
		.amdhsa_float_denorm_mode_16_64 3
		.amdhsa_dx10_clamp 1
		.amdhsa_ieee_mode 1
		.amdhsa_fp16_overflow 0
		.amdhsa_workgroup_processor_mode 1
		.amdhsa_memory_ordered 1
		.amdhsa_forward_progress 1
		.amdhsa_shared_vgpr_count 0
		.amdhsa_exception_fp_ieee_invalid_op 0
		.amdhsa_exception_fp_denorm_src 0
		.amdhsa_exception_fp_ieee_div_zero 0
		.amdhsa_exception_fp_ieee_overflow 0
		.amdhsa_exception_fp_ieee_underflow 0
		.amdhsa_exception_fp_ieee_inexact 0
		.amdhsa_exception_int_div_zero 0
	.end_amdhsa_kernel
	.section	.text._Z19sort_keys_segmentedILj256ELj32ELj8EhN10test_utils4lessEEvPKT2_PS2_PKjT3_,"axG",@progbits,_Z19sort_keys_segmentedILj256ELj32ELj8EhN10test_utils4lessEEvPKT2_PS2_PKjT3_,comdat
.Lfunc_end130:
	.size	_Z19sort_keys_segmentedILj256ELj32ELj8EhN10test_utils4lessEEvPKT2_PS2_PKjT3_, .Lfunc_end130-_Z19sort_keys_segmentedILj256ELj32ELj8EhN10test_utils4lessEEvPKT2_PS2_PKjT3_
                                        ; -- End function
	.set _Z19sort_keys_segmentedILj256ELj32ELj8EhN10test_utils4lessEEvPKT2_PS2_PKjT3_.num_vgpr, 28
	.set _Z19sort_keys_segmentedILj256ELj32ELj8EhN10test_utils4lessEEvPKT2_PS2_PKjT3_.num_agpr, 0
	.set _Z19sort_keys_segmentedILj256ELj32ELj8EhN10test_utils4lessEEvPKT2_PS2_PKjT3_.numbered_sgpr, 20
	.set _Z19sort_keys_segmentedILj256ELj32ELj8EhN10test_utils4lessEEvPKT2_PS2_PKjT3_.num_named_barrier, 0
	.set _Z19sort_keys_segmentedILj256ELj32ELj8EhN10test_utils4lessEEvPKT2_PS2_PKjT3_.private_seg_size, 0
	.set _Z19sort_keys_segmentedILj256ELj32ELj8EhN10test_utils4lessEEvPKT2_PS2_PKjT3_.uses_vcc, 1
	.set _Z19sort_keys_segmentedILj256ELj32ELj8EhN10test_utils4lessEEvPKT2_PS2_PKjT3_.uses_flat_scratch, 0
	.set _Z19sort_keys_segmentedILj256ELj32ELj8EhN10test_utils4lessEEvPKT2_PS2_PKjT3_.has_dyn_sized_stack, 0
	.set _Z19sort_keys_segmentedILj256ELj32ELj8EhN10test_utils4lessEEvPKT2_PS2_PKjT3_.has_recursion, 0
	.set _Z19sort_keys_segmentedILj256ELj32ELj8EhN10test_utils4lessEEvPKT2_PS2_PKjT3_.has_indirect_call, 0
	.section	.AMDGPU.csdata,"",@progbits
; Kernel info:
; codeLenInByte = 8940
; TotalNumSgprs: 22
; NumVgprs: 28
; ScratchSize: 0
; MemoryBound: 0
; FloatMode: 240
; IeeeMode: 1
; LDSByteSize: 2056 bytes/workgroup (compile time only)
; SGPRBlocks: 0
; VGPRBlocks: 3
; NumSGPRsForWavesPerEU: 22
; NumVGPRsForWavesPerEU: 28
; Occupancy: 16
; WaveLimiterHint : 0
; COMPUTE_PGM_RSRC2:SCRATCH_EN: 0
; COMPUTE_PGM_RSRC2:USER_SGPR: 6
; COMPUTE_PGM_RSRC2:TRAP_HANDLER: 0
; COMPUTE_PGM_RSRC2:TGID_X_EN: 1
; COMPUTE_PGM_RSRC2:TGID_Y_EN: 0
; COMPUTE_PGM_RSRC2:TGID_Z_EN: 0
; COMPUTE_PGM_RSRC2:TIDIG_COMP_CNT: 0
	.section	.text._Z20sort_pairs_segmentedILj256ELj32ELj8EhN10test_utils4lessEEvPKT2_PS2_PKjT3_,"axG",@progbits,_Z20sort_pairs_segmentedILj256ELj32ELj8EhN10test_utils4lessEEvPKT2_PS2_PKjT3_,comdat
	.protected	_Z20sort_pairs_segmentedILj256ELj32ELj8EhN10test_utils4lessEEvPKT2_PS2_PKjT3_ ; -- Begin function _Z20sort_pairs_segmentedILj256ELj32ELj8EhN10test_utils4lessEEvPKT2_PS2_PKjT3_
	.globl	_Z20sort_pairs_segmentedILj256ELj32ELj8EhN10test_utils4lessEEvPKT2_PS2_PKjT3_
	.p2align	8
	.type	_Z20sort_pairs_segmentedILj256ELj32ELj8EhN10test_utils4lessEEvPKT2_PS2_PKjT3_,@function
_Z20sort_pairs_segmentedILj256ELj32ELj8EhN10test_utils4lessEEvPKT2_PS2_PKjT3_: ; @_Z20sort_pairs_segmentedILj256ELj32ELj8EhN10test_utils4lessEEvPKT2_PS2_PKjT3_
; %bb.0:
	s_clause 0x1
	s_load_dwordx2 s[0:1], s[4:5], 0x10
	s_load_dwordx4 s[16:19], s[4:5], 0x0
	v_lshrrev_b32_e32 v11, 5, v0
	v_mov_b32_e32 v1, 0
	v_mov_b32_e32 v6, 0
	;; [unrolled: 1-line block ×4, first 2 shown]
	v_lshl_or_b32 v0, s6, 3, v11
	v_mov_b32_e32 v12, 0
	v_mov_b32_e32 v4, 0
	v_lshlrev_b64 v[2:3], 2, v[0:1]
	v_lshlrev_b32_e32 v9, 8, v0
	s_waitcnt lgkmcnt(0)
	v_add_co_u32 v2, vcc_lo, s0, v2
	v_add_co_ci_u32_e64 v3, null, s1, v3, vcc_lo
	v_add_co_u32 v0, s0, s16, v9
	global_load_dword v10, v[2:3], off
	v_mbcnt_lo_u32_b32 v2, -1, 0
	v_add_co_ci_u32_e64 v3, null, s17, 0, s0
	v_lshlrev_b32_e32 v8, 3, v2
	v_add_co_u32 v2, vcc_lo, v0, v8
	v_add_co_ci_u32_e64 v3, null, 0, v3, vcc_lo
	v_mov_b32_e32 v0, 0
	s_waitcnt vmcnt(0)
	v_cmp_lt_u32_e64 s0, v8, v10
	s_and_saveexec_b32 s1, s0
	s_cbranch_execz .LBB131_2
; %bb.1:
	global_load_ubyte v6, v[2:3], off
	v_mov_b32_e32 v7, 0
	v_mov_b32_e32 v13, 0
	;; [unrolled: 1-line block ×5, first 2 shown]
.LBB131_2:
	s_or_b32 exec_lo, exec_lo, s1
	v_or_b32_e32 v5, 1, v8
	v_mov_b32_e32 v15, v1
	v_cmp_lt_u32_e64 s1, v5, v10
	s_and_saveexec_b32 s2, s1
	s_cbranch_execz .LBB131_4
; %bb.3:
	global_load_ubyte v15, v[2:3], off offset:1
.LBB131_4:
	s_or_b32 exec_lo, exec_lo, s2
	v_or_b32_e32 v14, 2, v8
	v_cmp_lt_u32_e64 s2, v14, v10
	s_and_saveexec_b32 s3, s2
	s_cbranch_execz .LBB131_6
; %bb.5:
	global_load_ubyte v1, v[2:3], off offset:2
.LBB131_6:
	s_or_b32 exec_lo, exec_lo, s3
	v_or_b32_e32 v16, 3, v8
	;; [unrolled: 8-line block ×6, first 2 shown]
	v_cmp_lt_u32_e64 s7, v20, v10
	s_and_saveexec_b32 s8, s7
	s_cbranch_execz .LBB131_16
; %bb.15:
	global_load_ubyte v0, v[2:3], off offset:7
.LBB131_16:
	s_or_b32 exec_lo, exec_lo, s8
	s_waitcnt vmcnt(0)
	v_add_nc_u16 v2, v6, 1
	v_mov_b32_e32 v3, 0xffff
	v_add_nc_u16 v21, v13, 1
	v_perm_b32 v13, v13, v12, 0xc0c0004
	v_lshlrev_b16 v22, 8, v15
	v_lshlrev_b16 v12, 8, v12
	v_and_b32_sdwa v2, v3, v2 dst_sel:DWORD dst_unused:UNUSED_PAD src0_sel:DWORD src1_sel:BYTE_0
	v_perm_b32 v3, v21, 0, 0x3020104
	v_perm_b32 v21, v4, v0, 0xc0c0004
	;; [unrolled: 1-line block ×4, first 2 shown]
	v_cndmask_b32_e64 v2, 0, v2, s0
	v_cndmask_b32_e64 v3, 0, v3, s4
	v_or_b32_e32 v6, 0xffffff00, v6
	v_lshlrev_b32_e32 v23, 16, v23
	v_lshl_or_b32 v21, v21, 16, v13
	v_or_b32_e32 v22, v22, v2
	v_or_b32_sdwa v12, v12, v3 dst_sel:DWORD dst_unused:UNUSED_PAD src0_sel:DWORD src1_sel:BYTE_0
	v_or_b32_e32 v13, 0xff, v13
	v_or_b32_e32 v15, v15, v23
	v_or_b32_sdwa v6, v6, v23 dst_sel:DWORD dst_unused:UNUSED_PAD src0_sel:WORD_0 src1_sel:DWORD
	v_add_nc_u16 v22, 0x100, v22
	v_add_nc_u16 v12, 0x100, v12
	v_and_b32_e32 v13, 0xffff, v13
	v_cmp_lt_i32_e32 vcc_lo, v5, v10
	v_add_nc_u16 v1, v1, 1
	v_and_b32_e32 v22, 0xffff, v22
	v_and_b32_e32 v12, 0xffff, v12
	v_mov_b32_e32 v24, 0xff
	v_cndmask_b32_e32 v5, v6, v15, vcc_lo
	v_and_or_b32 v6, 0xffff0000, v21, v13
	v_cndmask_b32_e64 v22, v2, v22, s1
	v_and_or_b32 v2, 0xffff0000, v3, v12
	v_cmp_lt_i32_e32 vcc_lo, v17, v10
	v_add_nc_u16 v4, v4, 1
	v_or_b32_sdwa v12, v5, v24 dst_sel:WORD_1 dst_unused:UNUSED_PAD src0_sel:WORD_1 src1_sel:DWORD
	v_perm_b32 v1, v1, v22, 0xc0c0304
	v_cndmask_b32_e64 v3, v3, v2, s5
	v_cndmask_b32_e32 v6, v6, v21, vcc_lo
	v_cmp_lt_i32_e64 s8, v14, v10
	v_and_or_b32 v5, 0xffff, v5, v12
	v_lshl_or_b32 v1, v1, 16, v22
	v_perm_b32 v4, v3, v4, 0x7000504
	v_or_b32_e32 v12, 0xffffff00, v6
	v_mov_b32_e32 v2, 0xffffff00
	v_lshlrev_b16 v7, 8, v7
	v_cndmask_b32_e64 v1, v22, v1, s2
	v_cndmask_b32_e64 v3, v3, v4, s6
	v_cndmask_b32_e64 v4, v5, v15, s8
	v_and_b32_e32 v5, 0xffff, v12
	v_lshlrev_b16 v0, 8, v0
	v_and_b32_sdwa v12, v1, v24 dst_sel:DWORD dst_unused:UNUSED_PAD src0_sel:WORD_1 src1_sel:DWORD
	v_and_b32_sdwa v13, v3, v24 dst_sel:DWORD dst_unused:UNUSED_PAD src0_sel:WORD_1 src1_sel:DWORD
	v_cmp_lt_i32_e64 s8, v18, v10
	v_and_or_b32 v5, 0xffff0000, v6, v5
	v_or_b32_sdwa v6, v4, v2 dst_sel:WORD_1 dst_unused:UNUSED_PAD src0_sel:WORD_1 src1_sel:DWORD
	v_or_b32_e32 v7, v7, v12
	v_or_b32_e32 v0, v0, v13
	v_cmp_lt_i32_e64 s9, v16, v10
	v_cndmask_b32_e64 v5, v5, v21, s8
	v_and_or_b32 v4, 0xffff, v4, v6
	v_add_nc_u16 v6, 0x100, v7
	v_add_nc_u16 v0, 0x100, v0
	v_or_b32_sdwa v7, v5, v24 dst_sel:WORD_1 dst_unused:UNUSED_PAD src0_sel:WORD_1 src1_sel:DWORD
	v_cndmask_b32_e64 v4, v4, v15, s9
	v_cmp_lt_i32_e64 s9, v19, v10
	v_lshlrev_b32_e32 v6, 16, v6
	v_lshlrev_b32_e32 v0, 16, v0
	v_and_or_b32 v5, 0xffff, v5, v7
	v_cndmask_b32_e32 v4, v4, v15, vcc_lo
	s_or_b32 vcc_lo, s9, s8
	v_and_or_b32 v6, 0xffff, v1, v6
	v_and_or_b32 v7, 0xffff, v3, v0
	v_cndmask_b32_e64 v5, v5, v21, s9
	v_cndmask_b32_e32 v4, v4, v15, vcc_lo
	v_cmp_lt_i32_e64 s8, v20, v10
	v_cndmask_b32_e64 v0, v1, v6, s3
	v_cndmask_b32_e64 v1, v3, v7, s7
	v_lshrrev_b32_e32 v14, 24, v5
	v_lshrrev_b64 v[6:7], 24, v[4:5]
	v_lshrrev_b32_e32 v12, 16, v5
	v_lshrrev_b32_e32 v13, 8, v5
	;; [unrolled: 1-line block ×4, first 2 shown]
	s_mov_b32 s9, exec_lo
                                        ; implicit-def: $vgpr3
	v_cmpx_ge_i32_e64 v20, v10
	s_cbranch_execz .LBB131_18
; %bb.17:
	v_lshrrev_b32_e32 v13, 8, v5
	v_lshrrev_b32_e32 v12, 16, v5
	;; [unrolled: 1-line block ×3, first 2 shown]
	v_cmp_lt_i32_e32 vcc_lo, v8, v10
	v_lshrrev_b32_e32 v7, 8, v4
	v_lshlrev_b16 v3, 8, v13
	v_or_b32_sdwa v14, v12, v2 dst_sel:WORD_1 dst_unused:UNUSED_PAD src0_sel:DWORD src1_sel:DWORD
	v_perm_b32 v2, v4, v15, 0x7000504
	s_andn2_b32 s8, s8, exec_lo
	s_and_b32 s10, vcc_lo, exec_lo
	v_or_b32_sdwa v3, v5, v3 dst_sel:DWORD dst_unused:UNUSED_PAD src0_sel:BYTE_0 src1_sel:DWORD
	s_or_b32 s8, s8, s10
	v_or_b32_sdwa v3, v3, v14 dst_sel:DWORD dst_unused:UNUSED_PAD src0_sel:WORD_0 src1_sel:DWORD
	v_mov_b32_e32 v14, 0xff
.LBB131_18:
	s_or_b32 exec_lo, exec_lo, s9
	s_and_saveexec_b32 s9, s8
	s_cbranch_execz .LBB131_22
; %bb.19:
	v_perm_b32 v2, v15, v6, 0xc0c0004
	v_perm_b32 v3, 0, v0, 0xc0c0001
	;; [unrolled: 1-line block ×4, first 2 shown]
	v_cmp_lt_u16_sdwa vcc_lo, v7, v4 src0_sel:BYTE_0 src1_sel:BYTE_0
	v_lshlrev_b32_e32 v2, 16, v2
	v_and_or_b32 v3, 0xffff0000, v0, v3
	v_perm_b32 v4, v12, v14, 0xc0c0004
	v_perm_b32 v12, v1, v1, 0x7060405
	v_or_b32_e32 v6, v6, v2
	v_or_b32_e32 v2, v15, v2
	v_cndmask_b32_e32 v0, v0, v3, vcc_lo
	v_perm_b32 v3, v5, v13, 0xc0c0004
	v_cndmask_b32_e32 v2, v2, v6, vcc_lo
	v_lshrrev_b32_e32 v5, 16, v0
	v_lshl_or_b32 v3, v4, 16, v3
	v_lshrrev_b32_e32 v6, 16, v2
	v_perm_b32 v4, 0, v5, 0xc0c0001
	v_lshrrev_b32_e32 v7, 8, v3
	v_perm_b32 v13, v3, v3, 0x7060405
	v_perm_b32 v5, 0, v6, 0xc0c0001
	v_lshlrev_b32_e32 v4, 16, v4
	v_cmp_lt_u16_sdwa vcc_lo, v7, v3 src0_sel:BYTE_0 src1_sel:BYTE_0
	v_cmp_lt_u16_sdwa s8, v2, v6 src0_sel:BYTE_3 src1_sel:BYTE_0
	v_mov_b32_e32 v6, 0xff
	v_lshlrev_b32_e32 v5, 16, v5
	v_and_or_b32 v4, 0xffff, v0, v4
	v_cndmask_b32_e32 v3, v3, v13, vcc_lo
	v_cndmask_b32_e32 v1, v1, v12, vcc_lo
	v_and_or_b32 v5, 0xffff, v2, v5
	v_cndmask_b32_e64 v0, v0, v4, s8
	v_and_b32_sdwa v4, v3, v6 dst_sel:DWORD dst_unused:UNUSED_PAD src0_sel:WORD_1 src1_sel:DWORD
	v_perm_b32 v13, v3, v3, 0x6070504
	v_cndmask_b32_e64 v2, v2, v5, s8
	v_perm_b32 v5, v1, v1, 0x6070504
	v_cmp_lt_u16_sdwa vcc_lo, v3, v4 src0_sel:BYTE_3 src1_sel:DWORD
	v_perm_b32 v4, v0, v0, 0x7050604
	v_and_b32_sdwa v7, v2, v6 dst_sel:DWORD dst_unused:UNUSED_PAD src0_sel:WORD_1 src1_sel:DWORD
	v_lshrrev_b32_e32 v12, 8, v2
	v_perm_b32 v14, v2, v2, 0x7050604
	v_cndmask_b32_e32 v3, v3, v13, vcc_lo
	v_cndmask_b32_e32 v1, v1, v5, vcc_lo
	v_cmp_lt_u16_sdwa s8, v7, v12 src0_sel:DWORD src1_sel:BYTE_0
	v_lshlrev_b16 v5, 8, v3
	v_cndmask_b32_e64 v2, v2, v14, s8
	v_cndmask_b32_e64 v0, v0, v4, s8
	v_lshlrev_b16 v4, 8, v1
	v_and_b32_sdwa v12, v2, v6 dst_sel:DWORD dst_unused:UNUSED_PAD src0_sel:WORD_1 src1_sel:DWORD
	v_and_b32_sdwa v7, v0, v6 dst_sel:DWORD dst_unused:UNUSED_PAD src0_sel:WORD_1 src1_sel:DWORD
	v_cmp_lt_u16_sdwa vcc_lo, v3, v2 src0_sel:BYTE_0 src1_sel:BYTE_3
	v_or_b32_sdwa v5, v12, v5 dst_sel:WORD_1 dst_unused:UNUSED_PAD src0_sel:DWORD src1_sel:DWORD
	v_or_b32_sdwa v4, v7, v4 dst_sel:WORD_1 dst_unused:UNUSED_PAD src0_sel:DWORD src1_sel:DWORD
	v_and_or_b32 v5, 0xffff, v2, v5
	v_and_or_b32 v4, 0xffff, v0, v4
	v_cndmask_b32_e32 v5, v2, v5, vcc_lo
	v_cndmask_b32_e32 v4, v0, v4, vcc_lo
	v_perm_b32 v2, v2, v3, 0x3020107
	v_perm_b32 v0, v0, v1, 0x3020107
	;; [unrolled: 1-line block ×3, first 2 shown]
	v_lshrrev_b32_e32 v13, 8, v5
	v_perm_b32 v7, 0, v4, 0xc0c0001
	v_cndmask_b32_e32 v2, v3, v2, vcc_lo
	v_cndmask_b32_e32 v0, v1, v0, vcc_lo
	v_and_or_b32 v3, 0xffff0000, v5, v12
	v_cmp_lt_u16_sdwa vcc_lo, v13, v5 src0_sel:BYTE_0 src1_sel:BYTE_0
	v_and_or_b32 v1, 0xffff0000, v4, v7
	v_and_b32_sdwa v7, v2, v6 dst_sel:DWORD dst_unused:UNUSED_PAD src0_sel:WORD_1 src1_sel:DWORD
	v_lshrrev_b32_e32 v12, 8, v2
	v_cndmask_b32_e32 v3, v5, v3, vcc_lo
	v_cndmask_b32_e32 v1, v4, v1, vcc_lo
	v_perm_b32 v4, v2, v2, 0x7050604
	v_perm_b32 v5, v0, v0, 0x7050604
	v_cmp_lt_u16_sdwa vcc_lo, v7, v12 src0_sel:DWORD src1_sel:BYTE_0
	v_lshrrev_b32_e32 v12, 16, v3
	v_lshrrev_b32_e32 v7, 16, v1
	v_cndmask_b32_e32 v0, v0, v5, vcc_lo
	v_cndmask_b32_e32 v2, v2, v4, vcc_lo
	v_perm_b32 v5, 0, v12, 0xc0c0001
	v_perm_b32 v4, 0, v7, 0xc0c0001
	v_cmp_lt_u16_sdwa s8, v3, v12 src0_sel:BYTE_3 src1_sel:BYTE_0
	v_perm_b32 v13, v0, v0, 0x7060405
	v_lshrrev_b32_e32 v7, 8, v2
	v_lshlrev_b32_e32 v5, 16, v5
	v_lshlrev_b32_e32 v4, 16, v4
	v_perm_b32 v14, v2, v2, 0x7060405
	v_cmp_lt_u16_sdwa vcc_lo, v7, v2 src0_sel:BYTE_0 src1_sel:BYTE_0
	v_and_or_b32 v5, 0xffff, v3, v5
	v_and_or_b32 v4, 0xffff, v1, v4
	v_cndmask_b32_e32 v2, v2, v14, vcc_lo
	v_cndmask_b32_e64 v3, v3, v5, s8
	v_cndmask_b32_e64 v1, v1, v4, s8
	v_cndmask_b32_e32 v0, v0, v13, vcc_lo
	v_and_b32_sdwa v4, v2, v6 dst_sel:DWORD dst_unused:UNUSED_PAD src0_sel:WORD_1 src1_sel:DWORD
	v_and_b32_sdwa v7, v3, v6 dst_sel:DWORD dst_unused:UNUSED_PAD src0_sel:WORD_1 src1_sel:DWORD
	v_lshrrev_b32_e32 v12, 8, v3
	v_perm_b32 v13, v2, v2, 0x6070504
	v_perm_b32 v14, v3, v3, 0x7050604
	v_cmp_lt_u16_sdwa vcc_lo, v2, v4 src0_sel:BYTE_3 src1_sel:DWORD
	v_perm_b32 v5, v0, v0, 0x6070504
	v_cmp_lt_u16_sdwa s8, v7, v12 src0_sel:DWORD src1_sel:BYTE_0
	v_perm_b32 v4, v1, v1, 0x7050604
	v_cndmask_b32_e32 v2, v2, v13, vcc_lo
	v_cndmask_b32_e32 v0, v0, v5, vcc_lo
	v_cndmask_b32_e64 v3, v3, v14, s8
	v_cndmask_b32_e64 v1, v1, v4, s8
	v_lshlrev_b16 v5, 8, v2
	v_lshlrev_b16 v4, 8, v0
	v_and_b32_sdwa v12, v3, v6 dst_sel:DWORD dst_unused:UNUSED_PAD src0_sel:WORD_1 src1_sel:DWORD
	v_and_b32_sdwa v7, v1, v6 dst_sel:DWORD dst_unused:UNUSED_PAD src0_sel:WORD_1 src1_sel:DWORD
	v_cmp_lt_u16_sdwa vcc_lo, v2, v3 src0_sel:BYTE_0 src1_sel:BYTE_3
	v_or_b32_sdwa v5, v12, v5 dst_sel:WORD_1 dst_unused:UNUSED_PAD src0_sel:DWORD src1_sel:DWORD
	v_or_b32_sdwa v4, v7, v4 dst_sel:WORD_1 dst_unused:UNUSED_PAD src0_sel:DWORD src1_sel:DWORD
	v_and_or_b32 v5, 0xffff, v3, v5
	v_and_or_b32 v4, 0xffff, v1, v4
	v_cndmask_b32_e32 v5, v3, v5, vcc_lo
	v_cndmask_b32_e32 v4, v1, v4, vcc_lo
	v_perm_b32 v3, v3, v2, 0x3020107
	v_perm_b32 v1, v1, v0, 0x3020107
	v_perm_b32 v12, 0, v5, 0xc0c0001
	v_lshrrev_b32_e32 v13, 8, v5
	v_perm_b32 v7, 0, v4, 0xc0c0001
	v_cndmask_b32_e32 v2, v2, v3, vcc_lo
	v_cndmask_b32_e32 v0, v0, v1, vcc_lo
	v_and_or_b32 v3, 0xffff0000, v5, v12
	v_cmp_lt_u16_sdwa vcc_lo, v13, v5 src0_sel:BYTE_0 src1_sel:BYTE_0
	v_and_or_b32 v1, 0xffff0000, v4, v7
	v_and_b32_sdwa v7, v2, v6 dst_sel:DWORD dst_unused:UNUSED_PAD src0_sel:WORD_1 src1_sel:DWORD
	v_lshrrev_b32_e32 v12, 8, v2
	v_cndmask_b32_e32 v3, v5, v3, vcc_lo
	v_cndmask_b32_e32 v1, v4, v1, vcc_lo
	v_perm_b32 v4, v2, v2, 0x7050604
	v_perm_b32 v5, v0, v0, 0x7050604
	v_cmp_lt_u16_sdwa vcc_lo, v7, v12 src0_sel:DWORD src1_sel:BYTE_0
	v_lshrrev_b32_e32 v12, 16, v3
	v_lshrrev_b32_e32 v7, 16, v1
	v_cndmask_b32_e32 v0, v0, v5, vcc_lo
	v_cndmask_b32_e32 v2, v2, v4, vcc_lo
	v_perm_b32 v5, 0, v12, 0xc0c0001
	v_perm_b32 v4, 0, v7, 0xc0c0001
	v_cmp_lt_u16_sdwa s8, v3, v12 src0_sel:BYTE_3 src1_sel:BYTE_0
	v_perm_b32 v13, v0, v0, 0x7060405
	v_lshrrev_b32_e32 v7, 8, v2
	v_lshlrev_b32_e32 v5, 16, v5
	v_lshlrev_b32_e32 v4, 16, v4
	v_perm_b32 v14, v2, v2, 0x7060405
	v_cmp_lt_u16_sdwa vcc_lo, v7, v2 src0_sel:BYTE_0 src1_sel:BYTE_0
	v_and_or_b32 v5, 0xffff, v3, v5
	v_and_or_b32 v4, 0xffff, v1, v4
	v_cndmask_b32_e32 v2, v2, v14, vcc_lo
	v_cndmask_b32_e64 v3, v3, v5, s8
	v_cndmask_b32_e64 v1, v1, v4, s8
	v_cndmask_b32_e32 v0, v0, v13, vcc_lo
	v_and_b32_sdwa v4, v2, v6 dst_sel:DWORD dst_unused:UNUSED_PAD src0_sel:WORD_1 src1_sel:DWORD
	v_and_b32_sdwa v7, v3, v6 dst_sel:DWORD dst_unused:UNUSED_PAD src0_sel:WORD_1 src1_sel:DWORD
	v_lshrrev_b32_e32 v12, 8, v3
	v_perm_b32 v13, v2, v2, 0x6070504
	v_perm_b32 v14, v3, v3, 0x7050604
	v_cmp_lt_u16_sdwa vcc_lo, v2, v4 src0_sel:BYTE_3 src1_sel:DWORD
	v_perm_b32 v5, v0, v0, 0x6070504
	v_cmp_lt_u16_sdwa s8, v7, v12 src0_sel:DWORD src1_sel:BYTE_0
	v_perm_b32 v4, v1, v1, 0x7050604
	v_cndmask_b32_e32 v2, v2, v13, vcc_lo
	v_cndmask_b32_e32 v0, v0, v5, vcc_lo
	v_cndmask_b32_e64 v3, v3, v14, s8
	v_cndmask_b32_e64 v1, v1, v4, s8
	v_lshlrev_b16 v5, 8, v2
	v_lshlrev_b16 v4, 8, v0
	v_and_b32_sdwa v12, v3, v6 dst_sel:DWORD dst_unused:UNUSED_PAD src0_sel:WORD_1 src1_sel:DWORD
	v_and_b32_sdwa v7, v1, v6 dst_sel:DWORD dst_unused:UNUSED_PAD src0_sel:WORD_1 src1_sel:DWORD
	v_cmp_lt_u16_sdwa vcc_lo, v2, v3 src0_sel:BYTE_0 src1_sel:BYTE_3
	v_or_b32_sdwa v5, v12, v5 dst_sel:WORD_1 dst_unused:UNUSED_PAD src0_sel:DWORD src1_sel:DWORD
	v_or_b32_sdwa v4, v7, v4 dst_sel:WORD_1 dst_unused:UNUSED_PAD src0_sel:DWORD src1_sel:DWORD
	v_and_or_b32 v5, 0xffff, v3, v5
	v_and_or_b32 v4, 0xffff, v1, v4
	v_cndmask_b32_e32 v5, v3, v5, vcc_lo
	v_cndmask_b32_e32 v4, v1, v4, vcc_lo
	v_perm_b32 v3, v3, v2, 0x3020107
	v_perm_b32 v1, v1, v0, 0x3020107
	;; [unrolled: 1-line block ×3, first 2 shown]
	v_lshrrev_b32_e32 v13, 8, v5
	v_perm_b32 v7, 0, v4, 0xc0c0001
	v_cndmask_b32_e32 v2, v2, v3, vcc_lo
	v_cndmask_b32_e32 v0, v0, v1, vcc_lo
	v_and_or_b32 v3, 0xffff0000, v5, v12
	v_cmp_lt_u16_sdwa vcc_lo, v13, v5 src0_sel:BYTE_0 src1_sel:BYTE_0
	v_and_or_b32 v1, 0xffff0000, v4, v7
	v_and_b32_sdwa v7, v2, v6 dst_sel:DWORD dst_unused:UNUSED_PAD src0_sel:WORD_1 src1_sel:DWORD
	v_lshrrev_b32_e32 v12, 8, v2
	v_cndmask_b32_e32 v3, v5, v3, vcc_lo
	v_cndmask_b32_e32 v1, v4, v1, vcc_lo
	v_perm_b32 v4, v2, v2, 0x7050604
	v_perm_b32 v5, v0, v0, 0x7050604
	v_cmp_lt_u16_sdwa vcc_lo, v7, v12 src0_sel:DWORD src1_sel:BYTE_0
	v_lshrrev_b32_e32 v12, 16, v3
	v_lshrrev_b32_e32 v7, 16, v1
	v_cndmask_b32_e32 v0, v0, v5, vcc_lo
	v_cndmask_b32_e32 v2, v2, v4, vcc_lo
	v_perm_b32 v5, 0, v12, 0xc0c0001
	v_perm_b32 v4, 0, v7, 0xc0c0001
	v_cmp_lt_u16_sdwa s8, v3, v12 src0_sel:BYTE_3 src1_sel:BYTE_0
	v_perm_b32 v13, v0, v0, 0x7060405
	v_lshrrev_b32_e32 v7, 8, v2
	v_lshlrev_b32_e32 v5, 16, v5
	v_lshlrev_b32_e32 v4, 16, v4
	v_perm_b32 v14, v2, v2, 0x7060405
	v_cmp_lt_u16_sdwa vcc_lo, v7, v2 src0_sel:BYTE_0 src1_sel:BYTE_0
	v_and_or_b32 v5, 0xffff, v3, v5
	v_and_or_b32 v4, 0xffff, v1, v4
	v_cndmask_b32_e32 v2, v2, v14, vcc_lo
	v_cndmask_b32_e64 v3, v3, v5, s8
	v_cndmask_b32_e32 v0, v0, v13, vcc_lo
	v_cndmask_b32_e64 v1, v1, v4, s8
	v_and_b32_sdwa v5, v2, v6 dst_sel:DWORD dst_unused:UNUSED_PAD src0_sel:WORD_1 src1_sel:DWORD
	v_and_b32_sdwa v7, v3, v6 dst_sel:DWORD dst_unused:UNUSED_PAD src0_sel:WORD_1 src1_sel:DWORD
	v_lshrrev_b32_e32 v12, 8, v3
	v_perm_b32 v4, v0, v0, 0x6070504
	v_perm_b32 v13, v1, v1, 0x7050604
	v_cmp_lt_u16_sdwa vcc_lo, v2, v5 src0_sel:BYTE_3 src1_sel:DWORD
	v_perm_b32 v5, v3, v3, 0x7050604
	v_cmp_lt_u16_sdwa s8, v7, v12 src0_sel:DWORD src1_sel:BYTE_0
	v_cndmask_b32_e32 v0, v0, v4, vcc_lo
	v_perm_b32 v4, v2, v2, 0x6070504
	v_cndmask_b32_e64 v1, v1, v13, s8
	v_cndmask_b32_e64 v5, v3, v5, s8
	v_lshlrev_b16 v7, 8, v0
	v_cndmask_b32_e32 v2, v2, v4, vcc_lo
	v_and_b32_sdwa v12, v1, v6 dst_sel:DWORD dst_unused:UNUSED_PAD src0_sel:WORD_1 src1_sel:DWORD
	v_lshlrev_b16 v4, 8, v2
	v_or_b32_sdwa v3, v12, v7 dst_sel:WORD_1 dst_unused:UNUSED_PAD src0_sel:DWORD src1_sel:DWORD
	v_and_b32_sdwa v7, v5, v6 dst_sel:DWORD dst_unused:UNUSED_PAD src0_sel:WORD_1 src1_sel:DWORD
	v_perm_b32 v12, v5, v2, 0x3020107
	v_cmp_lt_u16_sdwa vcc_lo, v2, v5 src0_sel:BYTE_0 src1_sel:BYTE_3
	v_and_or_b32 v3, 0xffff, v1, v3
	v_or_b32_sdwa v7, v7, v4 dst_sel:WORD_1 dst_unused:UNUSED_PAD src0_sel:DWORD src1_sel:DWORD
	v_cndmask_b32_e32 v4, v1, v3, vcc_lo
	v_cndmask_b32_e32 v3, v2, v12, vcc_lo
	v_and_or_b32 v2, 0xffff, v5, v7
	v_perm_b32 v1, v1, v0, 0x3020107
	v_and_b32_sdwa v6, v3, v6 dst_sel:DWORD dst_unused:UNUSED_PAD src0_sel:WORD_1 src1_sel:DWORD
	v_lshrrev_b32_e32 v7, 8, v3
	v_cndmask_b32_e32 v5, v5, v2, vcc_lo
	v_cndmask_b32_e32 v1, v0, v1, vcc_lo
	v_perm_b32 v0, v4, v4, 0x3020104
	v_cmp_lt_u16_sdwa s10, v6, v7 src0_sel:DWORD src1_sel:BYTE_0
	v_perm_b32 v2, v5, v5, 0x3020104
	s_and_saveexec_b32 s8, s10
; %bb.20:
	v_perm_b32 v1, v1, v1, 0x7050604
	v_perm_b32 v3, v3, v3, 0x7050604
	;; [unrolled: 1-line block ×4, first 2 shown]
; %bb.21:
	s_or_b32 exec_lo, exec_lo, s8
.LBB131_22:
	s_or_b32 exec_lo, exec_lo, s9
	v_and_b32_e32 v4, 0xf0, v8
	v_and_b32_e32 v12, 8, v8
	v_mad_u32_u24 v15, 0x101, v11, v8
	s_mov_b32 s9, 0
	s_mov_b32 s8, exec_lo
	v_min_i32_e32 v7, v10, v4
	v_min_i32_e32 v12, v10, v12
	; wave barrier
	ds_write_b64 v15, v[2:3]
	v_add_nc_u32_e32 v4, 8, v7
	; wave barrier
	v_min_i32_e32 v6, v10, v4
	v_add_nc_u32_e32 v4, 8, v6
	v_sub_nc_u32_e32 v14, v6, v7
	v_min_i32_e32 v5, v10, v4
	v_min_i32_e32 v14, v12, v14
	v_sub_nc_u32_e32 v4, v5, v6
	v_sub_nc_u32_e32 v13, v12, v4
	v_cmp_ge_i32_e32 vcc_lo, v12, v4
	v_mul_u32_u24_e32 v4, 0x101, v11
	v_cndmask_b32_e32 v13, 0, v13, vcc_lo
	v_cmpx_lt_i32_e64 v13, v14
	s_cbranch_execz .LBB131_26
; %bb.23:
	v_add_nc_u32_e32 v2, v4, v7
	v_add3_u32 v3, v4, v6, v12
	.p2align	6
.LBB131_24:                             ; =>This Inner Loop Header: Depth=1
	v_sub_nc_u32_e32 v11, v14, v13
	v_lshrrev_b32_e32 v11, 1, v11
	v_add_nc_u32_e32 v11, v11, v13
	v_add_nc_u32_e32 v15, v2, v11
	v_xad_u32 v16, v11, -1, v3
	v_add_nc_u32_e32 v17, 1, v11
	ds_read_u8 v15, v15
	ds_read_u8 v16, v16
	s_waitcnt lgkmcnt(0)
	v_cmp_lt_u16_e32 vcc_lo, v16, v15
	v_cndmask_b32_e32 v14, v14, v11, vcc_lo
	v_cndmask_b32_e32 v13, v17, v13, vcc_lo
	v_cmp_ge_i32_e32 vcc_lo, v13, v14
	s_or_b32 s9, vcc_lo, s9
	s_andn2_b32 exec_lo, exec_lo, s9
	s_cbranch_execnz .LBB131_24
; %bb.25:
	s_or_b32 exec_lo, exec_lo, s9
.LBB131_26:
	s_or_b32 exec_lo, exec_lo, s8
	v_add_nc_u32_e32 v3, v6, v12
	v_add_nc_u32_e32 v2, v13, v7
                                        ; implicit-def: $vgpr12
	v_sub_nc_u32_e32 v3, v3, v13
	v_add_nc_u32_e32 v13, v4, v2
	v_cmp_le_i32_e32 vcc_lo, v6, v2
	v_add_nc_u32_e32 v14, v4, v3
	v_cmp_gt_i32_e64 s8, v5, v3
	ds_read_u8 v7, v13
	ds_read_u8 v11, v14
	s_waitcnt lgkmcnt(0)
	v_cmp_lt_u16_sdwa s9, v11, v7 src0_sel:BYTE_0 src1_sel:BYTE_0
	s_or_b32 s9, vcc_lo, s9
	s_and_b32 s8, s8, s9
	s_xor_b32 s9, s8, -1
	s_and_saveexec_b32 s10, s9
	s_xor_b32 s9, exec_lo, s10
; %bb.27:
	ds_read_u8 v12, v13 offset:1
                                        ; implicit-def: $vgpr14
; %bb.28:
	s_or_saveexec_b32 s9, s9
	v_mov_b32_e32 v13, v11
	s_xor_b32 exec_lo, exec_lo, s9
	s_cbranch_execz .LBB131_30
; %bb.29:
	ds_read_u8 v13, v14 offset:1
	s_waitcnt lgkmcnt(1)
	v_mov_b32_e32 v12, v7
.LBB131_30:
	s_or_b32 exec_lo, exec_lo, s9
	v_add_nc_u32_e32 v14, 1, v2
	v_add_nc_u32_e32 v15, 1, v3
	s_waitcnt lgkmcnt(0)
	v_cmp_lt_u16_sdwa s10, v13, v12 src0_sel:BYTE_0 src1_sel:BYTE_0
                                        ; implicit-def: $vgpr16
	v_cndmask_b32_e64 v14, v14, v2, s8
	v_cndmask_b32_e64 v15, v3, v15, s8
	v_cmp_ge_i32_e32 vcc_lo, v14, v6
	v_cmp_lt_i32_e64 s9, v15, v5
	s_or_b32 s10, vcc_lo, s10
	s_and_b32 s9, s9, s10
	s_xor_b32 s10, s9, -1
	s_and_saveexec_b32 s11, s10
	s_xor_b32 s10, exec_lo, s11
; %bb.31:
	v_add_nc_u32_e32 v16, v4, v14
	ds_read_u8 v16, v16 offset:1
; %bb.32:
	s_or_saveexec_b32 s10, s10
	v_mov_b32_e32 v17, v13
	s_xor_b32 exec_lo, exec_lo, s10
	s_cbranch_execz .LBB131_34
; %bb.33:
	s_waitcnt lgkmcnt(0)
	v_add_nc_u32_e32 v16, v4, v15
	ds_read_u8 v17, v16 offset:1
	v_mov_b32_e32 v16, v12
.LBB131_34:
	s_or_b32 exec_lo, exec_lo, s10
	v_add_nc_u32_e32 v18, 1, v14
	v_add_nc_u32_e32 v19, 1, v15
	s_waitcnt lgkmcnt(0)
	v_cmp_lt_u16_sdwa s11, v17, v16 src0_sel:BYTE_0 src1_sel:BYTE_0
                                        ; implicit-def: $vgpr20
	v_cndmask_b32_e64 v18, v18, v14, s9
	v_cndmask_b32_e64 v19, v15, v19, s9
	v_cmp_ge_i32_e32 vcc_lo, v18, v6
	v_cmp_lt_i32_e64 s10, v19, v5
	s_or_b32 s11, vcc_lo, s11
	s_and_b32 s10, s10, s11
	s_xor_b32 s11, s10, -1
	s_and_saveexec_b32 s12, s11
	s_xor_b32 s11, exec_lo, s12
; %bb.35:
	v_add_nc_u32_e32 v20, v4, v18
	ds_read_u8 v20, v20 offset:1
; %bb.36:
	s_or_saveexec_b32 s11, s11
	v_mov_b32_e32 v21, v17
	s_xor_b32 exec_lo, exec_lo, s11
	s_cbranch_execz .LBB131_38
; %bb.37:
	s_waitcnt lgkmcnt(0)
	v_add_nc_u32_e32 v20, v4, v19
	ds_read_u8 v21, v20 offset:1
	v_mov_b32_e32 v20, v16
.LBB131_38:
	s_or_b32 exec_lo, exec_lo, s11
	v_add_nc_u32_e32 v22, 1, v18
	v_add_nc_u32_e32 v23, 1, v19
	s_waitcnt lgkmcnt(0)
	v_cmp_lt_u16_sdwa s12, v21, v20 src0_sel:BYTE_0 src1_sel:BYTE_0
                                        ; implicit-def: $vgpr24
	v_cndmask_b32_e64 v22, v22, v18, s10
	v_cndmask_b32_e64 v23, v19, v23, s10
	v_cmp_ge_i32_e32 vcc_lo, v22, v6
	v_cmp_lt_i32_e64 s11, v23, v5
	s_or_b32 s12, vcc_lo, s12
	s_and_b32 s11, s11, s12
	s_xor_b32 s12, s11, -1
	s_and_saveexec_b32 s13, s12
	s_xor_b32 s12, exec_lo, s13
; %bb.39:
	v_add_nc_u32_e32 v24, v4, v22
	ds_read_u8 v24, v24 offset:1
; %bb.40:
	s_or_saveexec_b32 s12, s12
	v_mov_b32_e32 v25, v21
	s_xor_b32 exec_lo, exec_lo, s12
	s_cbranch_execz .LBB131_42
; %bb.41:
	s_waitcnt lgkmcnt(0)
	v_add_nc_u32_e32 v24, v4, v23
	ds_read_u8 v25, v24 offset:1
	v_mov_b32_e32 v24, v20
.LBB131_42:
	s_or_b32 exec_lo, exec_lo, s12
	v_add_nc_u32_e32 v26, 1, v22
	v_add_nc_u32_e32 v27, 1, v23
	s_waitcnt lgkmcnt(0)
	v_cmp_lt_u16_sdwa s13, v25, v24 src0_sel:BYTE_0 src1_sel:BYTE_0
                                        ; implicit-def: $vgpr28
	v_cndmask_b32_e64 v26, v26, v22, s11
	v_cndmask_b32_e64 v27, v23, v27, s11
	v_cmp_ge_i32_e32 vcc_lo, v26, v6
	v_cmp_lt_i32_e64 s12, v27, v5
	s_or_b32 s13, vcc_lo, s13
	s_and_b32 s12, s12, s13
	s_xor_b32 s13, s12, -1
	s_and_saveexec_b32 s14, s13
	s_xor_b32 s13, exec_lo, s14
; %bb.43:
	v_add_nc_u32_e32 v28, v4, v26
	ds_read_u8 v28, v28 offset:1
; %bb.44:
	s_or_saveexec_b32 s13, s13
	v_mov_b32_e32 v29, v25
	s_xor_b32 exec_lo, exec_lo, s13
	s_cbranch_execz .LBB131_46
; %bb.45:
	s_waitcnt lgkmcnt(0)
	v_add_nc_u32_e32 v28, v4, v27
	ds_read_u8 v29, v28 offset:1
	v_mov_b32_e32 v28, v24
.LBB131_46:
	s_or_b32 exec_lo, exec_lo, s13
	v_add_nc_u32_e32 v30, 1, v26
	v_add_nc_u32_e32 v32, 1, v27
	s_waitcnt lgkmcnt(0)
	v_cmp_lt_u16_sdwa s14, v29, v28 src0_sel:BYTE_0 src1_sel:BYTE_0
                                        ; implicit-def: $vgpr34
	v_cndmask_b32_e64 v31, v30, v26, s12
	v_cndmask_b32_e64 v32, v27, v32, s12
	v_cmp_ge_i32_e32 vcc_lo, v31, v6
	v_cmp_lt_i32_e64 s13, v32, v5
	s_or_b32 s14, vcc_lo, s14
	s_and_b32 vcc_lo, s13, s14
	s_xor_b32 s13, vcc_lo, -1
	s_and_saveexec_b32 s14, s13
	s_xor_b32 s13, exec_lo, s14
; %bb.47:
	v_add_nc_u32_e32 v30, v4, v31
	ds_read_u8 v34, v30 offset:1
; %bb.48:
	s_or_saveexec_b32 s13, s13
	v_mov_b32_e32 v35, v29
	s_xor_b32 exec_lo, exec_lo, s13
	s_cbranch_execz .LBB131_50
; %bb.49:
	v_add_nc_u32_e32 v30, v4, v32
	s_waitcnt lgkmcnt(0)
	v_mov_b32_e32 v34, v28
	ds_read_u8 v35, v30 offset:1
.LBB131_50:
	s_or_b32 exec_lo, exec_lo, s13
	v_add_nc_u32_e32 v30, 1, v31
	v_add_nc_u32_e32 v33, 1, v32
	s_waitcnt lgkmcnt(0)
	v_cmp_lt_u16_sdwa s15, v35, v34 src0_sel:BYTE_0 src1_sel:BYTE_0
	v_cndmask_b32_e32 v36, v30, v31, vcc_lo
	v_cndmask_b32_e32 v37, v32, v33, vcc_lo
                                        ; implicit-def: $vgpr30
	v_cmp_ge_i32_e64 s13, v36, v6
	v_cmp_lt_i32_e64 s14, v37, v5
	s_or_b32 s13, s13, s15
	s_and_b32 s13, s14, s13
	s_xor_b32 s14, s13, -1
	s_and_saveexec_b32 s15, s14
	s_xor_b32 s14, exec_lo, s15
; %bb.51:
	v_add_nc_u32_e32 v30, v4, v36
	ds_read_u8 v30, v30 offset:1
; %bb.52:
	s_or_saveexec_b32 s14, s14
	v_mov_b32_e32 v33, v35
	s_xor_b32 exec_lo, exec_lo, s14
	s_cbranch_execz .LBB131_54
; %bb.53:
	s_waitcnt lgkmcnt(0)
	v_add_nc_u32_e32 v30, v4, v37
	ds_read_u8 v33, v30 offset:1
	v_mov_b32_e32 v30, v34
.LBB131_54:
	s_or_b32 exec_lo, exec_lo, s14
	v_add_nc_u32_e32 v38, 1, v37
	v_add_nc_u32_e32 v39, 1, v36
	v_cndmask_b32_e64 v34, v34, v35, s13
	v_cndmask_b32_sdwa v28, v28, v29, vcc_lo dst_sel:BYTE_1 dst_unused:UNUSED_PAD src0_sel:DWORD src1_sel:DWORD
	v_cndmask_b32_e32 v29, v31, v32, vcc_lo
	v_cndmask_b32_e64 v35, v37, v38, s13
	v_cndmask_b32_e64 v38, v39, v36, s13
	;; [unrolled: 1-line block ×4, first 2 shown]
	v_add_nc_u32_e32 v2, v4, v8
	v_cmp_ge_i32_e32 vcc_lo, v38, v6
	v_cndmask_b32_e64 v6, v14, v15, s9
	v_cmp_lt_i32_e64 s9, v35, v5
	v_and_b32_e32 v5, 0xe0, v8
	; wave barrier
	ds_write_b64 v2, v[0:1]
	v_cndmask_b32_e64 v17, v16, v17, s10
	v_cndmask_b32_e64 v16, v18, v19, s10
	v_min_i32_e32 v15, v10, v5
	s_waitcnt lgkmcnt(1)
	v_cmp_lt_u16_sdwa s10, v33, v30 src0_sel:BYTE_0 src1_sel:BYTE_0
	v_add_nc_u32_e32 v1, v4, v3
	v_add_nc_u32_e32 v3, v4, v6
	v_cndmask_b32_e64 v20, v20, v21, s11
	v_add_nc_u32_e32 v0, 16, v15
	s_or_b32 s10, vcc_lo, s10
	v_cndmask_b32_e64 v21, v22, v23, s11
	s_and_b32 vcc_lo, s9, s10
	v_cndmask_b32_e64 v24, v24, v25, s12
	v_min_i32_e32 v6, v10, v0
	v_cndmask_b32_e64 v25, v26, v27, s12
	v_cndmask_b32_e64 v36, v36, v37, s13
	v_cndmask_b32_e32 v5, v38, v35, vcc_lo
	v_cndmask_b32_e64 v18, v7, v11, s8
	v_add_nc_u32_e32 v0, 16, v6
	v_add_nc_u32_e32 v7, v4, v16
	;; [unrolled: 1-line block ×4, first 2 shown]
	; wave barrier
	v_add_nc_u32_e32 v16, v4, v29
	v_add_nc_u32_e32 v21, v4, v36
	;; [unrolled: 1-line block ×3, first 2 shown]
	v_lshlrev_b16 v23, 8, v12
	v_min_i32_e32 v14, v10, v0
	ds_read_u8 v0, v1
	ds_read_u8 v1, v3
	;; [unrolled: 1-line block ×8, first 2 shown]
	v_cndmask_b32_e32 v19, v30, v33, vcc_lo
	v_and_b32_e32 v25, 24, v8
	v_lshlrev_b16 v20, 8, v20
	v_sub_nc_u32_e32 v21, v14, v6
	v_or_b32_sdwa v18, v18, v23 dst_sel:DWORD dst_unused:UNUSED_PAD src0_sel:BYTE_0 src1_sel:DWORD
	v_lshlrev_b16 v19, 8, v19
	v_min_i32_e32 v16, v10, v25
	v_or_b32_sdwa v17, v17, v20 dst_sel:WORD_1 dst_unused:UNUSED_PAD src0_sel:BYTE_0 src1_sel:DWORD
	v_or_b32_sdwa v20, v24, v28 dst_sel:DWORD dst_unused:UNUSED_PAD src0_sel:BYTE_0 src1_sel:DWORD
	v_sub_nc_u32_e32 v23, v6, v15
	v_or_b32_sdwa v24, v34, v19 dst_sel:WORD_1 dst_unused:UNUSED_PAD src0_sel:BYTE_0 src1_sel:DWORD
	v_sub_nc_u32_e32 v22, v16, v21
	v_cmp_ge_i32_e32 vcc_lo, v16, v21
	v_or_b32_sdwa v19, v18, v17 dst_sel:DWORD dst_unused:UNUSED_PAD src0_sel:WORD_0 src1_sel:DWORD
	v_min_i32_e32 v18, v16, v23
	v_or_b32_sdwa v20, v20, v24 dst_sel:DWORD dst_unused:UNUSED_PAD src0_sel:WORD_0 src1_sel:DWORD
	s_mov_b32 s9, 0
	v_cndmask_b32_e32 v17, 0, v22, vcc_lo
	s_mov_b32 s8, exec_lo
	; wave barrier
	ds_write_b64 v2, v[19:20]
	; wave barrier
	v_cmpx_lt_i32_e64 v17, v18
	s_cbranch_execz .LBB131_58
; %bb.55:
	v_add_nc_u32_e32 v19, v4, v15
	v_add3_u32 v20, v4, v6, v16
	.p2align	6
.LBB131_56:                             ; =>This Inner Loop Header: Depth=1
	v_sub_nc_u32_e32 v21, v18, v17
	v_lshrrev_b32_e32 v21, 1, v21
	v_add_nc_u32_e32 v21, v21, v17
	v_add_nc_u32_e32 v22, v19, v21
	v_xad_u32 v23, v21, -1, v20
	v_add_nc_u32_e32 v24, 1, v21
	ds_read_u8 v22, v22
	ds_read_u8 v23, v23
	s_waitcnt lgkmcnt(0)
	v_cmp_lt_u16_e32 vcc_lo, v23, v22
	v_cndmask_b32_e32 v18, v18, v21, vcc_lo
	v_cndmask_b32_e32 v17, v24, v17, vcc_lo
	v_cmp_ge_i32_e32 vcc_lo, v17, v18
	s_or_b32 s9, vcc_lo, s9
	s_andn2_b32 exec_lo, exec_lo, s9
	s_cbranch_execnz .LBB131_56
; %bb.57:
	s_or_b32 exec_lo, exec_lo, s9
.LBB131_58:
	s_or_b32 exec_lo, exec_lo, s8
	v_add_nc_u32_e32 v16, v6, v16
	v_add_nc_u32_e32 v15, v17, v15
                                        ; implicit-def: $vgpr19
	v_sub_nc_u32_e32 v16, v16, v17
	v_add_nc_u32_e32 v20, v4, v15
	v_cmp_le_i32_e32 vcc_lo, v6, v15
	v_add_nc_u32_e32 v21, v4, v16
	v_cmp_gt_i32_e64 s8, v14, v16
	ds_read_u8 v17, v20
	ds_read_u8 v18, v21
	s_waitcnt lgkmcnt(0)
	v_cmp_lt_u16_sdwa s9, v18, v17 src0_sel:BYTE_0 src1_sel:BYTE_0
	s_or_b32 s9, vcc_lo, s9
	s_and_b32 s8, s8, s9
	s_xor_b32 s9, s8, -1
	s_and_saveexec_b32 s10, s9
	s_xor_b32 s9, exec_lo, s10
; %bb.59:
	ds_read_u8 v19, v20 offset:1
                                        ; implicit-def: $vgpr21
; %bb.60:
	s_or_saveexec_b32 s9, s9
	v_mov_b32_e32 v20, v18
	s_xor_b32 exec_lo, exec_lo, s9
	s_cbranch_execz .LBB131_62
; %bb.61:
	ds_read_u8 v20, v21 offset:1
	s_waitcnt lgkmcnt(1)
	v_mov_b32_e32 v19, v17
.LBB131_62:
	s_or_b32 exec_lo, exec_lo, s9
	v_add_nc_u32_e32 v21, 1, v15
	v_add_nc_u32_e32 v22, 1, v16
	s_waitcnt lgkmcnt(0)
	v_cmp_lt_u16_sdwa s10, v20, v19 src0_sel:BYTE_0 src1_sel:BYTE_0
                                        ; implicit-def: $vgpr23
	v_cndmask_b32_e64 v21, v21, v15, s8
	v_cndmask_b32_e64 v22, v16, v22, s8
	v_cmp_ge_i32_e32 vcc_lo, v21, v6
	v_cmp_lt_i32_e64 s9, v22, v14
	s_or_b32 s10, vcc_lo, s10
	s_and_b32 s9, s9, s10
	s_xor_b32 s10, s9, -1
	s_and_saveexec_b32 s11, s10
	s_xor_b32 s10, exec_lo, s11
; %bb.63:
	v_add_nc_u32_e32 v23, v4, v21
	ds_read_u8 v23, v23 offset:1
; %bb.64:
	s_or_saveexec_b32 s10, s10
	v_mov_b32_e32 v24, v20
	s_xor_b32 exec_lo, exec_lo, s10
	s_cbranch_execz .LBB131_66
; %bb.65:
	s_waitcnt lgkmcnt(0)
	v_add_nc_u32_e32 v23, v4, v22
	ds_read_u8 v24, v23 offset:1
	v_mov_b32_e32 v23, v19
.LBB131_66:
	s_or_b32 exec_lo, exec_lo, s10
	v_add_nc_u32_e32 v25, 1, v21
	v_add_nc_u32_e32 v26, 1, v22
	s_waitcnt lgkmcnt(0)
	v_cmp_lt_u16_sdwa s11, v24, v23 src0_sel:BYTE_0 src1_sel:BYTE_0
                                        ; implicit-def: $vgpr27
	v_cndmask_b32_e64 v25, v25, v21, s9
	v_cndmask_b32_e64 v26, v22, v26, s9
	v_cmp_ge_i32_e32 vcc_lo, v25, v6
	v_cmp_lt_i32_e64 s10, v26, v14
	s_or_b32 s11, vcc_lo, s11
	s_and_b32 s10, s10, s11
	s_xor_b32 s11, s10, -1
	s_and_saveexec_b32 s12, s11
	s_xor_b32 s11, exec_lo, s12
; %bb.67:
	v_add_nc_u32_e32 v27, v4, v25
	ds_read_u8 v27, v27 offset:1
; %bb.68:
	s_or_saveexec_b32 s11, s11
	v_mov_b32_e32 v28, v24
	s_xor_b32 exec_lo, exec_lo, s11
	s_cbranch_execz .LBB131_70
; %bb.69:
	s_waitcnt lgkmcnt(0)
	v_add_nc_u32_e32 v27, v4, v26
	ds_read_u8 v28, v27 offset:1
	v_mov_b32_e32 v27, v23
.LBB131_70:
	s_or_b32 exec_lo, exec_lo, s11
	v_add_nc_u32_e32 v29, 1, v25
	v_add_nc_u32_e32 v30, 1, v26
	s_waitcnt lgkmcnt(0)
	v_cmp_lt_u16_sdwa s12, v28, v27 src0_sel:BYTE_0 src1_sel:BYTE_0
                                        ; implicit-def: $vgpr31
	v_cndmask_b32_e64 v29, v29, v25, s10
	v_cndmask_b32_e64 v30, v26, v30, s10
	v_cmp_ge_i32_e32 vcc_lo, v29, v6
	v_cmp_lt_i32_e64 s11, v30, v14
	s_or_b32 s12, vcc_lo, s12
	s_and_b32 s11, s11, s12
	s_xor_b32 s12, s11, -1
	s_and_saveexec_b32 s13, s12
	s_xor_b32 s12, exec_lo, s13
; %bb.71:
	v_add_nc_u32_e32 v31, v4, v29
	ds_read_u8 v31, v31 offset:1
; %bb.72:
	s_or_saveexec_b32 s12, s12
	v_mov_b32_e32 v32, v28
	s_xor_b32 exec_lo, exec_lo, s12
	s_cbranch_execz .LBB131_74
; %bb.73:
	s_waitcnt lgkmcnt(0)
	v_add_nc_u32_e32 v31, v4, v30
	ds_read_u8 v32, v31 offset:1
	v_mov_b32_e32 v31, v27
.LBB131_74:
	s_or_b32 exec_lo, exec_lo, s12
	v_add_nc_u32_e32 v33, 1, v29
	v_add_nc_u32_e32 v34, 1, v30
	s_waitcnt lgkmcnt(0)
	v_cmp_lt_u16_sdwa s13, v32, v31 src0_sel:BYTE_0 src1_sel:BYTE_0
                                        ; implicit-def: $vgpr35
	v_cndmask_b32_e64 v33, v33, v29, s11
	v_cndmask_b32_e64 v34, v30, v34, s11
	v_cmp_ge_i32_e32 vcc_lo, v33, v6
	v_cmp_lt_i32_e64 s12, v34, v14
	s_or_b32 s13, vcc_lo, s13
	s_and_b32 s12, s12, s13
	s_xor_b32 s13, s12, -1
	s_and_saveexec_b32 s14, s13
	s_xor_b32 s13, exec_lo, s14
; %bb.75:
	v_add_nc_u32_e32 v35, v4, v33
	ds_read_u8 v35, v35 offset:1
; %bb.76:
	s_or_saveexec_b32 s13, s13
	v_mov_b32_e32 v37, v32
	s_xor_b32 exec_lo, exec_lo, s13
	s_cbranch_execz .LBB131_78
; %bb.77:
	s_waitcnt lgkmcnt(0)
	v_add_nc_u32_e32 v35, v4, v34
	ds_read_u8 v37, v35 offset:1
	v_mov_b32_e32 v35, v31
.LBB131_78:
	s_or_b32 exec_lo, exec_lo, s13
	v_add_nc_u32_e32 v36, 1, v33
	v_add_nc_u32_e32 v38, 1, v34
	s_waitcnt lgkmcnt(0)
	v_cmp_lt_u16_sdwa s14, v37, v35 src0_sel:BYTE_0 src1_sel:BYTE_0
                                        ; implicit-def: $vgpr41
	v_cndmask_b32_e64 v39, v36, v33, s12
	v_cndmask_b32_e64 v40, v34, v38, s12
	v_cmp_ge_i32_e32 vcc_lo, v39, v6
	v_cmp_lt_i32_e64 s13, v40, v14
	s_or_b32 s14, vcc_lo, s14
	s_and_b32 vcc_lo, s13, s14
	s_xor_b32 s13, vcc_lo, -1
	s_and_saveexec_b32 s14, s13
	s_xor_b32 s13, exec_lo, s14
; %bb.79:
	v_add_nc_u32_e32 v36, v4, v39
	ds_read_u8 v41, v36 offset:1
; %bb.80:
	s_or_saveexec_b32 s13, s13
	v_mov_b32_e32 v42, v37
	s_xor_b32 exec_lo, exec_lo, s13
	s_cbranch_execz .LBB131_82
; %bb.81:
	v_add_nc_u32_e32 v36, v4, v40
	s_waitcnt lgkmcnt(0)
	v_mov_b32_e32 v41, v35
	ds_read_u8 v42, v36 offset:1
.LBB131_82:
	s_or_b32 exec_lo, exec_lo, s13
	v_add_nc_u32_e32 v36, 1, v39
	v_add_nc_u32_e32 v38, 1, v40
	s_waitcnt lgkmcnt(0)
	v_cmp_lt_u16_sdwa s15, v42, v41 src0_sel:BYTE_0 src1_sel:BYTE_0
	v_cndmask_b32_e32 v43, v36, v39, vcc_lo
	v_cndmask_b32_e32 v44, v40, v38, vcc_lo
                                        ; implicit-def: $vgpr36
	v_cmp_ge_i32_e64 s13, v43, v6
	v_cmp_lt_i32_e64 s14, v44, v14
	s_or_b32 s13, s13, s15
	s_and_b32 s13, s14, s13
	s_xor_b32 s14, s13, -1
	s_and_saveexec_b32 s15, s14
	s_xor_b32 s14, exec_lo, s15
; %bb.83:
	v_add_nc_u32_e32 v36, v4, v43
	ds_read_u8 v36, v36 offset:1
; %bb.84:
	s_or_saveexec_b32 s14, s14
	v_mov_b32_e32 v38, v42
	s_xor_b32 exec_lo, exec_lo, s14
	s_cbranch_execz .LBB131_86
; %bb.85:
	s_waitcnt lgkmcnt(0)
	v_add_nc_u32_e32 v36, v4, v44
	ds_read_u8 v38, v36 offset:1
	v_mov_b32_e32 v36, v41
.LBB131_86:
	s_or_b32 exec_lo, exec_lo, s14
	v_add_nc_u32_e32 v45, 1, v44
	v_add_nc_u32_e32 v46, 1, v43
	v_perm_b32 v7, v7, v11, 0xc0c0004
	v_perm_b32 v11, v12, v13, 0xc0c0004
	;; [unrolled: 1-line block ×4, first 2 shown]
	v_and_b32_e32 v5, 0xc0, v8
	v_cndmask_b32_e64 v41, v41, v42, s13
	v_cndmask_b32_e64 v42, v44, v45, s13
	;; [unrolled: 1-line block ×4, first 2 shown]
	v_lshl_or_b32 v1, v11, 16, v7
	v_lshl_or_b32 v0, v3, 16, v0
	v_min_i32_e32 v15, v10, v5
	v_cndmask_b32_sdwa v35, v35, v37, vcc_lo dst_sel:BYTE_1 dst_unused:UNUSED_PAD src0_sel:DWORD src1_sel:DWORD
	v_cndmask_b32_e32 v37, v39, v40, vcc_lo
	v_cmp_ge_i32_e32 vcc_lo, v45, v6
	v_cndmask_b32_e64 v6, v21, v22, s9
	; wave barrier
	ds_write_b64 v2, v[0:1]
	v_add_nc_u32_e32 v0, 32, v15
	v_cndmask_b32_e64 v23, v23, v24, s10
	v_cndmask_b32_e64 v24, v25, v26, s10
	s_waitcnt lgkmcnt(1)
	v_cmp_lt_u16_sdwa s10, v38, v36 src0_sel:BYTE_0 src1_sel:BYTE_0
	v_cndmask_b32_e64 v17, v17, v18, s8
	v_cmp_lt_i32_e64 s8, v42, v14
	v_add_nc_u32_e32 v5, v4, v6
	v_min_i32_e32 v6, v10, v0
	v_cndmask_b32_e64 v19, v19, v20, s9
	s_or_b32 s9, vcc_lo, s10
	v_cndmask_b32_e64 v27, v27, v28, s11
	v_cndmask_b32_e64 v28, v29, v30, s11
	s_and_b32 vcc_lo, s8, s9
	v_cndmask_b32_e64 v31, v31, v32, s12
	v_cndmask_b32_e64 v32, v33, v34, s12
	;; [unrolled: 1-line block ×3, first 2 shown]
	v_cndmask_b32_e32 v3, v45, v42, vcc_lo
	v_add_nc_u32_e32 v1, v4, v16
	v_add_nc_u32_e32 v0, 32, v6
	;; [unrolled: 1-line block ×6, first 2 shown]
	; wave barrier
	v_add_nc_u32_e32 v16, v4, v43
	v_add_nc_u32_e32 v20, v4, v3
	v_min_i32_e32 v14, v10, v0
	ds_read_u8 v0, v1
	ds_read_u8 v1, v5
	;; [unrolled: 1-line block ×8, first 2 shown]
	v_cndmask_b32_e32 v18, v36, v38, vcc_lo
	v_and_b32_e32 v21, 56, v8
	v_lshlrev_b16 v19, 8, v19
	v_lshlrev_b16 v20, 8, v27
	s_mov_b32 s9, 0
	v_lshlrev_b16 v18, 8, v18
	v_min_i32_e32 v16, v10, v21
	v_sub_nc_u32_e32 v21, v14, v6
	v_or_b32_sdwa v17, v17, v19 dst_sel:DWORD dst_unused:UNUSED_PAD src0_sel:BYTE_0 src1_sel:DWORD
	v_or_b32_sdwa v19, v23, v20 dst_sel:WORD_1 dst_unused:UNUSED_PAD src0_sel:BYTE_0 src1_sel:DWORD
	v_or_b32_sdwa v20, v31, v35 dst_sel:DWORD dst_unused:UNUSED_PAD src0_sel:BYTE_0 src1_sel:DWORD
	v_sub_nc_u32_e32 v23, v6, v15
	v_sub_nc_u32_e32 v22, v16, v21
	v_or_b32_sdwa v24, v41, v18 dst_sel:WORD_1 dst_unused:UNUSED_PAD src0_sel:BYTE_0 src1_sel:DWORD
	v_cmp_ge_i32_e32 vcc_lo, v16, v21
	v_or_b32_sdwa v19, v17, v19 dst_sel:DWORD dst_unused:UNUSED_PAD src0_sel:WORD_0 src1_sel:DWORD
	v_min_i32_e32 v18, v16, v23
	s_mov_b32 s8, exec_lo
	v_or_b32_sdwa v20, v20, v24 dst_sel:DWORD dst_unused:UNUSED_PAD src0_sel:WORD_0 src1_sel:DWORD
	v_cndmask_b32_e32 v17, 0, v22, vcc_lo
	; wave barrier
	ds_write_b64 v2, v[19:20]
	; wave barrier
	v_cmpx_lt_i32_e64 v17, v18
	s_cbranch_execz .LBB131_90
; %bb.87:
	v_add_nc_u32_e32 v19, v4, v15
	v_add3_u32 v20, v4, v6, v16
	.p2align	6
.LBB131_88:                             ; =>This Inner Loop Header: Depth=1
	v_sub_nc_u32_e32 v21, v18, v17
	v_lshrrev_b32_e32 v21, 1, v21
	v_add_nc_u32_e32 v21, v21, v17
	v_add_nc_u32_e32 v22, v19, v21
	v_xad_u32 v23, v21, -1, v20
	v_add_nc_u32_e32 v24, 1, v21
	ds_read_u8 v22, v22
	ds_read_u8 v23, v23
	s_waitcnt lgkmcnt(0)
	v_cmp_lt_u16_e32 vcc_lo, v23, v22
	v_cndmask_b32_e32 v18, v18, v21, vcc_lo
	v_cndmask_b32_e32 v17, v24, v17, vcc_lo
	v_cmp_ge_i32_e32 vcc_lo, v17, v18
	s_or_b32 s9, vcc_lo, s9
	s_andn2_b32 exec_lo, exec_lo, s9
	s_cbranch_execnz .LBB131_88
; %bb.89:
	s_or_b32 exec_lo, exec_lo, s9
.LBB131_90:
	s_or_b32 exec_lo, exec_lo, s8
	v_add_nc_u32_e32 v16, v6, v16
	v_add_nc_u32_e32 v15, v17, v15
                                        ; implicit-def: $vgpr19
	v_sub_nc_u32_e32 v16, v16, v17
	v_add_nc_u32_e32 v20, v4, v15
	v_cmp_le_i32_e32 vcc_lo, v6, v15
	v_add_nc_u32_e32 v21, v4, v16
	v_cmp_gt_i32_e64 s8, v14, v16
	ds_read_u8 v17, v20
	ds_read_u8 v18, v21
	s_waitcnt lgkmcnt(0)
	v_cmp_lt_u16_sdwa s9, v18, v17 src0_sel:BYTE_0 src1_sel:BYTE_0
	s_or_b32 s9, vcc_lo, s9
	s_and_b32 s8, s8, s9
	s_xor_b32 s9, s8, -1
	s_and_saveexec_b32 s10, s9
	s_xor_b32 s9, exec_lo, s10
; %bb.91:
	ds_read_u8 v19, v20 offset:1
                                        ; implicit-def: $vgpr21
; %bb.92:
	s_or_saveexec_b32 s9, s9
	v_mov_b32_e32 v20, v18
	s_xor_b32 exec_lo, exec_lo, s9
	s_cbranch_execz .LBB131_94
; %bb.93:
	ds_read_u8 v20, v21 offset:1
	s_waitcnt lgkmcnt(1)
	v_mov_b32_e32 v19, v17
.LBB131_94:
	s_or_b32 exec_lo, exec_lo, s9
	v_add_nc_u32_e32 v21, 1, v15
	v_add_nc_u32_e32 v22, 1, v16
	s_waitcnt lgkmcnt(0)
	v_cmp_lt_u16_sdwa s10, v20, v19 src0_sel:BYTE_0 src1_sel:BYTE_0
                                        ; implicit-def: $vgpr23
	v_cndmask_b32_e64 v21, v21, v15, s8
	v_cndmask_b32_e64 v22, v16, v22, s8
	v_cmp_ge_i32_e32 vcc_lo, v21, v6
	v_cmp_lt_i32_e64 s9, v22, v14
	s_or_b32 s10, vcc_lo, s10
	s_and_b32 s9, s9, s10
	s_xor_b32 s10, s9, -1
	s_and_saveexec_b32 s11, s10
	s_xor_b32 s10, exec_lo, s11
; %bb.95:
	v_add_nc_u32_e32 v23, v4, v21
	ds_read_u8 v23, v23 offset:1
; %bb.96:
	s_or_saveexec_b32 s10, s10
	v_mov_b32_e32 v24, v20
	s_xor_b32 exec_lo, exec_lo, s10
	s_cbranch_execz .LBB131_98
; %bb.97:
	s_waitcnt lgkmcnt(0)
	v_add_nc_u32_e32 v23, v4, v22
	ds_read_u8 v24, v23 offset:1
	v_mov_b32_e32 v23, v19
.LBB131_98:
	s_or_b32 exec_lo, exec_lo, s10
	v_add_nc_u32_e32 v25, 1, v21
	v_add_nc_u32_e32 v26, 1, v22
	s_waitcnt lgkmcnt(0)
	v_cmp_lt_u16_sdwa s11, v24, v23 src0_sel:BYTE_0 src1_sel:BYTE_0
                                        ; implicit-def: $vgpr27
	v_cndmask_b32_e64 v25, v25, v21, s9
	v_cndmask_b32_e64 v26, v22, v26, s9
	v_cmp_ge_i32_e32 vcc_lo, v25, v6
	v_cmp_lt_i32_e64 s10, v26, v14
	s_or_b32 s11, vcc_lo, s11
	s_and_b32 s10, s10, s11
	s_xor_b32 s11, s10, -1
	s_and_saveexec_b32 s12, s11
	s_xor_b32 s11, exec_lo, s12
; %bb.99:
	v_add_nc_u32_e32 v27, v4, v25
	ds_read_u8 v27, v27 offset:1
; %bb.100:
	s_or_saveexec_b32 s11, s11
	v_mov_b32_e32 v28, v24
	s_xor_b32 exec_lo, exec_lo, s11
	s_cbranch_execz .LBB131_102
; %bb.101:
	s_waitcnt lgkmcnt(0)
	v_add_nc_u32_e32 v27, v4, v26
	ds_read_u8 v28, v27 offset:1
	v_mov_b32_e32 v27, v23
.LBB131_102:
	s_or_b32 exec_lo, exec_lo, s11
	v_add_nc_u32_e32 v29, 1, v25
	v_add_nc_u32_e32 v30, 1, v26
	s_waitcnt lgkmcnt(0)
	v_cmp_lt_u16_sdwa s12, v28, v27 src0_sel:BYTE_0 src1_sel:BYTE_0
                                        ; implicit-def: $vgpr31
	v_cndmask_b32_e64 v29, v29, v25, s10
	v_cndmask_b32_e64 v30, v26, v30, s10
	v_cmp_ge_i32_e32 vcc_lo, v29, v6
	v_cmp_lt_i32_e64 s11, v30, v14
	s_or_b32 s12, vcc_lo, s12
	s_and_b32 s11, s11, s12
	s_xor_b32 s12, s11, -1
	s_and_saveexec_b32 s13, s12
	s_xor_b32 s12, exec_lo, s13
; %bb.103:
	v_add_nc_u32_e32 v31, v4, v29
	ds_read_u8 v31, v31 offset:1
; %bb.104:
	s_or_saveexec_b32 s12, s12
	v_mov_b32_e32 v32, v28
	s_xor_b32 exec_lo, exec_lo, s12
	s_cbranch_execz .LBB131_106
; %bb.105:
	s_waitcnt lgkmcnt(0)
	v_add_nc_u32_e32 v31, v4, v30
	ds_read_u8 v32, v31 offset:1
	v_mov_b32_e32 v31, v27
.LBB131_106:
	s_or_b32 exec_lo, exec_lo, s12
	v_add_nc_u32_e32 v33, 1, v29
	v_add_nc_u32_e32 v34, 1, v30
	s_waitcnt lgkmcnt(0)
	v_cmp_lt_u16_sdwa s13, v32, v31 src0_sel:BYTE_0 src1_sel:BYTE_0
                                        ; implicit-def: $vgpr35
	v_cndmask_b32_e64 v33, v33, v29, s11
	v_cndmask_b32_e64 v34, v30, v34, s11
	v_cmp_ge_i32_e32 vcc_lo, v33, v6
	v_cmp_lt_i32_e64 s12, v34, v14
	s_or_b32 s13, vcc_lo, s13
	s_and_b32 s12, s12, s13
	s_xor_b32 s13, s12, -1
	s_and_saveexec_b32 s14, s13
	s_xor_b32 s13, exec_lo, s14
; %bb.107:
	v_add_nc_u32_e32 v35, v4, v33
	ds_read_u8 v35, v35 offset:1
; %bb.108:
	s_or_saveexec_b32 s13, s13
	v_mov_b32_e32 v37, v32
	s_xor_b32 exec_lo, exec_lo, s13
	s_cbranch_execz .LBB131_110
; %bb.109:
	s_waitcnt lgkmcnt(0)
	v_add_nc_u32_e32 v35, v4, v34
	ds_read_u8 v37, v35 offset:1
	v_mov_b32_e32 v35, v31
.LBB131_110:
	s_or_b32 exec_lo, exec_lo, s13
	v_add_nc_u32_e32 v36, 1, v33
	v_add_nc_u32_e32 v38, 1, v34
	s_waitcnt lgkmcnt(0)
	v_cmp_lt_u16_sdwa s14, v37, v35 src0_sel:BYTE_0 src1_sel:BYTE_0
                                        ; implicit-def: $vgpr41
	v_cndmask_b32_e64 v39, v36, v33, s12
	v_cndmask_b32_e64 v40, v34, v38, s12
	v_cmp_ge_i32_e32 vcc_lo, v39, v6
	v_cmp_lt_i32_e64 s13, v40, v14
	s_or_b32 s14, vcc_lo, s14
	s_and_b32 vcc_lo, s13, s14
	s_xor_b32 s13, vcc_lo, -1
	s_and_saveexec_b32 s14, s13
	s_xor_b32 s13, exec_lo, s14
; %bb.111:
	v_add_nc_u32_e32 v36, v4, v39
	ds_read_u8 v41, v36 offset:1
; %bb.112:
	s_or_saveexec_b32 s13, s13
	v_mov_b32_e32 v42, v37
	s_xor_b32 exec_lo, exec_lo, s13
	s_cbranch_execz .LBB131_114
; %bb.113:
	v_add_nc_u32_e32 v36, v4, v40
	s_waitcnt lgkmcnt(0)
	v_mov_b32_e32 v41, v35
	ds_read_u8 v42, v36 offset:1
.LBB131_114:
	s_or_b32 exec_lo, exec_lo, s13
	v_add_nc_u32_e32 v36, 1, v39
	v_add_nc_u32_e32 v38, 1, v40
	s_waitcnt lgkmcnt(0)
	v_cmp_lt_u16_sdwa s15, v42, v41 src0_sel:BYTE_0 src1_sel:BYTE_0
	v_cndmask_b32_e32 v43, v36, v39, vcc_lo
	v_cndmask_b32_e32 v44, v40, v38, vcc_lo
                                        ; implicit-def: $vgpr36
	v_cmp_ge_i32_e64 s13, v43, v6
	v_cmp_lt_i32_e64 s14, v44, v14
	s_or_b32 s13, s13, s15
	s_and_b32 s13, s14, s13
	s_xor_b32 s14, s13, -1
	s_and_saveexec_b32 s15, s14
	s_xor_b32 s14, exec_lo, s15
; %bb.115:
	v_add_nc_u32_e32 v36, v4, v43
	ds_read_u8 v36, v36 offset:1
; %bb.116:
	s_or_saveexec_b32 s14, s14
	v_mov_b32_e32 v38, v42
	s_xor_b32 exec_lo, exec_lo, s14
	s_cbranch_execz .LBB131_118
; %bb.117:
	s_waitcnt lgkmcnt(0)
	v_add_nc_u32_e32 v36, v4, v44
	ds_read_u8 v38, v36 offset:1
	v_mov_b32_e32 v36, v41
.LBB131_118:
	s_or_b32 exec_lo, exec_lo, s14
	v_add_nc_u32_e32 v45, 1, v44
	v_add_nc_u32_e32 v46, 1, v43
	v_perm_b32 v7, v7, v11, 0xc0c0004
	v_perm_b32 v11, v12, v13, 0xc0c0004
	;; [unrolled: 1-line block ×4, first 2 shown]
	v_and_b32_e32 v5, 0x80, v8
	v_cndmask_b32_e64 v41, v41, v42, s13
	v_cndmask_b32_e64 v42, v44, v45, s13
	v_cndmask_b32_e64 v45, v46, v43, s13
	v_cndmask_b32_e64 v16, v15, v16, s8
	v_lshl_or_b32 v1, v11, 16, v7
	v_lshl_or_b32 v0, v3, 16, v0
	v_min_i32_e32 v15, v10, v5
	v_cndmask_b32_sdwa v35, v35, v37, vcc_lo dst_sel:BYTE_1 dst_unused:UNUSED_PAD src0_sel:DWORD src1_sel:DWORD
	v_cndmask_b32_e32 v37, v39, v40, vcc_lo
	v_cmp_ge_i32_e32 vcc_lo, v45, v6
	v_cndmask_b32_e64 v6, v21, v22, s9
	; wave barrier
	ds_write_b64 v2, v[0:1]
	v_add_nc_u32_e32 v0, 64, v15
	v_cndmask_b32_e64 v23, v23, v24, s10
	v_cndmask_b32_e64 v24, v25, v26, s10
	s_waitcnt lgkmcnt(1)
	v_cmp_lt_u16_sdwa s10, v38, v36 src0_sel:BYTE_0 src1_sel:BYTE_0
	v_cndmask_b32_e64 v17, v17, v18, s8
	v_cmp_lt_i32_e64 s8, v42, v14
	v_add_nc_u32_e32 v5, v4, v6
	v_min_i32_e32 v6, v10, v0
	v_cndmask_b32_e64 v19, v19, v20, s9
	s_or_b32 s9, vcc_lo, s10
	v_cndmask_b32_e64 v27, v27, v28, s11
	v_cndmask_b32_e64 v28, v29, v30, s11
	s_and_b32 vcc_lo, s8, s9
	v_cndmask_b32_e64 v31, v31, v32, s12
	v_cndmask_b32_e64 v32, v33, v34, s12
	;; [unrolled: 1-line block ×3, first 2 shown]
	v_cndmask_b32_e32 v3, v45, v42, vcc_lo
	v_add_nc_u32_e32 v1, v4, v16
	v_add_nc_u32_e32 v0, 64, v6
	;; [unrolled: 1-line block ×6, first 2 shown]
	; wave barrier
	v_add_nc_u32_e32 v16, v4, v43
	v_add_nc_u32_e32 v20, v4, v3
	v_min_i32_e32 v14, v10, v0
	ds_read_u8 v0, v1
	ds_read_u8 v1, v5
	ds_read_u8 v3, v7
	ds_read_u8 v5, v11
	ds_read_u8 v7, v12
	ds_read_u8 v11, v13
	ds_read_u8 v12, v16
	ds_read_u8 v13, v20
	v_cndmask_b32_e32 v18, v36, v38, vcc_lo
	v_and_b32_e32 v21, 0x78, v8
	v_lshlrev_b16 v19, 8, v19
	v_lshlrev_b16 v20, 8, v27
	s_mov_b32 s9, 0
	v_lshlrev_b16 v18, 8, v18
	v_min_i32_e32 v16, v10, v21
	v_sub_nc_u32_e32 v21, v14, v6
	v_or_b32_sdwa v17, v17, v19 dst_sel:DWORD dst_unused:UNUSED_PAD src0_sel:BYTE_0 src1_sel:DWORD
	v_or_b32_sdwa v19, v23, v20 dst_sel:WORD_1 dst_unused:UNUSED_PAD src0_sel:BYTE_0 src1_sel:DWORD
	v_or_b32_sdwa v20, v31, v35 dst_sel:DWORD dst_unused:UNUSED_PAD src0_sel:BYTE_0 src1_sel:DWORD
	v_sub_nc_u32_e32 v23, v6, v15
	v_sub_nc_u32_e32 v22, v16, v21
	v_or_b32_sdwa v24, v41, v18 dst_sel:WORD_1 dst_unused:UNUSED_PAD src0_sel:BYTE_0 src1_sel:DWORD
	v_cmp_ge_i32_e32 vcc_lo, v16, v21
	v_or_b32_sdwa v19, v17, v19 dst_sel:DWORD dst_unused:UNUSED_PAD src0_sel:WORD_0 src1_sel:DWORD
	v_min_i32_e32 v18, v16, v23
	s_mov_b32 s8, exec_lo
	v_or_b32_sdwa v20, v20, v24 dst_sel:DWORD dst_unused:UNUSED_PAD src0_sel:WORD_0 src1_sel:DWORD
	v_cndmask_b32_e32 v17, 0, v22, vcc_lo
	; wave barrier
	ds_write_b64 v2, v[19:20]
	; wave barrier
	v_cmpx_lt_i32_e64 v17, v18
	s_cbranch_execz .LBB131_122
; %bb.119:
	v_add_nc_u32_e32 v19, v4, v15
	v_add3_u32 v20, v4, v6, v16
	.p2align	6
.LBB131_120:                            ; =>This Inner Loop Header: Depth=1
	v_sub_nc_u32_e32 v21, v18, v17
	v_lshrrev_b32_e32 v21, 1, v21
	v_add_nc_u32_e32 v21, v21, v17
	v_add_nc_u32_e32 v22, v19, v21
	v_xad_u32 v23, v21, -1, v20
	v_add_nc_u32_e32 v24, 1, v21
	ds_read_u8 v22, v22
	ds_read_u8 v23, v23
	s_waitcnt lgkmcnt(0)
	v_cmp_lt_u16_e32 vcc_lo, v23, v22
	v_cndmask_b32_e32 v18, v18, v21, vcc_lo
	v_cndmask_b32_e32 v17, v24, v17, vcc_lo
	v_cmp_ge_i32_e32 vcc_lo, v17, v18
	s_or_b32 s9, vcc_lo, s9
	s_andn2_b32 exec_lo, exec_lo, s9
	s_cbranch_execnz .LBB131_120
; %bb.121:
	s_or_b32 exec_lo, exec_lo, s9
.LBB131_122:
	s_or_b32 exec_lo, exec_lo, s8
	v_add_nc_u32_e32 v16, v6, v16
	v_add_nc_u32_e32 v15, v17, v15
                                        ; implicit-def: $vgpr19
	v_sub_nc_u32_e32 v16, v16, v17
	v_add_nc_u32_e32 v20, v4, v15
	v_cmp_le_i32_e32 vcc_lo, v6, v15
	v_add_nc_u32_e32 v21, v4, v16
	v_cmp_gt_i32_e64 s8, v14, v16
	ds_read_u8 v17, v20
	ds_read_u8 v18, v21
	s_waitcnt lgkmcnt(0)
	v_cmp_lt_u16_sdwa s9, v18, v17 src0_sel:BYTE_0 src1_sel:BYTE_0
	s_or_b32 s9, vcc_lo, s9
	s_and_b32 s8, s8, s9
	s_xor_b32 s9, s8, -1
	s_and_saveexec_b32 s10, s9
	s_xor_b32 s9, exec_lo, s10
; %bb.123:
	ds_read_u8 v19, v20 offset:1
                                        ; implicit-def: $vgpr21
; %bb.124:
	s_or_saveexec_b32 s9, s9
	v_mov_b32_e32 v20, v18
	s_xor_b32 exec_lo, exec_lo, s9
	s_cbranch_execz .LBB131_126
; %bb.125:
	ds_read_u8 v20, v21 offset:1
	s_waitcnt lgkmcnt(1)
	v_mov_b32_e32 v19, v17
.LBB131_126:
	s_or_b32 exec_lo, exec_lo, s9
	v_add_nc_u32_e32 v21, 1, v15
	v_add_nc_u32_e32 v22, 1, v16
	s_waitcnt lgkmcnt(0)
	v_cmp_lt_u16_sdwa s10, v20, v19 src0_sel:BYTE_0 src1_sel:BYTE_0
                                        ; implicit-def: $vgpr23
	v_cndmask_b32_e64 v21, v21, v15, s8
	v_cndmask_b32_e64 v22, v16, v22, s8
	v_cmp_ge_i32_e32 vcc_lo, v21, v6
	v_cmp_lt_i32_e64 s9, v22, v14
	s_or_b32 s10, vcc_lo, s10
	s_and_b32 s9, s9, s10
	s_xor_b32 s10, s9, -1
	s_and_saveexec_b32 s11, s10
	s_xor_b32 s10, exec_lo, s11
; %bb.127:
	v_add_nc_u32_e32 v23, v4, v21
	ds_read_u8 v23, v23 offset:1
; %bb.128:
	s_or_saveexec_b32 s10, s10
	v_mov_b32_e32 v24, v20
	s_xor_b32 exec_lo, exec_lo, s10
	s_cbranch_execz .LBB131_130
; %bb.129:
	s_waitcnt lgkmcnt(0)
	v_add_nc_u32_e32 v23, v4, v22
	ds_read_u8 v24, v23 offset:1
	v_mov_b32_e32 v23, v19
.LBB131_130:
	s_or_b32 exec_lo, exec_lo, s10
	v_add_nc_u32_e32 v25, 1, v21
	v_add_nc_u32_e32 v26, 1, v22
	s_waitcnt lgkmcnt(0)
	v_cmp_lt_u16_sdwa s11, v24, v23 src0_sel:BYTE_0 src1_sel:BYTE_0
                                        ; implicit-def: $vgpr27
	v_cndmask_b32_e64 v25, v25, v21, s9
	v_cndmask_b32_e64 v26, v22, v26, s9
	v_cmp_ge_i32_e32 vcc_lo, v25, v6
	v_cmp_lt_i32_e64 s10, v26, v14
	s_or_b32 s11, vcc_lo, s11
	s_and_b32 s10, s10, s11
	s_xor_b32 s11, s10, -1
	s_and_saveexec_b32 s12, s11
	s_xor_b32 s11, exec_lo, s12
; %bb.131:
	v_add_nc_u32_e32 v27, v4, v25
	ds_read_u8 v27, v27 offset:1
; %bb.132:
	s_or_saveexec_b32 s11, s11
	v_mov_b32_e32 v28, v24
	s_xor_b32 exec_lo, exec_lo, s11
	s_cbranch_execz .LBB131_134
; %bb.133:
	s_waitcnt lgkmcnt(0)
	v_add_nc_u32_e32 v27, v4, v26
	ds_read_u8 v28, v27 offset:1
	v_mov_b32_e32 v27, v23
.LBB131_134:
	s_or_b32 exec_lo, exec_lo, s11
	v_add_nc_u32_e32 v29, 1, v25
	v_add_nc_u32_e32 v30, 1, v26
	s_waitcnt lgkmcnt(0)
	v_cmp_lt_u16_sdwa s12, v28, v27 src0_sel:BYTE_0 src1_sel:BYTE_0
                                        ; implicit-def: $vgpr31
	v_cndmask_b32_e64 v29, v29, v25, s10
	v_cndmask_b32_e64 v30, v26, v30, s10
	v_cmp_ge_i32_e32 vcc_lo, v29, v6
	v_cmp_lt_i32_e64 s11, v30, v14
	s_or_b32 s12, vcc_lo, s12
	s_and_b32 s11, s11, s12
	s_xor_b32 s12, s11, -1
	s_and_saveexec_b32 s13, s12
	s_xor_b32 s12, exec_lo, s13
; %bb.135:
	v_add_nc_u32_e32 v31, v4, v29
	ds_read_u8 v31, v31 offset:1
; %bb.136:
	s_or_saveexec_b32 s12, s12
	v_mov_b32_e32 v32, v28
	s_xor_b32 exec_lo, exec_lo, s12
	s_cbranch_execz .LBB131_138
; %bb.137:
	s_waitcnt lgkmcnt(0)
	v_add_nc_u32_e32 v31, v4, v30
	ds_read_u8 v32, v31 offset:1
	v_mov_b32_e32 v31, v27
.LBB131_138:
	s_or_b32 exec_lo, exec_lo, s12
	v_add_nc_u32_e32 v33, 1, v29
	v_add_nc_u32_e32 v34, 1, v30
	s_waitcnt lgkmcnt(0)
	v_cmp_lt_u16_sdwa s13, v32, v31 src0_sel:BYTE_0 src1_sel:BYTE_0
                                        ; implicit-def: $vgpr35
	v_cndmask_b32_e64 v33, v33, v29, s11
	v_cndmask_b32_e64 v34, v30, v34, s11
	v_cmp_ge_i32_e32 vcc_lo, v33, v6
	v_cmp_lt_i32_e64 s12, v34, v14
	s_or_b32 s13, vcc_lo, s13
	s_and_b32 s12, s12, s13
	s_xor_b32 s13, s12, -1
	s_and_saveexec_b32 s14, s13
	s_xor_b32 s13, exec_lo, s14
; %bb.139:
	v_add_nc_u32_e32 v35, v4, v33
	ds_read_u8 v35, v35 offset:1
; %bb.140:
	s_or_saveexec_b32 s13, s13
	v_mov_b32_e32 v36, v32
	s_xor_b32 exec_lo, exec_lo, s13
	s_cbranch_execz .LBB131_142
; %bb.141:
	s_waitcnt lgkmcnt(0)
	v_add_nc_u32_e32 v35, v4, v34
	ds_read_u8 v36, v35 offset:1
	v_mov_b32_e32 v35, v31
.LBB131_142:
	s_or_b32 exec_lo, exec_lo, s13
	v_add_nc_u32_e32 v37, 1, v33
	v_add_nc_u32_e32 v38, 1, v34
	s_waitcnt lgkmcnt(0)
	v_cmp_lt_u16_sdwa s14, v36, v35 src0_sel:BYTE_0 src1_sel:BYTE_0
                                        ; implicit-def: $vgpr39
	v_cndmask_b32_e64 v37, v37, v33, s12
	v_cndmask_b32_e64 v38, v34, v38, s12
	v_cmp_ge_i32_e32 vcc_lo, v37, v6
	v_cmp_lt_i32_e64 s13, v38, v14
	s_or_b32 s14, vcc_lo, s14
	s_and_b32 vcc_lo, s13, s14
	s_xor_b32 s13, vcc_lo, -1
	s_and_saveexec_b32 s14, s13
	s_xor_b32 s13, exec_lo, s14
; %bb.143:
	v_add_nc_u32_e32 v39, v4, v37
	ds_read_u8 v39, v39 offset:1
; %bb.144:
	s_or_saveexec_b32 s13, s13
	v_mov_b32_e32 v41, v36
	s_xor_b32 exec_lo, exec_lo, s13
	s_cbranch_execz .LBB131_146
; %bb.145:
	s_waitcnt lgkmcnt(0)
	v_add_nc_u32_e32 v39, v4, v38
	ds_read_u8 v41, v39 offset:1
	v_mov_b32_e32 v39, v35
.LBB131_146:
	s_or_b32 exec_lo, exec_lo, s13
	v_add_nc_u32_e32 v40, 1, v37
	v_add_nc_u32_e32 v42, 1, v38
	s_waitcnt lgkmcnt(0)
	v_cmp_lt_u16_sdwa s15, v41, v39 src0_sel:BYTE_0 src1_sel:BYTE_0
	v_cndmask_b32_e32 v43, v40, v37, vcc_lo
	v_cndmask_b32_e32 v44, v38, v42, vcc_lo
                                        ; implicit-def: $vgpr40
	v_cmp_ge_i32_e64 s13, v43, v6
	v_cmp_lt_i32_e64 s14, v44, v14
	s_or_b32 s13, s13, s15
	s_and_b32 s13, s14, s13
	s_xor_b32 s14, s13, -1
	s_and_saveexec_b32 s15, s14
	s_xor_b32 s14, exec_lo, s15
; %bb.147:
	v_add_nc_u32_e32 v40, v4, v43
	ds_read_u8 v40, v40 offset:1
; %bb.148:
	s_or_saveexec_b32 s14, s14
	v_mov_b32_e32 v42, v41
	s_xor_b32 exec_lo, exec_lo, s14
	s_cbranch_execz .LBB131_150
; %bb.149:
	s_waitcnt lgkmcnt(0)
	v_add_nc_u32_e32 v40, v4, v44
	ds_read_u8 v42, v40 offset:1
	v_mov_b32_e32 v40, v39
.LBB131_150:
	s_or_b32 exec_lo, exec_lo, s14
	v_add_nc_u32_e32 v45, 1, v44
	v_add_nc_u32_e32 v46, 1, v43
	v_cndmask_b32_e64 v39, v39, v41, s13
	v_perm_b32 v7, v7, v11, 0xc0c0004
	v_perm_b32 v11, v12, v13, 0xc0c0004
	v_cndmask_b32_e64 v41, v44, v45, s13
	v_cndmask_b32_e64 v45, v46, v43, s13
	v_perm_b32 v0, v0, v1, 0xc0c0004
	v_perm_b32 v3, v3, v5, 0xc0c0004
	v_cndmask_b32_sdwa v35, v35, v36, vcc_lo dst_sel:BYTE_1 dst_unused:UNUSED_PAD src0_sel:DWORD src1_sel:DWORD
	v_cndmask_b32_e32 v36, v37, v38, vcc_lo
	v_cndmask_b32_e64 v23, v23, v24, s10
	v_cndmask_b32_e64 v24, v25, v26, s10
	v_cmp_ge_i32_e32 vcc_lo, v45, v6
	s_waitcnt lgkmcnt(0)
	v_cmp_lt_u16_sdwa s10, v42, v40 src0_sel:BYTE_0 src1_sel:BYTE_0
	v_cndmask_b32_e64 v16, v15, v16, s8
	v_min_i32_e32 v15, 0, v10
	v_cndmask_b32_e64 v17, v17, v18, s8
	v_cmp_lt_i32_e64 s8, v41, v14
	v_lshl_or_b32 v1, v11, 16, v7
	v_lshl_or_b32 v0, v3, 16, v0
	v_cndmask_b32_e64 v19, v19, v20, s9
	v_cndmask_b32_e64 v6, v21, v22, s9
	s_or_b32 s9, vcc_lo, s10
	v_add_nc_u32_e32 v5, 0x80, v15
	v_cndmask_b32_e64 v27, v27, v28, s11
	v_cndmask_b32_e64 v28, v29, v30, s11
	s_and_b32 vcc_lo, s8, s9
	v_cndmask_b32_e64 v43, v43, v44, s13
	v_cndmask_b32_e64 v31, v31, v32, s12
	;; [unrolled: 1-line block ×3, first 2 shown]
	v_cndmask_b32_e32 v3, v45, v41, vcc_lo
	; wave barrier
	ds_write_b64 v2, v[0:1]
	v_add_nc_u32_e32 v1, v4, v16
	v_min_i32_e32 v14, v10, v5
	v_add_nc_u32_e32 v5, v4, v6
	v_add_nc_u32_e32 v6, v4, v24
	v_add_nc_u32_e32 v7, v4, v28
	v_add_nc_u32_e32 v11, v4, v32
	v_add_nc_u32_e32 v12, v4, v36
	v_add_nc_u32_e32 v13, v4, v43
	; wave barrier
	v_add_nc_u32_e32 v16, v4, v3
	ds_read_u8 v1, v1
	ds_read_u8 v3, v5
	;; [unrolled: 1-line block ×8, first 2 shown]
	v_add_nc_u32_e32 v0, 0x80, v14
	v_cndmask_b32_e32 v18, v40, v42, vcc_lo
	v_lshlrev_b16 v19, 8, v19
	v_lshlrev_b16 v16, 8, v27
	v_sub_nc_u32_e32 v22, v14, v15
	v_min_i32_e32 v0, v10, v0
	v_min_i32_e32 v10, v10, v8
	v_lshlrev_b16 v18, 8, v18
	v_or_b32_sdwa v17, v17, v19 dst_sel:DWORD dst_unused:UNUSED_PAD src0_sel:BYTE_0 src1_sel:DWORD
	v_or_b32_sdwa v16, v23, v16 dst_sel:WORD_1 dst_unused:UNUSED_PAD src0_sel:BYTE_0 src1_sel:DWORD
	v_sub_nc_u32_e32 v20, v0, v14
	v_or_b32_sdwa v19, v31, v35 dst_sel:DWORD dst_unused:UNUSED_PAD src0_sel:BYTE_0 src1_sel:DWORD
	v_or_b32_sdwa v23, v39, v18 dst_sel:WORD_1 dst_unused:UNUSED_PAD src0_sel:BYTE_0 src1_sel:DWORD
	s_mov_b32 s9, 0
	v_or_b32_sdwa v18, v17, v16 dst_sel:DWORD dst_unused:UNUSED_PAD src0_sel:WORD_0 src1_sel:DWORD
	v_sub_nc_u32_e32 v21, v10, v20
	v_cmp_ge_i32_e32 vcc_lo, v10, v20
	v_min_i32_e32 v17, v10, v22
	v_or_b32_sdwa v19, v19, v23 dst_sel:DWORD dst_unused:UNUSED_PAD src0_sel:WORD_0 src1_sel:DWORD
	s_mov_b32 s8, exec_lo
	v_cndmask_b32_e32 v16, 0, v21, vcc_lo
	; wave barrier
	ds_write_b64 v2, v[18:19]
	; wave barrier
	v_cmpx_lt_i32_e64 v16, v17
	s_cbranch_execz .LBB131_154
; %bb.151:
	v_add_nc_u32_e32 v18, v4, v15
	v_add3_u32 v19, v4, v14, v10
	.p2align	6
.LBB131_152:                            ; =>This Inner Loop Header: Depth=1
	v_sub_nc_u32_e32 v20, v17, v16
	v_lshrrev_b32_e32 v20, 1, v20
	v_add_nc_u32_e32 v20, v20, v16
	v_add_nc_u32_e32 v21, v18, v20
	v_xad_u32 v22, v20, -1, v19
	v_add_nc_u32_e32 v23, 1, v20
	ds_read_u8 v21, v21
	ds_read_u8 v22, v22
	s_waitcnt lgkmcnt(0)
	v_cmp_lt_u16_e32 vcc_lo, v22, v21
	v_cndmask_b32_e32 v17, v17, v20, vcc_lo
	v_cndmask_b32_e32 v16, v23, v16, vcc_lo
	v_cmp_ge_i32_e32 vcc_lo, v16, v17
	s_or_b32 s9, vcc_lo, s9
	s_andn2_b32 exec_lo, exec_lo, s9
	s_cbranch_execnz .LBB131_152
; %bb.153:
	s_or_b32 exec_lo, exec_lo, s9
.LBB131_154:
	s_or_b32 exec_lo, exec_lo, s8
	v_add_nc_u32_e32 v17, v14, v10
	v_add_nc_u32_e32 v10, v16, v15
                                        ; implicit-def: $vgpr20
	v_sub_nc_u32_e32 v15, v17, v16
	v_add_nc_u32_e32 v17, v4, v10
	v_cmp_le_i32_e32 vcc_lo, v14, v10
	v_add_nc_u32_e32 v16, v4, v15
	v_cmp_gt_i32_e64 s8, v0, v15
	ds_read_u8 v18, v17
	ds_read_u8 v19, v16
	s_waitcnt lgkmcnt(0)
	v_cmp_lt_u16_sdwa s9, v19, v18 src0_sel:BYTE_0 src1_sel:BYTE_0
	s_or_b32 s9, vcc_lo, s9
	s_and_b32 s8, s8, s9
	s_xor_b32 s9, s8, -1
	s_and_saveexec_b32 s10, s9
	s_xor_b32 s9, exec_lo, s10
; %bb.155:
	ds_read_u8 v20, v17 offset:1
                                        ; implicit-def: $vgpr16
; %bb.156:
	s_or_saveexec_b32 s9, s9
	v_mov_b32_e32 v21, v19
	s_xor_b32 exec_lo, exec_lo, s9
	s_cbranch_execz .LBB131_158
; %bb.157:
	ds_read_u8 v21, v16 offset:1
	s_waitcnt lgkmcnt(1)
	v_mov_b32_e32 v20, v18
.LBB131_158:
	s_or_b32 exec_lo, exec_lo, s9
	v_add_nc_u32_e32 v16, 1, v10
	v_add_nc_u32_e32 v17, 1, v15
	s_waitcnt lgkmcnt(0)
	v_cmp_lt_u16_sdwa s10, v21, v20 src0_sel:BYTE_0 src1_sel:BYTE_0
                                        ; implicit-def: $vgpr22
	v_cndmask_b32_e64 v16, v16, v10, s8
	v_cndmask_b32_e64 v17, v15, v17, s8
	v_cmp_ge_i32_e32 vcc_lo, v16, v14
	v_cmp_lt_i32_e64 s9, v17, v0
	s_or_b32 s10, vcc_lo, s10
	s_and_b32 vcc_lo, s9, s10
	s_xor_b32 s9, vcc_lo, -1
	s_and_saveexec_b32 s10, s9
	s_xor_b32 s9, exec_lo, s10
; %bb.159:
	v_add_nc_u32_e32 v22, v4, v16
	ds_read_u8 v22, v22 offset:1
; %bb.160:
	s_or_saveexec_b32 s9, s9
	v_mov_b32_e32 v23, v21
	s_xor_b32 exec_lo, exec_lo, s9
	s_cbranch_execz .LBB131_162
; %bb.161:
	s_waitcnt lgkmcnt(0)
	v_add_nc_u32_e32 v22, v4, v17
	ds_read_u8 v23, v22 offset:1
	v_mov_b32_e32 v22, v20
.LBB131_162:
	s_or_b32 exec_lo, exec_lo, s9
	v_add_nc_u32_e32 v24, 1, v16
	v_add_nc_u32_e32 v25, 1, v17
	s_waitcnt lgkmcnt(0)
	v_cmp_lt_u16_sdwa s11, v23, v22 src0_sel:BYTE_0 src1_sel:BYTE_0
                                        ; implicit-def: $vgpr26
	v_cndmask_b32_e32 v24, v24, v16, vcc_lo
	v_cndmask_b32_e32 v25, v17, v25, vcc_lo
	v_cmp_ge_i32_e64 s9, v24, v14
	v_cmp_lt_i32_e64 s10, v25, v0
	s_or_b32 s9, s9, s11
	s_and_b32 s9, s10, s9
	s_xor_b32 s10, s9, -1
	s_and_saveexec_b32 s11, s10
	s_xor_b32 s10, exec_lo, s11
; %bb.163:
	v_add_nc_u32_e32 v26, v4, v24
	ds_read_u8 v26, v26 offset:1
; %bb.164:
	s_or_saveexec_b32 s10, s10
	v_mov_b32_e32 v27, v23
	s_xor_b32 exec_lo, exec_lo, s10
	s_cbranch_execz .LBB131_166
; %bb.165:
	s_waitcnt lgkmcnt(0)
	v_add_nc_u32_e32 v26, v4, v25
	ds_read_u8 v27, v26 offset:1
	v_mov_b32_e32 v26, v22
.LBB131_166:
	s_or_b32 exec_lo, exec_lo, s10
	v_add_nc_u32_e32 v28, 1, v24
	v_add_nc_u32_e32 v29, 1, v25
	s_waitcnt lgkmcnt(0)
	v_cmp_lt_u16_sdwa s12, v27, v26 src0_sel:BYTE_0 src1_sel:BYTE_0
                                        ; implicit-def: $vgpr30
	v_cndmask_b32_e64 v28, v28, v24, s9
	v_cndmask_b32_e64 v29, v25, v29, s9
	v_cmp_ge_i32_e64 s10, v28, v14
	v_cmp_lt_i32_e64 s11, v29, v0
	s_or_b32 s10, s10, s12
	s_and_b32 s10, s11, s10
	s_xor_b32 s11, s10, -1
	s_and_saveexec_b32 s12, s11
	s_xor_b32 s11, exec_lo, s12
; %bb.167:
	v_add_nc_u32_e32 v30, v4, v28
	ds_read_u8 v30, v30 offset:1
; %bb.168:
	s_or_saveexec_b32 s11, s11
	v_mov_b32_e32 v31, v27
	s_xor_b32 exec_lo, exec_lo, s11
	s_cbranch_execz .LBB131_170
; %bb.169:
	s_waitcnt lgkmcnt(0)
	v_add_nc_u32_e32 v30, v4, v29
	ds_read_u8 v31, v30 offset:1
	v_mov_b32_e32 v30, v26
.LBB131_170:
	s_or_b32 exec_lo, exec_lo, s11
	v_add_nc_u32_e32 v32, 1, v28
	v_add_nc_u32_e32 v33, 1, v29
	s_waitcnt lgkmcnt(0)
	v_cmp_lt_u16_sdwa s13, v31, v30 src0_sel:BYTE_0 src1_sel:BYTE_0
                                        ; implicit-def: $vgpr34
	v_cndmask_b32_e64 v32, v32, v28, s10
	v_cndmask_b32_e64 v33, v29, v33, s10
	v_cmp_ge_i32_e64 s11, v32, v14
	v_cmp_lt_i32_e64 s12, v33, v0
	s_or_b32 s11, s11, s13
	s_and_b32 s11, s12, s11
	s_xor_b32 s12, s11, -1
	s_and_saveexec_b32 s13, s12
	s_xor_b32 s12, exec_lo, s13
; %bb.171:
	v_add_nc_u32_e32 v34, v4, v32
	ds_read_u8 v34, v34 offset:1
; %bb.172:
	s_or_saveexec_b32 s12, s12
	v_mov_b32_e32 v35, v31
	s_xor_b32 exec_lo, exec_lo, s12
	s_cbranch_execz .LBB131_174
; %bb.173:
	s_waitcnt lgkmcnt(0)
	v_add_nc_u32_e32 v34, v4, v33
	ds_read_u8 v35, v34 offset:1
	v_mov_b32_e32 v34, v30
.LBB131_174:
	s_or_b32 exec_lo, exec_lo, s12
	v_add_nc_u32_e32 v36, 1, v32
	v_add_nc_u32_e32 v38, 1, v33
	s_waitcnt lgkmcnt(0)
	v_cmp_lt_u16_sdwa s14, v35, v34 src0_sel:BYTE_0 src1_sel:BYTE_0
                                        ; implicit-def: $vgpr42
	v_cndmask_b32_e64 v37, v36, v32, s11
	v_cndmask_b32_e64 v38, v33, v38, s11
	v_cmp_ge_i32_e64 s12, v37, v14
	v_cmp_lt_i32_e64 s13, v38, v0
	s_or_b32 s12, s12, s14
	s_and_b32 s12, s13, s12
	s_xor_b32 s13, s12, -1
	s_and_saveexec_b32 s14, s13
	s_xor_b32 s13, exec_lo, s14
; %bb.175:
	v_add_nc_u32_e32 v36, v4, v37
	ds_read_u8 v42, v36 offset:1
; %bb.176:
	s_or_saveexec_b32 s13, s13
	v_mov_b32_e32 v44, v35
	s_xor_b32 exec_lo, exec_lo, s13
	s_cbranch_execz .LBB131_178
; %bb.177:
	v_add_nc_u32_e32 v36, v4, v38
	s_waitcnt lgkmcnt(0)
	v_mov_b32_e32 v42, v34
	ds_read_u8 v44, v36 offset:1
.LBB131_178:
	s_or_b32 exec_lo, exec_lo, s13
	v_add_nc_u32_e32 v36, 1, v37
	v_add_nc_u32_e32 v39, 1, v38
	s_waitcnt lgkmcnt(0)
	v_cmp_lt_u16_sdwa s15, v44, v42 src0_sel:BYTE_0 src1_sel:BYTE_0
                                        ; implicit-def: $vgpr41
	v_cndmask_b32_e64 v45, v36, v37, s12
	v_cndmask_b32_e64 v36, v38, v39, s12
                                        ; implicit-def: $vgpr39
	v_cmp_ge_i32_e64 s13, v45, v14
	v_cmp_lt_i32_e64 s14, v36, v0
	s_or_b32 s13, s13, s15
	s_and_b32 s13, s14, s13
	s_xor_b32 s14, s13, -1
	s_and_saveexec_b32 s15, s14
	s_xor_b32 s14, exec_lo, s15
; %bb.179:
	v_add_nc_u32_e32 v39, v4, v45
	ds_read_u8 v41, v39 offset:1
	v_add_nc_u32_e32 v39, 1, v45
; %bb.180:
	s_or_saveexec_b32 s14, s14
	v_mov_b32_e32 v40, v45
	v_mov_b32_e32 v43, v44
	s_xor_b32 exec_lo, exec_lo, s14
	s_cbranch_execz .LBB131_182
; %bb.181:
	v_add_nc_u32_e32 v39, v4, v36
	s_waitcnt lgkmcnt(0)
	v_add_nc_u32_e32 v41, 1, v36
	v_mov_b32_e32 v40, v36
	ds_read_u8 v43, v39 offset:1
	v_mov_b32_e32 v39, v45
	v_mov_b32_e32 v36, v41
	;; [unrolled: 1-line block ×3, first 2 shown]
.LBB131_182:
	s_or_b32 exec_lo, exec_lo, s14
	v_perm_b32 v7, v7, v11, 0xc0c0004
	v_perm_b32 v11, v12, v13, 0xc0c0004
	;; [unrolled: 1-line block ×4, first 2 shown]
	v_cndmask_b32_e64 v6, v10, v15, s8
	v_cndmask_b32_e64 v18, v18, v19, s8
	v_cmp_lt_i32_e64 s8, v36, v0
	v_lshl_or_b32 v1, v11, 16, v7
	v_lshl_or_b32 v0, v5, 16, v3
	v_add_nc_u32_e32 v3, v4, v6
	; wave barrier
	v_cndmask_b32_sdwa v19, v20, v21, vcc_lo dst_sel:BYTE_1 dst_unused:UNUSED_PAD src0_sel:DWORD src1_sel:DWORD
	ds_write_b64 v2, v[0:1]
	; wave barrier
	ds_read_u8 v0, v3
	v_cndmask_b32_e64 v20, v22, v23, s9
	v_cndmask_b32_e64 v21, v26, v27, s10
	;; [unrolled: 1-line block ×4, first 2 shown]
	v_cmp_ge_i32_e64 s9, v39, v14
	s_waitcnt lgkmcnt(2)
	v_cmp_lt_u16_sdwa s10, v43, v41 src0_sel:BYTE_0 src1_sel:BYTE_0
	v_cndmask_b32_e64 v22, v30, v31, s11
	v_cndmask_b32_e64 v30, v32, v33, s11
	v_cndmask_b32_e32 v1, v16, v17, vcc_lo
	v_cndmask_b32_e64 v27, v37, v38, s12
	s_or_b32 s9, s9, s10
	v_add_nc_u32_e32 v6, v4, v24
	s_and_b32 vcc_lo, s8, s9
	v_add_nc_u32_e32 v7, v4, v30
	v_cndmask_b32_e32 v5, v39, v36, vcc_lo
	v_add_nc_u32_e32 v1, v4, v1
	v_add_nc_u32_e32 v10, v4, v28
	v_cndmask_b32_e64 v23, v34, v35, s12
	v_cndmask_b32_e32 v2, v41, v43, vcc_lo
	v_lshlrev_b16 v3, 8, v21
	v_add_nc_u32_e32 v11, v4, v27
	v_add_nc_u32_e32 v12, v4, v40
	;; [unrolled: 1-line block ×3, first 2 shown]
	s_waitcnt lgkmcnt(0)
	v_add_nc_u16 v0, v0, v18
	ds_read_u8 v5, v7
	ds_read_u8 v1, v1
	;; [unrolled: 1-line block ×7, first 2 shown]
	v_cndmask_b32_e64 v26, v42, v44, s13
	v_lshlrev_b16 v12, 8, v23
	v_lshlrev_b16 v2, 8, v2
	v_or_b32_sdwa v13, v18, v19 dst_sel:DWORD dst_unused:UNUSED_PAD src0_sel:BYTE_0 src1_sel:DWORD
	v_or_b32_sdwa v3, v20, v3 dst_sel:WORD_1 dst_unused:UNUSED_PAD src0_sel:BYTE_0 src1_sel:DWORD
	v_or_b32_sdwa v0, v0, v19 dst_sel:DWORD dst_unused:UNUSED_PAD src0_sel:BYTE_0 src1_sel:DWORD
	v_or_b32_sdwa v12, v22, v12 dst_sel:DWORD dst_unused:UNUSED_PAD src0_sel:BYTE_0 src1_sel:DWORD
	v_or_b32_sdwa v2, v26, v2 dst_sel:WORD_1 dst_unused:UNUSED_PAD src0_sel:BYTE_0 src1_sel:DWORD
	v_or_b32_sdwa v13, v13, v3 dst_sel:DWORD dst_unused:UNUSED_PAD src0_sel:WORD_0 src1_sel:DWORD
	v_or_b32_sdwa v0, v0, v3 dst_sel:DWORD dst_unused:UNUSED_PAD src0_sel:WORD_0 src1_sel:DWORD
	;; [unrolled: 1-line block ×3, first 2 shown]
	s_waitcnt lgkmcnt(6)
	v_add_nc_u16 v3, v12, v5
	v_cndmask_b32_e64 v0, v13, v0, s0
	v_perm_b32 v3, v3, v2, 0x3020104
	v_lshrrev_b32_e32 v5, 8, v0
	v_cndmask_b32_e64 v2, v2, v3, s4
	s_waitcnt lgkmcnt(5)
	v_add_nc_u16 v1, v5, v1
	v_mov_b32_e32 v5, 0xff
	v_lshrrev_b32_e32 v3, 8, v2
	v_lshlrev_b16 v1, 8, v1
	s_waitcnt lgkmcnt(2)
	v_add_nc_u16 v3, v3, v10
	v_or_b32_sdwa v1, v0, v1 dst_sel:DWORD dst_unused:UNUSED_PAD src0_sel:BYTE_0 src1_sel:DWORD
	v_lshlrev_b16 v3, 8, v3
	v_and_b32_e32 v1, 0xffff, v1
	v_or_b32_sdwa v3, v2, v3 dst_sel:DWORD dst_unused:UNUSED_PAD src0_sel:BYTE_0 src1_sel:DWORD
	v_and_or_b32 v1, 0xffff0000, v0, v1
	v_and_b32_e32 v3, 0xffff, v3
	v_cndmask_b32_e64 v0, v0, v1, s1
	v_and_or_b32 v1, 0xffff0000, v2, v3
	v_lshrrev_b32_e32 v3, 16, v0
	v_cndmask_b32_e64 v1, v2, v1, s5
	v_add_nc_u16 v2, v3, v6
	v_lshrrev_b32_e32 v3, 16, v1
	v_perm_b32 v2, v2, v0, 0xc0c0304
	s_waitcnt lgkmcnt(1)
	v_add_nc_u16 v3, v3, v11
	v_lshlrev_b32_e32 v2, 16, v2
	v_perm_b32 v3, v1, v3, 0x7000504
	v_and_or_b32 v2, 0xffff, v0, v2
	v_cndmask_b32_e64 v1, v1, v3, s6
	v_cndmask_b32_e64 v0, v0, v2, s2
	v_lshrrev_b32_e32 v2, 24, v1
	v_lshrrev_b32_e32 v3, 24, v0
	s_waitcnt lgkmcnt(0)
	v_add_nc_u16 v2, v2, v4
	v_and_b32_sdwa v4, v1, v5 dst_sel:DWORD dst_unused:UNUSED_PAD src0_sel:WORD_1 src1_sel:DWORD
	v_add_nc_u16 v3, v3, v7
	v_and_b32_sdwa v5, v0, v5 dst_sel:DWORD dst_unused:UNUSED_PAD src0_sel:WORD_1 src1_sel:DWORD
	v_lshlrev_b16 v2, 8, v2
	v_lshlrev_b16 v3, 8, v3
	v_or_b32_sdwa v2, v4, v2 dst_sel:WORD_1 dst_unused:UNUSED_PAD src0_sel:DWORD src1_sel:DWORD
	v_add_co_u32 v4, s8, s18, v9
	v_or_b32_sdwa v3, v5, v3 dst_sel:WORD_1 dst_unused:UNUSED_PAD src0_sel:DWORD src1_sel:DWORD
	v_add_co_ci_u32_e64 v5, null, s19, 0, s8
	v_and_or_b32 v2, 0xffff, v1, v2
	v_and_or_b32 v3, 0xffff, v0, v3
	v_cndmask_b32_e64 v2, v1, v2, s7
	v_cndmask_b32_e64 v3, v0, v3, s3
	v_add_co_u32 v0, vcc_lo, v4, v8
	v_add_co_ci_u32_e64 v1, null, 0, v5, vcc_lo
	s_and_saveexec_b32 s8, s0
	s_cbranch_execnz .LBB131_191
; %bb.183:
	s_or_b32 exec_lo, exec_lo, s8
	s_and_saveexec_b32 s0, s1
	s_cbranch_execnz .LBB131_192
.LBB131_184:
	s_or_b32 exec_lo, exec_lo, s0
	s_and_saveexec_b32 s0, s2
	s_cbranch_execnz .LBB131_193
.LBB131_185:
	s_or_b32 exec_lo, exec_lo, s0
	s_and_saveexec_b32 s0, s3
	s_cbranch_execnz .LBB131_194
.LBB131_186:
	s_or_b32 exec_lo, exec_lo, s0
	s_and_saveexec_b32 s0, s4
	s_cbranch_execnz .LBB131_195
.LBB131_187:
	s_or_b32 exec_lo, exec_lo, s0
	s_and_saveexec_b32 s0, s5
	s_cbranch_execnz .LBB131_196
.LBB131_188:
	s_or_b32 exec_lo, exec_lo, s0
	s_and_saveexec_b32 s0, s6
	s_cbranch_execnz .LBB131_197
.LBB131_189:
	s_or_b32 exec_lo, exec_lo, s0
	s_and_saveexec_b32 s0, s7
	s_cbranch_execnz .LBB131_198
.LBB131_190:
	s_endpgm
.LBB131_191:
	global_store_byte v[0:1], v3, off
	s_or_b32 exec_lo, exec_lo, s8
	s_and_saveexec_b32 s0, s1
	s_cbranch_execz .LBB131_184
.LBB131_192:
	v_lshrrev_b32_e32 v4, 8, v3
	global_store_byte v[0:1], v4, off offset:1
	s_or_b32 exec_lo, exec_lo, s0
	s_and_saveexec_b32 s0, s2
	s_cbranch_execz .LBB131_185
.LBB131_193:
	global_store_byte_d16_hi v[0:1], v3, off offset:2
	s_or_b32 exec_lo, exec_lo, s0
	s_and_saveexec_b32 s0, s3
	s_cbranch_execz .LBB131_186
.LBB131_194:
	v_lshrrev_b32_e32 v3, 24, v3
	global_store_byte v[0:1], v3, off offset:3
	s_or_b32 exec_lo, exec_lo, s0
	s_and_saveexec_b32 s0, s4
	s_cbranch_execz .LBB131_187
.LBB131_195:
	global_store_byte v[0:1], v2, off offset:4
	s_or_b32 exec_lo, exec_lo, s0
	s_and_saveexec_b32 s0, s5
	s_cbranch_execz .LBB131_188
.LBB131_196:
	v_lshrrev_b32_e32 v3, 8, v2
	global_store_byte v[0:1], v3, off offset:5
	s_or_b32 exec_lo, exec_lo, s0
	s_and_saveexec_b32 s0, s6
	s_cbranch_execz .LBB131_189
.LBB131_197:
	global_store_byte_d16_hi v[0:1], v2, off offset:6
	s_or_b32 exec_lo, exec_lo, s0
	s_and_saveexec_b32 s0, s7
	s_cbranch_execz .LBB131_190
.LBB131_198:
	v_lshrrev_b32_e32 v2, 24, v2
	global_store_byte v[0:1], v2, off offset:7
	s_endpgm
	.section	.rodata,"a",@progbits
	.p2align	6, 0x0
	.amdhsa_kernel _Z20sort_pairs_segmentedILj256ELj32ELj8EhN10test_utils4lessEEvPKT2_PS2_PKjT3_
		.amdhsa_group_segment_fixed_size 2056
		.amdhsa_private_segment_fixed_size 0
		.amdhsa_kernarg_size 28
		.amdhsa_user_sgpr_count 6
		.amdhsa_user_sgpr_private_segment_buffer 1
		.amdhsa_user_sgpr_dispatch_ptr 0
		.amdhsa_user_sgpr_queue_ptr 0
		.amdhsa_user_sgpr_kernarg_segment_ptr 1
		.amdhsa_user_sgpr_dispatch_id 0
		.amdhsa_user_sgpr_flat_scratch_init 0
		.amdhsa_user_sgpr_private_segment_size 0
		.amdhsa_wavefront_size32 1
		.amdhsa_uses_dynamic_stack 0
		.amdhsa_system_sgpr_private_segment_wavefront_offset 0
		.amdhsa_system_sgpr_workgroup_id_x 1
		.amdhsa_system_sgpr_workgroup_id_y 0
		.amdhsa_system_sgpr_workgroup_id_z 0
		.amdhsa_system_sgpr_workgroup_info 0
		.amdhsa_system_vgpr_workitem_id 0
		.amdhsa_next_free_vgpr 47
		.amdhsa_next_free_sgpr 20
		.amdhsa_reserve_vcc 1
		.amdhsa_reserve_flat_scratch 0
		.amdhsa_float_round_mode_32 0
		.amdhsa_float_round_mode_16_64 0
		.amdhsa_float_denorm_mode_32 3
		.amdhsa_float_denorm_mode_16_64 3
		.amdhsa_dx10_clamp 1
		.amdhsa_ieee_mode 1
		.amdhsa_fp16_overflow 0
		.amdhsa_workgroup_processor_mode 1
		.amdhsa_memory_ordered 1
		.amdhsa_forward_progress 1
		.amdhsa_shared_vgpr_count 0
		.amdhsa_exception_fp_ieee_invalid_op 0
		.amdhsa_exception_fp_denorm_src 0
		.amdhsa_exception_fp_ieee_div_zero 0
		.amdhsa_exception_fp_ieee_overflow 0
		.amdhsa_exception_fp_ieee_underflow 0
		.amdhsa_exception_fp_ieee_inexact 0
		.amdhsa_exception_int_div_zero 0
	.end_amdhsa_kernel
	.section	.text._Z20sort_pairs_segmentedILj256ELj32ELj8EhN10test_utils4lessEEvPKT2_PS2_PKjT3_,"axG",@progbits,_Z20sort_pairs_segmentedILj256ELj32ELj8EhN10test_utils4lessEEvPKT2_PS2_PKjT3_,comdat
.Lfunc_end131:
	.size	_Z20sort_pairs_segmentedILj256ELj32ELj8EhN10test_utils4lessEEvPKT2_PS2_PKjT3_, .Lfunc_end131-_Z20sort_pairs_segmentedILj256ELj32ELj8EhN10test_utils4lessEEvPKT2_PS2_PKjT3_
                                        ; -- End function
	.set _Z20sort_pairs_segmentedILj256ELj32ELj8EhN10test_utils4lessEEvPKT2_PS2_PKjT3_.num_vgpr, 47
	.set _Z20sort_pairs_segmentedILj256ELj32ELj8EhN10test_utils4lessEEvPKT2_PS2_PKjT3_.num_agpr, 0
	.set _Z20sort_pairs_segmentedILj256ELj32ELj8EhN10test_utils4lessEEvPKT2_PS2_PKjT3_.numbered_sgpr, 20
	.set _Z20sort_pairs_segmentedILj256ELj32ELj8EhN10test_utils4lessEEvPKT2_PS2_PKjT3_.num_named_barrier, 0
	.set _Z20sort_pairs_segmentedILj256ELj32ELj8EhN10test_utils4lessEEvPKT2_PS2_PKjT3_.private_seg_size, 0
	.set _Z20sort_pairs_segmentedILj256ELj32ELj8EhN10test_utils4lessEEvPKT2_PS2_PKjT3_.uses_vcc, 1
	.set _Z20sort_pairs_segmentedILj256ELj32ELj8EhN10test_utils4lessEEvPKT2_PS2_PKjT3_.uses_flat_scratch, 0
	.set _Z20sort_pairs_segmentedILj256ELj32ELj8EhN10test_utils4lessEEvPKT2_PS2_PKjT3_.has_dyn_sized_stack, 0
	.set _Z20sort_pairs_segmentedILj256ELj32ELj8EhN10test_utils4lessEEvPKT2_PS2_PKjT3_.has_recursion, 0
	.set _Z20sort_pairs_segmentedILj256ELj32ELj8EhN10test_utils4lessEEvPKT2_PS2_PKjT3_.has_indirect_call, 0
	.section	.AMDGPU.csdata,"",@progbits
; Kernel info:
; codeLenInByte = 11256
; TotalNumSgprs: 22
; NumVgprs: 47
; ScratchSize: 0
; MemoryBound: 0
; FloatMode: 240
; IeeeMode: 1
; LDSByteSize: 2056 bytes/workgroup (compile time only)
; SGPRBlocks: 0
; VGPRBlocks: 5
; NumSGPRsForWavesPerEU: 22
; NumVGPRsForWavesPerEU: 47
; Occupancy: 16
; WaveLimiterHint : 0
; COMPUTE_PGM_RSRC2:SCRATCH_EN: 0
; COMPUTE_PGM_RSRC2:USER_SGPR: 6
; COMPUTE_PGM_RSRC2:TRAP_HANDLER: 0
; COMPUTE_PGM_RSRC2:TGID_X_EN: 1
; COMPUTE_PGM_RSRC2:TGID_Y_EN: 0
; COMPUTE_PGM_RSRC2:TGID_Z_EN: 0
; COMPUTE_PGM_RSRC2:TIDIG_COMP_CNT: 0
	.section	.text._Z9sort_keysILj256ELj64ELj1EhN10test_utils4lessEEvPKT2_PS2_T3_,"axG",@progbits,_Z9sort_keysILj256ELj64ELj1EhN10test_utils4lessEEvPKT2_PS2_T3_,comdat
	.protected	_Z9sort_keysILj256ELj64ELj1EhN10test_utils4lessEEvPKT2_PS2_T3_ ; -- Begin function _Z9sort_keysILj256ELj64ELj1EhN10test_utils4lessEEvPKT2_PS2_T3_
	.globl	_Z9sort_keysILj256ELj64ELj1EhN10test_utils4lessEEvPKT2_PS2_T3_
	.p2align	8
	.type	_Z9sort_keysILj256ELj64ELj1EhN10test_utils4lessEEvPKT2_PS2_T3_,@function
_Z9sort_keysILj256ELj64ELj1EhN10test_utils4lessEEvPKT2_PS2_T3_: ; @_Z9sort_keysILj256ELj64ELj1EhN10test_utils4lessEEvPKT2_PS2_T3_
; %bb.0:
	s_load_dwordx4 s[0:3], s[4:5], 0x0
	s_lshl_b32 s4, s6, 8
	v_mbcnt_lo_u32_b32 v1, -1, 0
	v_lshrrev_b32_e32 v9, 6, v0
	v_and_b32_e32 v3, 30, v1
	v_and_b32_e32 v4, 1, v1
	v_mad_u32_u24 v10, 0x41, v9, v1
	v_or_b32_e32 v5, 1, v3
	v_add_nc_u32_e32 v2, -1, v4
	v_cmp_lt_i32_e32 vcc_lo, 0, v4
	v_sub_nc_u32_e32 v7, v5, v3
	v_cndmask_b32_e32 v6, 0, v2, vcc_lo
	s_waitcnt lgkmcnt(0)
	s_add_u32 s0, s0, s4
	s_addc_u32 s1, s1, 0
	v_min_i32_e32 v7, v4, v7
	global_load_ubyte v8, v0, s[0:1]
	v_mul_u32_u24_e32 v2, 0x41, v9
	s_mov_b32 s0, 0
	s_mov_b32 s1, exec_lo
	; wave barrier
	s_waitcnt vmcnt(0)
	ds_write_b8 v10, v8
	; wave barrier
	v_cmpx_lt_i32_e64 v6, v7
	s_cbranch_execz .LBB132_4
; %bb.1:
	v_add_nc_u32_e32 v8, v2, v3
	v_add3_u32 v9, v2, v5, v4
	.p2align	6
.LBB132_2:                              ; =>This Inner Loop Header: Depth=1
	v_sub_nc_u32_e32 v10, v7, v6
	v_lshrrev_b32_e32 v10, 1, v10
	v_add_nc_u32_e32 v10, v10, v6
	v_add_nc_u32_e32 v11, v8, v10
	v_xad_u32 v12, v10, -1, v9
	v_add_nc_u32_e32 v13, 1, v10
	ds_read_u8 v11, v11
	ds_read_u8 v12, v12
	s_waitcnt lgkmcnt(0)
	v_cmp_lt_u16_e32 vcc_lo, v12, v11
	v_cndmask_b32_e32 v7, v7, v10, vcc_lo
	v_cndmask_b32_e32 v6, v13, v6, vcc_lo
	v_cmp_ge_i32_e32 vcc_lo, v6, v7
	s_or_b32 s0, vcc_lo, s0
	s_andn2_b32 exec_lo, exec_lo, s0
	s_cbranch_execnz .LBB132_2
; %bb.3:
	s_or_b32 exec_lo, exec_lo, s0
.LBB132_4:
	s_or_b32 exec_lo, exec_lo, s1
	v_add_nc_u32_e32 v4, v5, v4
	v_add_nc_u32_e32 v3, v6, v3
	v_and_b32_e32 v7, 28, v1
	v_and_b32_e32 v8, 3, v1
	v_sub_nc_u32_e32 v9, v4, v6
	v_add_nc_u32_e32 v4, v2, v3
	v_cmp_le_i32_e32 vcc_lo, v5, v3
	v_add_nc_u32_e32 v3, v2, v1
	v_add_nc_u32_e32 v6, v2, v9
	v_cmp_ge_i32_e64 s0, v5, v9
	ds_read_u8 v10, v4
	ds_read_u8 v11, v6
	v_or_b32_e32 v6, 2, v7
	v_add_nc_u32_e32 v4, 4, v7
	; wave barrier
	v_sub_nc_u32_e32 v13, v6, v7
	v_sub_nc_u32_e32 v12, v4, v6
	v_min_i32_e32 v9, v8, v13
	v_sub_nc_u32_e32 v14, v8, v12
	s_waitcnt lgkmcnt(0)
	v_cmp_lt_u16_sdwa s1, v11, v10 src0_sel:BYTE_0 src1_sel:BYTE_0
	s_or_b32 s1, vcc_lo, s1
	v_cmp_ge_i32_e32 vcc_lo, v8, v12
	v_cndmask_b32_e32 v5, 0, v14, vcc_lo
	s_and_b32 vcc_lo, s0, s1
	s_mov_b32 s0, 0
	v_cndmask_b32_e32 v10, v10, v11, vcc_lo
	s_mov_b32 s1, exec_lo
	ds_write_b8 v3, v10
	; wave barrier
	v_cmpx_lt_i32_e64 v5, v9
	s_cbranch_execz .LBB132_8
; %bb.5:
	v_add_nc_u32_e32 v10, v2, v7
	v_add3_u32 v11, v2, v6, v8
	.p2align	6
.LBB132_6:                              ; =>This Inner Loop Header: Depth=1
	v_sub_nc_u32_e32 v12, v9, v5
	v_lshrrev_b32_e32 v12, 1, v12
	v_add_nc_u32_e32 v12, v12, v5
	v_add_nc_u32_e32 v13, v10, v12
	v_xad_u32 v14, v12, -1, v11
	v_add_nc_u32_e32 v15, 1, v12
	ds_read_u8 v13, v13
	ds_read_u8 v14, v14
	s_waitcnt lgkmcnt(0)
	v_cmp_lt_u16_e32 vcc_lo, v14, v13
	v_cndmask_b32_e32 v9, v9, v12, vcc_lo
	v_cndmask_b32_e32 v5, v15, v5, vcc_lo
	v_cmp_ge_i32_e32 vcc_lo, v5, v9
	s_or_b32 s0, vcc_lo, s0
	s_andn2_b32 exec_lo, exec_lo, s0
	s_cbranch_execnz .LBB132_6
; %bb.7:
	s_or_b32 exec_lo, exec_lo, s0
.LBB132_8:
	s_or_b32 exec_lo, exec_lo, s1
	v_add_nc_u32_e32 v8, v6, v8
	v_add_nc_u32_e32 v10, v5, v7
	v_and_b32_e32 v9, 7, v1
	v_sub_nc_u32_e32 v11, v8, v5
	v_add_nc_u32_e32 v5, v2, v10
	v_and_b32_e32 v8, 24, v1
	v_cmp_le_i32_e32 vcc_lo, v6, v10
	v_add_nc_u32_e32 v7, v2, v11
	v_cmp_gt_i32_e64 s0, v4, v11
	ds_read_u8 v12, v5
	ds_read_u8 v13, v7
	v_or_b32_e32 v7, 4, v8
	v_add_nc_u32_e32 v5, 8, v8
	; wave barrier
	v_sub_nc_u32_e32 v6, v7, v8
	v_sub_nc_u32_e32 v14, v5, v7
	v_min_i32_e32 v6, v9, v6
	v_sub_nc_u32_e32 v10, v9, v14
	s_waitcnt lgkmcnt(0)
	v_cmp_lt_u16_sdwa s1, v13, v12 src0_sel:BYTE_0 src1_sel:BYTE_0
	s_or_b32 s1, vcc_lo, s1
	v_cmp_ge_i32_e32 vcc_lo, v9, v14
	v_cndmask_b32_e32 v4, 0, v10, vcc_lo
	s_and_b32 vcc_lo, s0, s1
	s_mov_b32 s0, 0
	v_cndmask_b32_e32 v10, v12, v13, vcc_lo
	s_mov_b32 s1, exec_lo
	ds_write_b8 v3, v10
	; wave barrier
	v_cmpx_lt_i32_e64 v4, v6
	s_cbranch_execz .LBB132_12
; %bb.9:
	v_add_nc_u32_e32 v10, v2, v8
	v_add3_u32 v11, v2, v7, v9
	.p2align	6
.LBB132_10:                             ; =>This Inner Loop Header: Depth=1
	v_sub_nc_u32_e32 v12, v6, v4
	v_lshrrev_b32_e32 v12, 1, v12
	v_add_nc_u32_e32 v12, v12, v4
	v_add_nc_u32_e32 v13, v10, v12
	v_xad_u32 v14, v12, -1, v11
	v_add_nc_u32_e32 v15, 1, v12
	ds_read_u8 v13, v13
	ds_read_u8 v14, v14
	s_waitcnt lgkmcnt(0)
	v_cmp_lt_u16_e32 vcc_lo, v14, v13
	v_cndmask_b32_e32 v6, v6, v12, vcc_lo
	v_cndmask_b32_e32 v4, v15, v4, vcc_lo
	v_cmp_ge_i32_e32 vcc_lo, v4, v6
	s_or_b32 s0, vcc_lo, s0
	s_andn2_b32 exec_lo, exec_lo, s0
	s_cbranch_execnz .LBB132_10
; %bb.11:
	s_or_b32 exec_lo, exec_lo, s0
.LBB132_12:
	s_or_b32 exec_lo, exec_lo, s1
	v_add_nc_u32_e32 v6, v7, v9
	v_add_nc_u32_e32 v10, v4, v8
	v_and_b32_e32 v8, 16, v1
	v_and_b32_e32 v9, 15, v1
	v_sub_nc_u32_e32 v11, v6, v4
	v_add_nc_u32_e32 v4, v2, v10
	v_cmp_le_i32_e32 vcc_lo, v7, v10
	v_add_nc_u32_e32 v6, v2, v11
	v_cmp_gt_i32_e64 s0, v5, v11
	ds_read_u8 v12, v4
	ds_read_u8 v13, v6
	v_or_b32_e32 v6, 8, v8
	v_add_nc_u32_e32 v4, 16, v8
	; wave barrier
	v_sub_nc_u32_e32 v7, v6, v8
	v_sub_nc_u32_e32 v14, v4, v6
	v_min_i32_e32 v7, v9, v7
	v_sub_nc_u32_e32 v10, v9, v14
	s_waitcnt lgkmcnt(0)
	v_cmp_lt_u16_sdwa s1, v13, v12 src0_sel:BYTE_0 src1_sel:BYTE_0
	s_or_b32 s1, vcc_lo, s1
	v_cmp_ge_i32_e32 vcc_lo, v9, v14
	v_cndmask_b32_e32 v5, 0, v10, vcc_lo
	s_and_b32 vcc_lo, s0, s1
	s_mov_b32 s0, 0
	v_cndmask_b32_e32 v10, v12, v13, vcc_lo
	s_mov_b32 s1, exec_lo
	ds_write_b8 v3, v10
	; wave barrier
	v_cmpx_lt_i32_e64 v5, v7
	s_cbranch_execz .LBB132_16
; %bb.13:
	v_add_nc_u32_e32 v10, v2, v8
	v_add3_u32 v11, v2, v6, v9
	.p2align	6
.LBB132_14:                             ; =>This Inner Loop Header: Depth=1
	v_sub_nc_u32_e32 v12, v7, v5
	v_lshrrev_b32_e32 v12, 1, v12
	v_add_nc_u32_e32 v12, v12, v5
	v_add_nc_u32_e32 v13, v10, v12
	v_xad_u32 v14, v12, -1, v11
	v_add_nc_u32_e32 v15, 1, v12
	ds_read_u8 v13, v13
	ds_read_u8 v14, v14
	s_waitcnt lgkmcnt(0)
	v_cmp_lt_u16_e32 vcc_lo, v14, v13
	v_cndmask_b32_e32 v7, v7, v12, vcc_lo
	v_cndmask_b32_e32 v5, v15, v5, vcc_lo
	v_cmp_ge_i32_e32 vcc_lo, v5, v7
	s_or_b32 s0, vcc_lo, s0
	s_andn2_b32 exec_lo, exec_lo, s0
	s_cbranch_execnz .LBB132_14
; %bb.15:
	s_or_b32 exec_lo, exec_lo, s0
.LBB132_16:
	s_or_b32 exec_lo, exec_lo, s1
	v_add_nc_u32_e32 v7, v6, v9
	v_add_nc_u32_e32 v8, v5, v8
	v_add_nc_u32_e32 v11, -16, v1
	v_cmp_lt_i32_e64 s1, 15, v1
	v_sub_nc_u32_e32 v7, v7, v5
	v_add_nc_u32_e32 v5, v2, v8
	v_cmp_le_i32_e32 vcc_lo, v6, v8
	v_add_nc_u32_e32 v9, v2, v7
	v_cmp_gt_i32_e64 s0, v4, v7
	v_cndmask_b32_e64 v4, 0, v11, s1
	ds_read_u8 v10, v5
	ds_read_u8 v9, v9
	v_min_i32_e32 v5, 16, v1
	; wave barrier
	s_waitcnt lgkmcnt(0)
	v_cmp_lt_u16_sdwa s5, v9, v10 src0_sel:BYTE_0 src1_sel:BYTE_0
	s_or_b32 s1, vcc_lo, s5
	s_and_b32 vcc_lo, s0, s1
	s_mov_b32 s0, exec_lo
	v_cndmask_b32_e32 v6, v10, v9, vcc_lo
	ds_write_b8 v3, v6
	; wave barrier
	v_cmpx_lt_i32_e64 v4, v5
	s_cbranch_execz .LBB132_20
; %bb.17:
	v_add3_u32 v6, v2, 16, v1
	s_mov_b32 s1, 0
	.p2align	6
.LBB132_18:                             ; =>This Inner Loop Header: Depth=1
	v_sub_nc_u32_e32 v7, v5, v4
	v_lshrrev_b32_e32 v7, 1, v7
	v_add_nc_u32_e32 v7, v7, v4
	v_add_nc_u32_e32 v8, v2, v7
	v_xad_u32 v9, v7, -1, v6
	v_add_nc_u32_e32 v10, 1, v7
	ds_read_u8 v8, v8
	ds_read_u8 v9, v9
	s_waitcnt lgkmcnt(0)
	v_cmp_lt_u16_e32 vcc_lo, v9, v8
	v_cndmask_b32_e32 v5, v5, v7, vcc_lo
	v_cndmask_b32_e32 v4, v10, v4, vcc_lo
	v_cmp_ge_i32_e32 vcc_lo, v4, v5
	s_or_b32 s1, vcc_lo, s1
	s_andn2_b32 exec_lo, exec_lo, s1
	s_cbranch_execnz .LBB132_18
; %bb.19:
	s_or_b32 exec_lo, exec_lo, s1
.LBB132_20:
	s_or_b32 exec_lo, exec_lo, s0
	v_add_nc_u32_e32 v5, 16, v1
	v_add_nc_u32_e32 v6, v2, v4
	v_cmp_le_i32_e32 vcc_lo, 16, v4
	v_cmp_lt_i32_e64 s1, 31, v1
	v_sub_nc_u32_e32 v5, v5, v4
	v_or_b32_e32 v4, 0xffffffe0, v1
	v_add_nc_u32_e32 v7, v2, v5
	v_cmp_gt_i32_e64 s0, 32, v5
	v_cndmask_b32_e64 v4, 0, v4, s1
	ds_read_u8 v6, v6
	ds_read_u8 v7, v7
	; wave barrier
	s_waitcnt lgkmcnt(0)
	v_cmp_lt_u16_sdwa s5, v7, v6 src0_sel:BYTE_0 src1_sel:BYTE_0
	s_or_b32 s1, vcc_lo, s5
	s_and_b32 vcc_lo, s0, s1
	s_mov_b32 s0, exec_lo
	v_cndmask_b32_e32 v5, v6, v7, vcc_lo
	ds_write_b8 v3, v5
	; wave barrier
	v_cmpx_lt_i32_e64 v4, v1
	s_cbranch_execz .LBB132_24
; %bb.21:
	v_add3_u32 v3, v2, 32, v1
	v_mov_b32_e32 v5, v1
	s_mov_b32 s1, 0
	.p2align	6
.LBB132_22:                             ; =>This Inner Loop Header: Depth=1
	v_sub_nc_u32_e32 v6, v5, v4
	v_lshrrev_b32_e32 v6, 1, v6
	v_add_nc_u32_e32 v6, v6, v4
	v_add_nc_u32_e32 v7, v2, v6
	v_xad_u32 v8, v6, -1, v3
	v_add_nc_u32_e32 v9, 1, v6
	ds_read_u8 v7, v7
	ds_read_u8 v8, v8
	s_waitcnt lgkmcnt(0)
	v_cmp_lt_u16_e32 vcc_lo, v8, v7
	v_cndmask_b32_e32 v5, v5, v6, vcc_lo
	v_cndmask_b32_e32 v4, v9, v4, vcc_lo
	v_cmp_ge_i32_e32 vcc_lo, v4, v5
	s_or_b32 s1, vcc_lo, s1
	s_andn2_b32 exec_lo, exec_lo, s1
	s_cbranch_execnz .LBB132_22
; %bb.23:
	s_or_b32 exec_lo, exec_lo, s1
.LBB132_24:
	s_or_b32 exec_lo, exec_lo, s0
	v_add_nc_u32_e32 v1, 32, v1
	v_add_nc_u32_e32 v3, v2, v4
	v_cmp_le_i32_e32 vcc_lo, 32, v4
	v_sub_nc_u32_e32 v1, v1, v4
	v_add_nc_u32_e32 v2, v2, v1
	v_cmp_gt_i32_e64 s0, 64, v1
	ds_read_u8 v3, v3
	ds_read_u8 v2, v2
	s_waitcnt lgkmcnt(0)
	v_cmp_lt_u16_sdwa s1, v2, v3 src0_sel:BYTE_0 src1_sel:BYTE_0
	s_or_b32 s1, vcc_lo, s1
	s_and_b32 vcc_lo, s0, s1
	s_add_u32 s0, s2, s4
	s_addc_u32 s1, s3, 0
	v_add_co_u32 v0, s0, s0, v0
	v_cndmask_b32_e32 v2, v3, v2, vcc_lo
	v_add_co_ci_u32_e64 v1, null, s1, 0, s0
	global_store_byte v[0:1], v2, off
	s_endpgm
	.section	.rodata,"a",@progbits
	.p2align	6, 0x0
	.amdhsa_kernel _Z9sort_keysILj256ELj64ELj1EhN10test_utils4lessEEvPKT2_PS2_T3_
		.amdhsa_group_segment_fixed_size 260
		.amdhsa_private_segment_fixed_size 0
		.amdhsa_kernarg_size 20
		.amdhsa_user_sgpr_count 6
		.amdhsa_user_sgpr_private_segment_buffer 1
		.amdhsa_user_sgpr_dispatch_ptr 0
		.amdhsa_user_sgpr_queue_ptr 0
		.amdhsa_user_sgpr_kernarg_segment_ptr 1
		.amdhsa_user_sgpr_dispatch_id 0
		.amdhsa_user_sgpr_flat_scratch_init 0
		.amdhsa_user_sgpr_private_segment_size 0
		.amdhsa_wavefront_size32 1
		.amdhsa_uses_dynamic_stack 0
		.amdhsa_system_sgpr_private_segment_wavefront_offset 0
		.amdhsa_system_sgpr_workgroup_id_x 1
		.amdhsa_system_sgpr_workgroup_id_y 0
		.amdhsa_system_sgpr_workgroup_id_z 0
		.amdhsa_system_sgpr_workgroup_info 0
		.amdhsa_system_vgpr_workitem_id 0
		.amdhsa_next_free_vgpr 16
		.amdhsa_next_free_sgpr 7
		.amdhsa_reserve_vcc 1
		.amdhsa_reserve_flat_scratch 0
		.amdhsa_float_round_mode_32 0
		.amdhsa_float_round_mode_16_64 0
		.amdhsa_float_denorm_mode_32 3
		.amdhsa_float_denorm_mode_16_64 3
		.amdhsa_dx10_clamp 1
		.amdhsa_ieee_mode 1
		.amdhsa_fp16_overflow 0
		.amdhsa_workgroup_processor_mode 1
		.amdhsa_memory_ordered 1
		.amdhsa_forward_progress 1
		.amdhsa_shared_vgpr_count 0
		.amdhsa_exception_fp_ieee_invalid_op 0
		.amdhsa_exception_fp_denorm_src 0
		.amdhsa_exception_fp_ieee_div_zero 0
		.amdhsa_exception_fp_ieee_overflow 0
		.amdhsa_exception_fp_ieee_underflow 0
		.amdhsa_exception_fp_ieee_inexact 0
		.amdhsa_exception_int_div_zero 0
	.end_amdhsa_kernel
	.section	.text._Z9sort_keysILj256ELj64ELj1EhN10test_utils4lessEEvPKT2_PS2_T3_,"axG",@progbits,_Z9sort_keysILj256ELj64ELj1EhN10test_utils4lessEEvPKT2_PS2_T3_,comdat
.Lfunc_end132:
	.size	_Z9sort_keysILj256ELj64ELj1EhN10test_utils4lessEEvPKT2_PS2_T3_, .Lfunc_end132-_Z9sort_keysILj256ELj64ELj1EhN10test_utils4lessEEvPKT2_PS2_T3_
                                        ; -- End function
	.set _Z9sort_keysILj256ELj64ELj1EhN10test_utils4lessEEvPKT2_PS2_T3_.num_vgpr, 16
	.set _Z9sort_keysILj256ELj64ELj1EhN10test_utils4lessEEvPKT2_PS2_T3_.num_agpr, 0
	.set _Z9sort_keysILj256ELj64ELj1EhN10test_utils4lessEEvPKT2_PS2_T3_.numbered_sgpr, 7
	.set _Z9sort_keysILj256ELj64ELj1EhN10test_utils4lessEEvPKT2_PS2_T3_.num_named_barrier, 0
	.set _Z9sort_keysILj256ELj64ELj1EhN10test_utils4lessEEvPKT2_PS2_T3_.private_seg_size, 0
	.set _Z9sort_keysILj256ELj64ELj1EhN10test_utils4lessEEvPKT2_PS2_T3_.uses_vcc, 1
	.set _Z9sort_keysILj256ELj64ELj1EhN10test_utils4lessEEvPKT2_PS2_T3_.uses_flat_scratch, 0
	.set _Z9sort_keysILj256ELj64ELj1EhN10test_utils4lessEEvPKT2_PS2_T3_.has_dyn_sized_stack, 0
	.set _Z9sort_keysILj256ELj64ELj1EhN10test_utils4lessEEvPKT2_PS2_T3_.has_recursion, 0
	.set _Z9sort_keysILj256ELj64ELj1EhN10test_utils4lessEEvPKT2_PS2_T3_.has_indirect_call, 0
	.section	.AMDGPU.csdata,"",@progbits
; Kernel info:
; codeLenInByte = 1660
; TotalNumSgprs: 9
; NumVgprs: 16
; ScratchSize: 0
; MemoryBound: 0
; FloatMode: 240
; IeeeMode: 1
; LDSByteSize: 260 bytes/workgroup (compile time only)
; SGPRBlocks: 0
; VGPRBlocks: 1
; NumSGPRsForWavesPerEU: 9
; NumVGPRsForWavesPerEU: 16
; Occupancy: 16
; WaveLimiterHint : 0
; COMPUTE_PGM_RSRC2:SCRATCH_EN: 0
; COMPUTE_PGM_RSRC2:USER_SGPR: 6
; COMPUTE_PGM_RSRC2:TRAP_HANDLER: 0
; COMPUTE_PGM_RSRC2:TGID_X_EN: 1
; COMPUTE_PGM_RSRC2:TGID_Y_EN: 0
; COMPUTE_PGM_RSRC2:TGID_Z_EN: 0
; COMPUTE_PGM_RSRC2:TIDIG_COMP_CNT: 0
	.section	.text._Z10sort_pairsILj256ELj64ELj1EhN10test_utils4lessEEvPKT2_PS2_T3_,"axG",@progbits,_Z10sort_pairsILj256ELj64ELj1EhN10test_utils4lessEEvPKT2_PS2_T3_,comdat
	.protected	_Z10sort_pairsILj256ELj64ELj1EhN10test_utils4lessEEvPKT2_PS2_T3_ ; -- Begin function _Z10sort_pairsILj256ELj64ELj1EhN10test_utils4lessEEvPKT2_PS2_T3_
	.globl	_Z10sort_pairsILj256ELj64ELj1EhN10test_utils4lessEEvPKT2_PS2_T3_
	.p2align	8
	.type	_Z10sort_pairsILj256ELj64ELj1EhN10test_utils4lessEEvPKT2_PS2_T3_,@function
_Z10sort_pairsILj256ELj64ELj1EhN10test_utils4lessEEvPKT2_PS2_T3_: ; @_Z10sort_pairsILj256ELj64ELj1EhN10test_utils4lessEEvPKT2_PS2_T3_
; %bb.0:
	s_load_dwordx4 s[0:3], s[4:5], 0x0
	s_lshl_b32 s4, s6, 8
	v_mbcnt_lo_u32_b32 v2, -1, 0
	v_lshrrev_b32_e32 v9, 6, v0
	v_and_b32_e32 v5, 30, v2
	v_and_b32_e32 v6, 1, v2
	v_mad_u32_u24 v10, 0x41, v9, v2
	v_or_b32_e32 v4, 1, v5
	v_add_nc_u32_e32 v1, -1, v6
	v_cmp_lt_i32_e32 vcc_lo, 0, v6
	v_sub_nc_u32_e32 v8, v4, v5
	v_cndmask_b32_e32 v7, 0, v1, vcc_lo
	s_waitcnt lgkmcnt(0)
	s_add_u32 s0, s0, s4
	s_addc_u32 s1, s1, 0
	v_min_i32_e32 v8, v6, v8
	global_load_ubyte v3, v0, s[0:1]
	v_mul_u32_u24_e32 v1, 0x41, v9
	s_mov_b32 s0, 0
	s_mov_b32 s1, exec_lo
	; wave barrier
	s_waitcnt vmcnt(0)
	ds_write_b8 v10, v3
	; wave barrier
	v_cmpx_lt_i32_e64 v7, v8
	s_cbranch_execz .LBB133_4
; %bb.1:
	v_add_nc_u32_e32 v9, v1, v5
	v_add3_u32 v10, v1, v4, v6
	.p2align	6
.LBB133_2:                              ; =>This Inner Loop Header: Depth=1
	v_sub_nc_u32_e32 v11, v8, v7
	v_lshrrev_b32_e32 v11, 1, v11
	v_add_nc_u32_e32 v11, v11, v7
	v_add_nc_u32_e32 v12, v9, v11
	v_xad_u32 v13, v11, -1, v10
	v_add_nc_u32_e32 v14, 1, v11
	ds_read_u8 v12, v12
	ds_read_u8 v13, v13
	s_waitcnt lgkmcnt(0)
	v_cmp_lt_u16_e32 vcc_lo, v13, v12
	v_cndmask_b32_e32 v8, v8, v11, vcc_lo
	v_cndmask_b32_e32 v7, v14, v7, vcc_lo
	v_cmp_ge_i32_e32 vcc_lo, v7, v8
	s_or_b32 s0, vcc_lo, s0
	s_andn2_b32 exec_lo, exec_lo, s0
	s_cbranch_execnz .LBB133_2
; %bb.3:
	s_or_b32 exec_lo, exec_lo, s0
.LBB133_4:
	s_or_b32 exec_lo, exec_lo, s1
	v_add_nc_u32_e32 v6, v4, v6
	v_add_nc_u32_e32 v8, v7, v5
	v_sub_nc_u32_e32 v6, v6, v7
	v_add_nc_u32_e32 v5, v1, v8
	v_cmp_le_i32_e32 vcc_lo, v4, v8
	v_add_nc_u32_e32 v7, v1, v6
	v_cmp_ge_i32_e64 s0, v4, v6
	v_add_nc_u16 v4, v3, 1
	v_add_nc_u32_e32 v3, v1, v2
	ds_read_u8 v9, v5
	ds_read_u8 v7, v7
	v_and_b32_e32 v5, 28, v2
	; wave barrier
	ds_write_b8 v3, v4
	; wave barrier
	s_waitcnt lgkmcnt(1)
	v_cmp_lt_u16_sdwa s1, v7, v9 src0_sel:BYTE_0 src1_sel:BYTE_0
	s_or_b32 s1, vcc_lo, s1
	s_and_b32 vcc_lo, s0, s1
	s_mov_b32 s1, 0
	v_cndmask_b32_e32 v8, v8, v6, vcc_lo
	v_cndmask_b32_e32 v11, v9, v7, vcc_lo
	v_or_b32_e32 v7, 2, v5
	v_add_nc_u32_e32 v6, 4, v5
	s_mov_b32 s0, exec_lo
	v_add_nc_u32_e32 v4, v1, v8
	v_and_b32_e32 v8, 3, v2
	v_sub_nc_u32_e32 v12, v7, v5
	v_sub_nc_u32_e32 v9, v6, v7
	ds_read_u8 v4, v4
	; wave barrier
	v_sub_nc_u32_e32 v10, v8, v9
	v_cmp_ge_i32_e32 vcc_lo, v8, v9
	ds_write_b8 v3, v11
	; wave barrier
	v_cndmask_b32_e32 v9, 0, v10, vcc_lo
	v_min_i32_e32 v10, v8, v12
	v_cmpx_lt_i32_e64 v9, v10
	s_cbranch_execz .LBB133_8
; %bb.5:
	v_add_nc_u32_e32 v11, v1, v5
	v_add3_u32 v12, v1, v7, v8
	.p2align	6
.LBB133_6:                              ; =>This Inner Loop Header: Depth=1
	v_sub_nc_u32_e32 v13, v10, v9
	v_lshrrev_b32_e32 v13, 1, v13
	v_add_nc_u32_e32 v13, v13, v9
	v_add_nc_u32_e32 v14, v11, v13
	v_xad_u32 v15, v13, -1, v12
	v_add_nc_u32_e32 v16, 1, v13
	ds_read_u8 v14, v14
	ds_read_u8 v15, v15
	s_waitcnt lgkmcnt(0)
	v_cmp_lt_u16_e32 vcc_lo, v15, v14
	v_cndmask_b32_e32 v10, v10, v13, vcc_lo
	v_cndmask_b32_e32 v9, v16, v9, vcc_lo
	v_cmp_ge_i32_e32 vcc_lo, v9, v10
	s_or_b32 s1, vcc_lo, s1
	s_andn2_b32 exec_lo, exec_lo, s1
	s_cbranch_execnz .LBB133_6
; %bb.7:
	s_or_b32 exec_lo, exec_lo, s1
.LBB133_8:
	s_or_b32 exec_lo, exec_lo, s0
	v_add_nc_u32_e32 v8, v7, v8
	v_add_nc_u32_e32 v10, v9, v5
	v_sub_nc_u32_e32 v8, v8, v9
	v_add_nc_u32_e32 v5, v1, v10
	v_cmp_le_i32_e32 vcc_lo, v7, v10
	v_add_nc_u32_e32 v9, v1, v8
	v_cmp_gt_i32_e64 s0, v6, v8
	ds_read_u8 v11, v5
	ds_read_u8 v9, v9
	v_and_b32_e32 v5, 24, v2
	; wave barrier
	s_waitcnt lgkmcnt(3)
	ds_write_b8 v3, v4
	v_or_b32_e32 v7, 4, v5
	v_add_nc_u32_e32 v6, 8, v5
	; wave barrier
	v_sub_nc_u32_e32 v12, v7, v5
	s_waitcnt lgkmcnt(1)
	v_cmp_lt_u16_sdwa s1, v9, v11 src0_sel:BYTE_0 src1_sel:BYTE_0
	s_or_b32 s1, vcc_lo, s1
	s_and_b32 vcc_lo, s0, s1
	s_mov_b32 s1, 0
	v_cndmask_b32_e32 v8, v10, v8, vcc_lo
	v_cndmask_b32_e32 v11, v11, v9, vcc_lo
	v_sub_nc_u32_e32 v9, v6, v7
	s_mov_b32 s0, exec_lo
	v_add_nc_u32_e32 v4, v1, v8
	v_and_b32_e32 v8, 7, v2
	ds_read_u8 v4, v4
	v_sub_nc_u32_e32 v10, v8, v9
	v_cmp_ge_i32_e32 vcc_lo, v8, v9
	; wave barrier
	ds_write_b8 v3, v11
	v_cndmask_b32_e32 v9, 0, v10, vcc_lo
	v_min_i32_e32 v10, v8, v12
	; wave barrier
	v_cmpx_lt_i32_e64 v9, v10
	s_cbranch_execz .LBB133_12
; %bb.9:
	v_add_nc_u32_e32 v11, v1, v5
	v_add3_u32 v12, v1, v7, v8
	.p2align	6
.LBB133_10:                             ; =>This Inner Loop Header: Depth=1
	v_sub_nc_u32_e32 v13, v10, v9
	v_lshrrev_b32_e32 v13, 1, v13
	v_add_nc_u32_e32 v13, v13, v9
	v_add_nc_u32_e32 v14, v11, v13
	v_xad_u32 v15, v13, -1, v12
	v_add_nc_u32_e32 v16, 1, v13
	ds_read_u8 v14, v14
	ds_read_u8 v15, v15
	s_waitcnt lgkmcnt(0)
	v_cmp_lt_u16_e32 vcc_lo, v15, v14
	v_cndmask_b32_e32 v10, v10, v13, vcc_lo
	v_cndmask_b32_e32 v9, v16, v9, vcc_lo
	v_cmp_ge_i32_e32 vcc_lo, v9, v10
	s_or_b32 s1, vcc_lo, s1
	s_andn2_b32 exec_lo, exec_lo, s1
	s_cbranch_execnz .LBB133_10
; %bb.11:
	s_or_b32 exec_lo, exec_lo, s1
.LBB133_12:
	s_or_b32 exec_lo, exec_lo, s0
	v_add_nc_u32_e32 v8, v7, v8
	v_add_nc_u32_e32 v10, v9, v5
	v_sub_nc_u32_e32 v8, v8, v9
	v_add_nc_u32_e32 v5, v1, v10
	v_cmp_le_i32_e32 vcc_lo, v7, v10
	v_add_nc_u32_e32 v9, v1, v8
	v_cmp_gt_i32_e64 s0, v6, v8
	ds_read_u8 v11, v5
	ds_read_u8 v9, v9
	v_and_b32_e32 v5, 16, v2
	; wave barrier
	s_waitcnt lgkmcnt(3)
	ds_write_b8 v3, v4
	v_or_b32_e32 v7, 8, v5
	v_add_nc_u32_e32 v6, 16, v5
	; wave barrier
	v_sub_nc_u32_e32 v12, v7, v5
	s_waitcnt lgkmcnt(1)
	v_cmp_lt_u16_sdwa s1, v9, v11 src0_sel:BYTE_0 src1_sel:BYTE_0
	s_or_b32 s1, vcc_lo, s1
	s_and_b32 vcc_lo, s0, s1
	s_mov_b32 s1, 0
	v_cndmask_b32_e32 v8, v10, v8, vcc_lo
	v_cndmask_b32_e32 v11, v11, v9, vcc_lo
	v_sub_nc_u32_e32 v9, v6, v7
	s_mov_b32 s0, exec_lo
	v_add_nc_u32_e32 v4, v1, v8
	v_and_b32_e32 v8, 15, v2
	ds_read_u8 v4, v4
	v_sub_nc_u32_e32 v10, v8, v9
	v_cmp_ge_i32_e32 vcc_lo, v8, v9
	; wave barrier
	ds_write_b8 v3, v11
	v_cndmask_b32_e32 v9, 0, v10, vcc_lo
	v_min_i32_e32 v10, v8, v12
	; wave barrier
	v_cmpx_lt_i32_e64 v9, v10
	s_cbranch_execz .LBB133_16
; %bb.13:
	v_add_nc_u32_e32 v11, v1, v5
	v_add3_u32 v12, v1, v7, v8
	.p2align	6
.LBB133_14:                             ; =>This Inner Loop Header: Depth=1
	v_sub_nc_u32_e32 v13, v10, v9
	v_lshrrev_b32_e32 v13, 1, v13
	v_add_nc_u32_e32 v13, v13, v9
	v_add_nc_u32_e32 v14, v11, v13
	v_xad_u32 v15, v13, -1, v12
	v_add_nc_u32_e32 v16, 1, v13
	ds_read_u8 v14, v14
	ds_read_u8 v15, v15
	s_waitcnt lgkmcnt(0)
	v_cmp_lt_u16_e32 vcc_lo, v15, v14
	v_cndmask_b32_e32 v10, v10, v13, vcc_lo
	v_cndmask_b32_e32 v9, v16, v9, vcc_lo
	v_cmp_ge_i32_e32 vcc_lo, v9, v10
	s_or_b32 s1, vcc_lo, s1
	s_andn2_b32 exec_lo, exec_lo, s1
	s_cbranch_execnz .LBB133_14
; %bb.15:
	s_or_b32 exec_lo, exec_lo, s1
.LBB133_16:
	s_or_b32 exec_lo, exec_lo, s0
	v_add_nc_u32_e32 v8, v7, v8
	v_add_nc_u32_e32 v5, v9, v5
	v_sub_nc_u32_e32 v8, v8, v9
	v_add_nc_u32_e32 v9, v1, v5
	v_cmp_le_i32_e32 vcc_lo, v7, v5
	v_add_nc_u32_e32 v10, v1, v8
	v_cmp_gt_i32_e64 s0, v6, v8
	v_min_i32_e32 v6, 16, v2
	ds_read_u8 v9, v9
	ds_read_u8 v10, v10
	; wave barrier
	s_waitcnt lgkmcnt(3)
	ds_write_b8 v3, v4
	; wave barrier
	s_waitcnt lgkmcnt(1)
	v_cmp_lt_u16_sdwa s1, v10, v9 src0_sel:BYTE_0 src1_sel:BYTE_0
	s_or_b32 s1, vcc_lo, s1
	s_and_b32 vcc_lo, s0, s1
	s_mov_b32 s0, exec_lo
	v_cndmask_b32_e32 v5, v5, v8, vcc_lo
	v_cndmask_b32_e32 v7, v9, v10, vcc_lo
	v_cmp_lt_i32_e32 vcc_lo, 15, v2
	v_add_nc_u32_e32 v5, v1, v5
	ds_read_u8 v4, v5
	v_add_nc_u32_e32 v5, -16, v2
	; wave barrier
	ds_write_b8 v3, v7
	v_cndmask_b32_e32 v5, 0, v5, vcc_lo
	; wave barrier
	v_cmpx_lt_i32_e64 v5, v6
	s_cbranch_execz .LBB133_20
; %bb.17:
	v_add3_u32 v7, v1, 16, v2
	s_mov_b32 s1, 0
	.p2align	6
.LBB133_18:                             ; =>This Inner Loop Header: Depth=1
	v_sub_nc_u32_e32 v8, v6, v5
	v_lshrrev_b32_e32 v8, 1, v8
	v_add_nc_u32_e32 v8, v8, v5
	v_add_nc_u32_e32 v9, v1, v8
	v_xad_u32 v10, v8, -1, v7
	v_add_nc_u32_e32 v11, 1, v8
	ds_read_u8 v9, v9
	ds_read_u8 v10, v10
	s_waitcnt lgkmcnt(0)
	v_cmp_lt_u16_e32 vcc_lo, v10, v9
	v_cndmask_b32_e32 v6, v6, v8, vcc_lo
	v_cndmask_b32_e32 v5, v11, v5, vcc_lo
	v_cmp_ge_i32_e32 vcc_lo, v5, v6
	s_or_b32 s1, vcc_lo, s1
	s_andn2_b32 exec_lo, exec_lo, s1
	s_cbranch_execnz .LBB133_18
; %bb.19:
	s_or_b32 exec_lo, exec_lo, s1
.LBB133_20:
	s_or_b32 exec_lo, exec_lo, s0
	v_add_nc_u32_e32 v6, 16, v2
	v_add_nc_u32_e32 v7, v1, v5
	v_cmp_le_i32_e32 vcc_lo, 16, v5
	v_sub_nc_u32_e32 v6, v6, v5
	v_add_nc_u32_e32 v8, v1, v6
	v_cmp_gt_i32_e64 s0, 32, v6
	ds_read_u8 v7, v7
	ds_read_u8 v8, v8
	; wave barrier
	s_waitcnt lgkmcnt(3)
	ds_write_b8 v3, v4
	; wave barrier
	s_waitcnt lgkmcnt(1)
	v_cmp_lt_u16_sdwa s1, v8, v7 src0_sel:BYTE_0 src1_sel:BYTE_0
	s_or_b32 s1, vcc_lo, s1
	s_and_b32 vcc_lo, s0, s1
	s_mov_b32 s0, exec_lo
	v_cndmask_b32_e32 v5, v5, v6, vcc_lo
	v_cndmask_b32_e32 v7, v7, v8, vcc_lo
	v_cmp_lt_i32_e32 vcc_lo, 31, v2
	v_add_nc_u32_e32 v5, v1, v5
	ds_read_u8 v4, v5
	v_or_b32_e32 v5, 0xffffffe0, v2
	; wave barrier
	ds_write_b8 v3, v7
	v_cndmask_b32_e32 v5, 0, v5, vcc_lo
	; wave barrier
	v_cmpx_lt_i32_e64 v5, v2
	s_cbranch_execz .LBB133_24
; %bb.21:
	v_add3_u32 v6, v1, 32, v2
	v_mov_b32_e32 v7, v2
	s_mov_b32 s1, 0
	.p2align	6
.LBB133_22:                             ; =>This Inner Loop Header: Depth=1
	v_sub_nc_u32_e32 v8, v7, v5
	v_lshrrev_b32_e32 v8, 1, v8
	v_add_nc_u32_e32 v8, v8, v5
	v_add_nc_u32_e32 v9, v1, v8
	v_xad_u32 v10, v8, -1, v6
	v_add_nc_u32_e32 v11, 1, v8
	ds_read_u8 v9, v9
	ds_read_u8 v10, v10
	s_waitcnt lgkmcnt(0)
	v_cmp_lt_u16_e32 vcc_lo, v10, v9
	v_cndmask_b32_e32 v7, v7, v8, vcc_lo
	v_cndmask_b32_e32 v5, v11, v5, vcc_lo
	v_cmp_ge_i32_e32 vcc_lo, v5, v7
	s_or_b32 s1, vcc_lo, s1
	s_andn2_b32 exec_lo, exec_lo, s1
	s_cbranch_execnz .LBB133_22
; %bb.23:
	s_or_b32 exec_lo, exec_lo, s1
.LBB133_24:
	s_or_b32 exec_lo, exec_lo, s0
	v_add_nc_u32_e32 v2, 32, v2
	v_add_nc_u32_e32 v6, v1, v5
	v_cmp_le_i32_e32 vcc_lo, 32, v5
	v_sub_nc_u32_e32 v2, v2, v5
	v_add_nc_u32_e32 v7, v1, v2
	v_cmp_gt_i32_e64 s0, 64, v2
	ds_read_u8 v6, v6
	ds_read_u8 v7, v7
	; wave barrier
	s_waitcnt lgkmcnt(3)
	ds_write_b8 v3, v4
	; wave barrier
	s_waitcnt lgkmcnt(1)
	v_cmp_lt_u16_sdwa s1, v7, v6 src0_sel:BYTE_0 src1_sel:BYTE_0
	s_or_b32 s1, vcc_lo, s1
	s_and_b32 vcc_lo, s0, s1
	s_add_u32 s0, s2, s4
	v_cndmask_b32_e32 v2, v5, v2, vcc_lo
	v_cndmask_b32_e32 v6, v6, v7, vcc_lo
	s_addc_u32 s1, s3, 0
	v_add_co_u32 v0, s0, s0, v0
	v_add_nc_u32_e32 v1, v1, v2
	ds_read_u8 v1, v1
	s_waitcnt lgkmcnt(0)
	v_add_nc_u16 v2, v1, v6
	v_add_co_ci_u32_e64 v1, null, s1, 0, s0
	global_store_byte v[0:1], v2, off
	s_endpgm
	.section	.rodata,"a",@progbits
	.p2align	6, 0x0
	.amdhsa_kernel _Z10sort_pairsILj256ELj64ELj1EhN10test_utils4lessEEvPKT2_PS2_T3_
		.amdhsa_group_segment_fixed_size 260
		.amdhsa_private_segment_fixed_size 0
		.amdhsa_kernarg_size 20
		.amdhsa_user_sgpr_count 6
		.amdhsa_user_sgpr_private_segment_buffer 1
		.amdhsa_user_sgpr_dispatch_ptr 0
		.amdhsa_user_sgpr_queue_ptr 0
		.amdhsa_user_sgpr_kernarg_segment_ptr 1
		.amdhsa_user_sgpr_dispatch_id 0
		.amdhsa_user_sgpr_flat_scratch_init 0
		.amdhsa_user_sgpr_private_segment_size 0
		.amdhsa_wavefront_size32 1
		.amdhsa_uses_dynamic_stack 0
		.amdhsa_system_sgpr_private_segment_wavefront_offset 0
		.amdhsa_system_sgpr_workgroup_id_x 1
		.amdhsa_system_sgpr_workgroup_id_y 0
		.amdhsa_system_sgpr_workgroup_id_z 0
		.amdhsa_system_sgpr_workgroup_info 0
		.amdhsa_system_vgpr_workitem_id 0
		.amdhsa_next_free_vgpr 17
		.amdhsa_next_free_sgpr 7
		.amdhsa_reserve_vcc 1
		.amdhsa_reserve_flat_scratch 0
		.amdhsa_float_round_mode_32 0
		.amdhsa_float_round_mode_16_64 0
		.amdhsa_float_denorm_mode_32 3
		.amdhsa_float_denorm_mode_16_64 3
		.amdhsa_dx10_clamp 1
		.amdhsa_ieee_mode 1
		.amdhsa_fp16_overflow 0
		.amdhsa_workgroup_processor_mode 1
		.amdhsa_memory_ordered 1
		.amdhsa_forward_progress 1
		.amdhsa_shared_vgpr_count 0
		.amdhsa_exception_fp_ieee_invalid_op 0
		.amdhsa_exception_fp_denorm_src 0
		.amdhsa_exception_fp_ieee_div_zero 0
		.amdhsa_exception_fp_ieee_overflow 0
		.amdhsa_exception_fp_ieee_underflow 0
		.amdhsa_exception_fp_ieee_inexact 0
		.amdhsa_exception_int_div_zero 0
	.end_amdhsa_kernel
	.section	.text._Z10sort_pairsILj256ELj64ELj1EhN10test_utils4lessEEvPKT2_PS2_T3_,"axG",@progbits,_Z10sort_pairsILj256ELj64ELj1EhN10test_utils4lessEEvPKT2_PS2_T3_,comdat
.Lfunc_end133:
	.size	_Z10sort_pairsILj256ELj64ELj1EhN10test_utils4lessEEvPKT2_PS2_T3_, .Lfunc_end133-_Z10sort_pairsILj256ELj64ELj1EhN10test_utils4lessEEvPKT2_PS2_T3_
                                        ; -- End function
	.set _Z10sort_pairsILj256ELj64ELj1EhN10test_utils4lessEEvPKT2_PS2_T3_.num_vgpr, 17
	.set _Z10sort_pairsILj256ELj64ELj1EhN10test_utils4lessEEvPKT2_PS2_T3_.num_agpr, 0
	.set _Z10sort_pairsILj256ELj64ELj1EhN10test_utils4lessEEvPKT2_PS2_T3_.numbered_sgpr, 7
	.set _Z10sort_pairsILj256ELj64ELj1EhN10test_utils4lessEEvPKT2_PS2_T3_.num_named_barrier, 0
	.set _Z10sort_pairsILj256ELj64ELj1EhN10test_utils4lessEEvPKT2_PS2_T3_.private_seg_size, 0
	.set _Z10sort_pairsILj256ELj64ELj1EhN10test_utils4lessEEvPKT2_PS2_T3_.uses_vcc, 1
	.set _Z10sort_pairsILj256ELj64ELj1EhN10test_utils4lessEEvPKT2_PS2_T3_.uses_flat_scratch, 0
	.set _Z10sort_pairsILj256ELj64ELj1EhN10test_utils4lessEEvPKT2_PS2_T3_.has_dyn_sized_stack, 0
	.set _Z10sort_pairsILj256ELj64ELj1EhN10test_utils4lessEEvPKT2_PS2_T3_.has_recursion, 0
	.set _Z10sort_pairsILj256ELj64ELj1EhN10test_utils4lessEEvPKT2_PS2_T3_.has_indirect_call, 0
	.section	.AMDGPU.csdata,"",@progbits
; Kernel info:
; codeLenInByte = 1892
; TotalNumSgprs: 9
; NumVgprs: 17
; ScratchSize: 0
; MemoryBound: 0
; FloatMode: 240
; IeeeMode: 1
; LDSByteSize: 260 bytes/workgroup (compile time only)
; SGPRBlocks: 0
; VGPRBlocks: 2
; NumSGPRsForWavesPerEU: 9
; NumVGPRsForWavesPerEU: 17
; Occupancy: 16
; WaveLimiterHint : 0
; COMPUTE_PGM_RSRC2:SCRATCH_EN: 0
; COMPUTE_PGM_RSRC2:USER_SGPR: 6
; COMPUTE_PGM_RSRC2:TRAP_HANDLER: 0
; COMPUTE_PGM_RSRC2:TGID_X_EN: 1
; COMPUTE_PGM_RSRC2:TGID_Y_EN: 0
; COMPUTE_PGM_RSRC2:TGID_Z_EN: 0
; COMPUTE_PGM_RSRC2:TIDIG_COMP_CNT: 0
	.section	.text._Z19sort_keys_segmentedILj256ELj64ELj1EhN10test_utils4lessEEvPKT2_PS2_PKjT3_,"axG",@progbits,_Z19sort_keys_segmentedILj256ELj64ELj1EhN10test_utils4lessEEvPKT2_PS2_PKjT3_,comdat
	.protected	_Z19sort_keys_segmentedILj256ELj64ELj1EhN10test_utils4lessEEvPKT2_PS2_PKjT3_ ; -- Begin function _Z19sort_keys_segmentedILj256ELj64ELj1EhN10test_utils4lessEEvPKT2_PS2_PKjT3_
	.globl	_Z19sort_keys_segmentedILj256ELj64ELj1EhN10test_utils4lessEEvPKT2_PS2_PKjT3_
	.p2align	8
	.type	_Z19sort_keys_segmentedILj256ELj64ELj1EhN10test_utils4lessEEvPKT2_PS2_PKjT3_,@function
_Z19sort_keys_segmentedILj256ELj64ELj1EhN10test_utils4lessEEvPKT2_PS2_PKjT3_: ; @_Z19sort_keys_segmentedILj256ELj64ELj1EhN10test_utils4lessEEvPKT2_PS2_PKjT3_
; %bb.0:
	s_load_dwordx2 s[0:1], s[4:5], 0x10
	v_lshrrev_b32_e32 v2, 6, v0
	v_mov_b32_e32 v5, 0
                                        ; implicit-def: $vgpr10
	v_lshl_or_b32 v4, s6, 2, v2
	v_lshlrev_b64 v[0:1], 2, v[4:5]
	s_waitcnt lgkmcnt(0)
	v_add_co_u32 v0, vcc_lo, s0, v0
	v_add_co_ci_u32_e64 v1, null, s1, v1, vcc_lo
	s_load_dwordx4 s[0:3], s[4:5], 0x0
	global_load_dword v3, v[0:1], off
	v_mbcnt_lo_u32_b32 v0, -1, 0
	v_lshlrev_b32_e32 v1, 6, v4
	s_waitcnt vmcnt(0)
	v_cmp_lt_u32_e32 vcc_lo, v0, v3
	s_and_saveexec_b32 s4, vcc_lo
	s_cbranch_execz .LBB134_2
; %bb.1:
	s_waitcnt lgkmcnt(0)
	v_add_co_u32 v4, s0, s0, v1
	v_add_co_ci_u32_e64 v5, null, s1, 0, s0
	v_add_co_u32 v4, s0, v4, v0
	v_add_co_ci_u32_e64 v5, null, 0, v5, s0
	global_load_ubyte v10, v[4:5], off
.LBB134_2:
	s_or_b32 exec_lo, exec_lo, s4
	v_and_b32_e32 v4, 30, v0
	v_and_b32_e32 v8, 1, v0
	s_waitcnt lgkmcnt(0)
	s_mov_b32 s1, exec_lo
	; wave barrier
	v_min_i32_e32 v5, v3, v4
	v_min_i32_e32 v8, v3, v8
	v_add_nc_u32_e32 v4, 1, v5
	v_min_i32_e32 v4, v3, v4
	v_add_nc_u32_e32 v6, 1, v4
	v_sub_nc_u32_e32 v11, v4, v5
	v_min_i32_e32 v7, v3, v6
	v_sub_nc_u32_e32 v6, v7, v4
	v_sub_nc_u32_e32 v9, v8, v6
	v_cmp_ge_i32_e64 s0, v8, v6
	v_cndmask_b32_e64 v6, 0, v9, s0
	v_min_i32_e32 v9, v8, v11
	v_mad_u32_u24 v11, 0x41, v2, v0
	v_mul_u32_u24_e32 v2, 0x41, v2
	s_waitcnt vmcnt(0)
	ds_write_b8 v11, v10
	; wave barrier
	v_cmpx_lt_i32_e64 v6, v9
	s_cbranch_execz .LBB134_6
; %bb.3:
	v_add_nc_u32_e32 v10, v2, v5
	v_add3_u32 v11, v2, v4, v8
	s_mov_b32 s4, 0
	.p2align	6
.LBB134_4:                              ; =>This Inner Loop Header: Depth=1
	v_sub_nc_u32_e32 v12, v9, v6
	v_lshrrev_b32_e32 v12, 1, v12
	v_add_nc_u32_e32 v12, v12, v6
	v_add_nc_u32_e32 v13, v10, v12
	v_xad_u32 v14, v12, -1, v11
	v_add_nc_u32_e32 v15, 1, v12
	ds_read_u8 v13, v13
	ds_read_u8 v14, v14
	s_waitcnt lgkmcnt(0)
	v_cmp_lt_u16_e64 s0, v14, v13
	v_cndmask_b32_e64 v9, v9, v12, s0
	v_cndmask_b32_e64 v6, v15, v6, s0
	v_cmp_ge_i32_e64 s0, v6, v9
	s_or_b32 s4, s0, s4
	s_andn2_b32 exec_lo, exec_lo, s4
	s_cbranch_execnz .LBB134_4
; %bb.5:
	s_or_b32 exec_lo, exec_lo, s4
.LBB134_6:
	s_or_b32 exec_lo, exec_lo, s1
	v_add_nc_u32_e32 v8, v4, v8
	v_and_b32_e32 v9, 28, v0
	v_add_nc_u32_e32 v10, v6, v5
	v_sub_nc_u32_e32 v11, v8, v6
	v_min_i32_e32 v8, v3, v9
	v_add_nc_u32_e32 v5, v2, v10
	v_cmp_le_i32_e64 s0, v4, v10
	v_add_nc_u32_e32 v4, v2, v0
	v_add_nc_u32_e32 v6, v2, v11
	;; [unrolled: 1-line block ×3, first 2 shown]
	v_cmp_gt_i32_e64 s1, v7, v11
	ds_read_u8 v12, v5
	ds_read_u8 v13, v6
	v_min_i32_e32 v6, v3, v9
	v_and_b32_e32 v9, 3, v0
	; wave barrier
	v_add_nc_u32_e32 v5, 2, v6
	v_min_i32_e32 v9, v3, v9
	v_sub_nc_u32_e32 v10, v6, v8
	v_min_i32_e32 v5, v3, v5
	v_min_i32_e32 v10, v9, v10
	v_sub_nc_u32_e32 v14, v5, v6
	s_waitcnt lgkmcnt(0)
	v_cmp_lt_u16_sdwa s4, v13, v12 src0_sel:BYTE_0 src1_sel:BYTE_0
	v_sub_nc_u32_e32 v15, v9, v14
	s_or_b32 s4, s0, s4
	v_cmp_ge_i32_e64 s0, v9, v14
	v_cndmask_b32_e64 v7, 0, v15, s0
	s_and_b32 s0, s1, s4
	s_mov_b32 s4, 0
	v_cndmask_b32_e64 v11, v12, v13, s0
	s_mov_b32 s1, exec_lo
	ds_write_b8 v4, v11
	; wave barrier
	v_cmpx_lt_i32_e64 v7, v10
	s_cbranch_execz .LBB134_10
; %bb.7:
	v_add_nc_u32_e32 v11, v2, v8
	v_add3_u32 v12, v2, v6, v9
	.p2align	6
.LBB134_8:                              ; =>This Inner Loop Header: Depth=1
	v_sub_nc_u32_e32 v13, v10, v7
	v_lshrrev_b32_e32 v13, 1, v13
	v_add_nc_u32_e32 v13, v13, v7
	v_add_nc_u32_e32 v14, v11, v13
	v_xad_u32 v15, v13, -1, v12
	v_add_nc_u32_e32 v16, 1, v13
	ds_read_u8 v14, v14
	ds_read_u8 v15, v15
	s_waitcnt lgkmcnt(0)
	v_cmp_lt_u16_e64 s0, v15, v14
	v_cndmask_b32_e64 v10, v10, v13, s0
	v_cndmask_b32_e64 v7, v16, v7, s0
	v_cmp_ge_i32_e64 s0, v7, v10
	s_or_b32 s4, s0, s4
	s_andn2_b32 exec_lo, exec_lo, s4
	s_cbranch_execnz .LBB134_8
; %bb.9:
	s_or_b32 exec_lo, exec_lo, s4
.LBB134_10:
	s_or_b32 exec_lo, exec_lo, s1
	v_add_nc_u32_e32 v9, v6, v9
	v_and_b32_e32 v10, 24, v0
	v_add_nc_u32_e32 v11, v7, v8
	v_sub_nc_u32_e32 v12, v9, v7
	v_min_i32_e32 v9, v3, v10
	v_add_nc_u32_e32 v7, v2, v11
	v_cmp_le_i32_e64 s0, v6, v11
	v_add_nc_u32_e32 v8, v2, v12
	v_add_nc_u32_e32 v10, 4, v9
	v_cmp_gt_i32_e64 s1, v5, v12
	ds_read_u8 v13, v7
	ds_read_u8 v14, v8
	v_min_i32_e32 v8, v3, v10
	v_and_b32_e32 v10, 7, v0
	; wave barrier
	v_add_nc_u32_e32 v7, 4, v8
	v_min_i32_e32 v10, v3, v10
	v_sub_nc_u32_e32 v6, v8, v9
	v_min_i32_e32 v7, v3, v7
	v_min_i32_e32 v6, v10, v6
	v_sub_nc_u32_e32 v15, v7, v8
	s_waitcnt lgkmcnt(0)
	v_cmp_lt_u16_sdwa s4, v14, v13 src0_sel:BYTE_0 src1_sel:BYTE_0
	v_sub_nc_u32_e32 v11, v10, v15
	s_or_b32 s4, s0, s4
	v_cmp_ge_i32_e64 s0, v10, v15
	v_cndmask_b32_e64 v5, 0, v11, s0
	s_and_b32 s0, s1, s4
	s_mov_b32 s4, 0
	v_cndmask_b32_e64 v11, v13, v14, s0
	s_mov_b32 s1, exec_lo
	ds_write_b8 v4, v11
	; wave barrier
	v_cmpx_lt_i32_e64 v5, v6
	s_cbranch_execz .LBB134_14
; %bb.11:
	v_add_nc_u32_e32 v11, v2, v9
	v_add3_u32 v12, v2, v8, v10
	.p2align	6
.LBB134_12:                             ; =>This Inner Loop Header: Depth=1
	v_sub_nc_u32_e32 v13, v6, v5
	v_lshrrev_b32_e32 v13, 1, v13
	v_add_nc_u32_e32 v13, v13, v5
	v_add_nc_u32_e32 v14, v11, v13
	v_xad_u32 v15, v13, -1, v12
	v_add_nc_u32_e32 v16, 1, v13
	ds_read_u8 v14, v14
	ds_read_u8 v15, v15
	s_waitcnt lgkmcnt(0)
	v_cmp_lt_u16_e64 s0, v15, v14
	v_cndmask_b32_e64 v6, v6, v13, s0
	v_cndmask_b32_e64 v5, v16, v5, s0
	v_cmp_ge_i32_e64 s0, v5, v6
	s_or_b32 s4, s0, s4
	s_andn2_b32 exec_lo, exec_lo, s4
	s_cbranch_execnz .LBB134_12
; %bb.13:
	s_or_b32 exec_lo, exec_lo, s4
.LBB134_14:
	s_or_b32 exec_lo, exec_lo, s1
	v_add_nc_u32_e32 v6, v8, v10
	v_and_b32_e32 v10, 16, v0
	v_add_nc_u32_e32 v11, v5, v9
	v_and_b32_e32 v15, 15, v0
	v_sub_nc_u32_e32 v12, v6, v5
	v_min_i32_e32 v5, v3, v10
	v_add_nc_u32_e32 v6, v2, v11
	v_cmp_le_i32_e64 s0, v8, v11
	v_add_nc_u32_e32 v9, v2, v12
	v_add_nc_u32_e32 v10, 8, v5
	v_cmp_gt_i32_e64 s1, v7, v12
	ds_read_u8 v13, v6
	ds_read_u8 v14, v9
	v_min_i32_e32 v10, v3, v10
	; wave barrier
	v_add_nc_u32_e32 v6, 8, v10
	v_sub_nc_u32_e32 v8, v10, v5
	v_min_i32_e32 v9, v3, v6
	v_min_i32_e32 v6, v3, v15
	v_sub_nc_u32_e32 v15, v9, v10
	v_min_i32_e32 v8, v6, v8
	s_waitcnt lgkmcnt(0)
	v_cmp_lt_u16_sdwa s4, v14, v13 src0_sel:BYTE_0 src1_sel:BYTE_0
	v_sub_nc_u32_e32 v11, v6, v15
	s_or_b32 s4, s0, s4
	v_cmp_ge_i32_e64 s0, v6, v15
	v_cndmask_b32_e64 v7, 0, v11, s0
	s_and_b32 s0, s1, s4
	s_mov_b32 s4, 0
	v_cndmask_b32_e64 v11, v13, v14, s0
	s_mov_b32 s1, exec_lo
	ds_write_b8 v4, v11
	; wave barrier
	v_cmpx_lt_i32_e64 v7, v8
	s_cbranch_execz .LBB134_18
; %bb.15:
	v_add_nc_u32_e32 v11, v2, v5
	v_add3_u32 v12, v2, v10, v6
	.p2align	6
.LBB134_16:                             ; =>This Inner Loop Header: Depth=1
	v_sub_nc_u32_e32 v13, v8, v7
	v_lshrrev_b32_e32 v13, 1, v13
	v_add_nc_u32_e32 v13, v13, v7
	v_add_nc_u32_e32 v14, v11, v13
	v_xad_u32 v15, v13, -1, v12
	v_add_nc_u32_e32 v16, 1, v13
	ds_read_u8 v14, v14
	ds_read_u8 v15, v15
	s_waitcnt lgkmcnt(0)
	v_cmp_lt_u16_e64 s0, v15, v14
	v_cndmask_b32_e64 v8, v8, v13, s0
	v_cndmask_b32_e64 v7, v16, v7, s0
	v_cmp_ge_i32_e64 s0, v7, v8
	s_or_b32 s4, s0, s4
	s_andn2_b32 exec_lo, exec_lo, s4
	s_cbranch_execnz .LBB134_16
; %bb.17:
	s_or_b32 exec_lo, exec_lo, s4
.LBB134_18:
	s_or_b32 exec_lo, exec_lo, s1
	v_add_nc_u32_e32 v6, v10, v6
	v_add_nc_u32_e32 v11, v7, v5
	v_min_i32_e32 v5, 0, v3
	v_sub_nc_u32_e32 v12, v6, v7
	v_add_nc_u32_e32 v6, v2, v11
	v_add_nc_u32_e32 v8, 16, v5
	v_cmp_le_i32_e64 s0, v10, v11
	v_add_nc_u32_e32 v7, v2, v12
	v_cmp_gt_i32_e64 s1, v9, v12
	v_min_i32_e32 v8, v3, v8
	ds_read_u8 v13, v6
	ds_read_u8 v14, v7
	; wave barrier
	v_add_nc_u32_e32 v6, 16, v8
	v_sub_nc_u32_e32 v10, v8, v5
	v_min_i32_e32 v7, v3, v6
	v_min_i32_e32 v6, v3, v0
	v_sub_nc_u32_e32 v15, v7, v8
	v_min_i32_e32 v10, v6, v10
	v_sub_nc_u32_e32 v11, v6, v15
	s_waitcnt lgkmcnt(0)
	v_cmp_lt_u16_sdwa s4, v14, v13 src0_sel:BYTE_0 src1_sel:BYTE_0
	s_or_b32 s4, s0, s4
	v_cmp_ge_i32_e64 s0, v6, v15
	v_cndmask_b32_e64 v9, 0, v11, s0
	s_and_b32 s0, s1, s4
	s_mov_b32 s1, 0
	v_cndmask_b32_e64 v11, v13, v14, s0
	s_mov_b32 s4, exec_lo
	ds_write_b8 v4, v11
	; wave barrier
	v_cmpx_lt_i32_e64 v9, v10
	s_cbranch_execz .LBB134_22
; %bb.19:
	v_add_nc_u32_e32 v11, v2, v5
	v_add3_u32 v12, v2, v8, v6
	.p2align	6
.LBB134_20:                             ; =>This Inner Loop Header: Depth=1
	v_sub_nc_u32_e32 v13, v10, v9
	v_lshrrev_b32_e32 v13, 1, v13
	v_add_nc_u32_e32 v13, v13, v9
	v_add_nc_u32_e32 v14, v11, v13
	v_xad_u32 v15, v13, -1, v12
	v_add_nc_u32_e32 v16, 1, v13
	ds_read_u8 v14, v14
	ds_read_u8 v15, v15
	s_waitcnt lgkmcnt(0)
	v_cmp_lt_u16_e64 s0, v15, v14
	v_cndmask_b32_e64 v10, v10, v13, s0
	v_cndmask_b32_e64 v9, v16, v9, s0
	v_cmp_ge_i32_e64 s0, v9, v10
	s_or_b32 s1, s0, s1
	s_andn2_b32 exec_lo, exec_lo, s1
	s_cbranch_execnz .LBB134_20
; %bb.21:
	s_or_b32 exec_lo, exec_lo, s1
.LBB134_22:
	s_or_b32 exec_lo, exec_lo, s4
	v_add_nc_u32_e32 v10, v8, v6
	v_add_nc_u32_e32 v11, v9, v5
	;; [unrolled: 1-line block ×3, first 2 shown]
	v_sub_nc_u32_e32 v10, v10, v9
	v_add_nc_u32_e32 v9, v2, v11
	v_cmp_le_i32_e64 s0, v8, v11
	v_add_nc_u32_e32 v12, v2, v10
	v_cmp_gt_i32_e64 s1, v7, v10
	ds_read_u8 v14, v9
	ds_read_u8 v12, v12
	v_min_i32_e32 v9, v3, v13
	; wave barrier
	v_add_nc_u32_e32 v13, 32, v9
	v_sub_nc_u32_e32 v8, v9, v5
	v_min_i32_e32 v3, v3, v13
	v_min_i32_e32 v8, v6, v8
	v_sub_nc_u32_e32 v13, v3, v9
	s_waitcnt lgkmcnt(0)
	v_cmp_lt_u16_sdwa s4, v12, v14 src0_sel:BYTE_0 src1_sel:BYTE_0
	v_sub_nc_u32_e32 v11, v6, v13
	s_or_b32 s4, s0, s4
	v_cmp_ge_i32_e64 s0, v6, v13
	v_cndmask_b32_e64 v7, 0, v11, s0
	s_and_b32 s0, s1, s4
	s_mov_b32 s1, 0
	v_cndmask_b32_e64 v10, v14, v12, s0
	s_mov_b32 s4, exec_lo
	ds_write_b8 v4, v10
	; wave barrier
	v_cmpx_lt_i32_e64 v7, v8
	s_cbranch_execnz .LBB134_25
; %bb.23:
	s_or_b32 exec_lo, exec_lo, s4
	s_and_saveexec_b32 s0, vcc_lo
	s_cbranch_execnz .LBB134_28
.LBB134_24:
	s_endpgm
.LBB134_25:
	v_add_nc_u32_e32 v4, v2, v5
	v_add3_u32 v10, v2, v9, v6
	.p2align	6
.LBB134_26:                             ; =>This Inner Loop Header: Depth=1
	v_sub_nc_u32_e32 v11, v8, v7
	v_lshrrev_b32_e32 v11, 1, v11
	v_add_nc_u32_e32 v11, v11, v7
	v_add_nc_u32_e32 v12, v4, v11
	v_xad_u32 v13, v11, -1, v10
	v_add_nc_u32_e32 v14, 1, v11
	ds_read_u8 v12, v12
	ds_read_u8 v13, v13
	s_waitcnt lgkmcnt(0)
	v_cmp_lt_u16_e64 s0, v13, v12
	v_cndmask_b32_e64 v8, v8, v11, s0
	v_cndmask_b32_e64 v7, v14, v7, s0
	v_cmp_ge_i32_e64 s0, v7, v8
	s_or_b32 s1, s0, s1
	s_andn2_b32 exec_lo, exec_lo, s1
	s_cbranch_execnz .LBB134_26
; %bb.27:
	s_or_b32 exec_lo, exec_lo, s1
	s_or_b32 exec_lo, exec_lo, s4
	s_and_saveexec_b32 s0, vcc_lo
	s_cbranch_execz .LBB134_24
.LBB134_28:
	v_add_nc_u32_e32 v4, v9, v6
	v_add_nc_u32_e32 v5, v7, v5
	v_add_co_u32 v1, s0, s2, v1
	v_sub_nc_u32_e32 v4, v4, v7
	v_cmp_le_i32_e32 vcc_lo, v9, v5
	v_add_nc_u32_e32 v6, v2, v4
	v_add_nc_u32_e32 v2, v2, v5
	v_add_co_ci_u32_e64 v5, null, s3, 0, s0
	v_cmp_gt_i32_e64 s0, v3, v4
	ds_read_u8 v6, v6
	ds_read_u8 v2, v2
	s_waitcnt lgkmcnt(0)
	v_cmp_lt_u16_sdwa s1, v6, v2 src0_sel:BYTE_0 src1_sel:BYTE_0
	s_or_b32 s1, vcc_lo, s1
	v_add_co_u32 v0, vcc_lo, v1, v0
	v_add_co_ci_u32_e64 v1, null, 0, v5, vcc_lo
	s_and_b32 vcc_lo, s0, s1
	v_cndmask_b32_e32 v2, v2, v6, vcc_lo
	global_store_byte v[0:1], v2, off
	s_endpgm
	.section	.rodata,"a",@progbits
	.p2align	6, 0x0
	.amdhsa_kernel _Z19sort_keys_segmentedILj256ELj64ELj1EhN10test_utils4lessEEvPKT2_PS2_PKjT3_
		.amdhsa_group_segment_fixed_size 260
		.amdhsa_private_segment_fixed_size 0
		.amdhsa_kernarg_size 28
		.amdhsa_user_sgpr_count 6
		.amdhsa_user_sgpr_private_segment_buffer 1
		.amdhsa_user_sgpr_dispatch_ptr 0
		.amdhsa_user_sgpr_queue_ptr 0
		.amdhsa_user_sgpr_kernarg_segment_ptr 1
		.amdhsa_user_sgpr_dispatch_id 0
		.amdhsa_user_sgpr_flat_scratch_init 0
		.amdhsa_user_sgpr_private_segment_size 0
		.amdhsa_wavefront_size32 1
		.amdhsa_uses_dynamic_stack 0
		.amdhsa_system_sgpr_private_segment_wavefront_offset 0
		.amdhsa_system_sgpr_workgroup_id_x 1
		.amdhsa_system_sgpr_workgroup_id_y 0
		.amdhsa_system_sgpr_workgroup_id_z 0
		.amdhsa_system_sgpr_workgroup_info 0
		.amdhsa_system_vgpr_workitem_id 0
		.amdhsa_next_free_vgpr 17
		.amdhsa_next_free_sgpr 7
		.amdhsa_reserve_vcc 1
		.amdhsa_reserve_flat_scratch 0
		.amdhsa_float_round_mode_32 0
		.amdhsa_float_round_mode_16_64 0
		.amdhsa_float_denorm_mode_32 3
		.amdhsa_float_denorm_mode_16_64 3
		.amdhsa_dx10_clamp 1
		.amdhsa_ieee_mode 1
		.amdhsa_fp16_overflow 0
		.amdhsa_workgroup_processor_mode 1
		.amdhsa_memory_ordered 1
		.amdhsa_forward_progress 1
		.amdhsa_shared_vgpr_count 0
		.amdhsa_exception_fp_ieee_invalid_op 0
		.amdhsa_exception_fp_denorm_src 0
		.amdhsa_exception_fp_ieee_div_zero 0
		.amdhsa_exception_fp_ieee_overflow 0
		.amdhsa_exception_fp_ieee_underflow 0
		.amdhsa_exception_fp_ieee_inexact 0
		.amdhsa_exception_int_div_zero 0
	.end_amdhsa_kernel
	.section	.text._Z19sort_keys_segmentedILj256ELj64ELj1EhN10test_utils4lessEEvPKT2_PS2_PKjT3_,"axG",@progbits,_Z19sort_keys_segmentedILj256ELj64ELj1EhN10test_utils4lessEEvPKT2_PS2_PKjT3_,comdat
.Lfunc_end134:
	.size	_Z19sort_keys_segmentedILj256ELj64ELj1EhN10test_utils4lessEEvPKT2_PS2_PKjT3_, .Lfunc_end134-_Z19sort_keys_segmentedILj256ELj64ELj1EhN10test_utils4lessEEvPKT2_PS2_PKjT3_
                                        ; -- End function
	.set _Z19sort_keys_segmentedILj256ELj64ELj1EhN10test_utils4lessEEvPKT2_PS2_PKjT3_.num_vgpr, 17
	.set _Z19sort_keys_segmentedILj256ELj64ELj1EhN10test_utils4lessEEvPKT2_PS2_PKjT3_.num_agpr, 0
	.set _Z19sort_keys_segmentedILj256ELj64ELj1EhN10test_utils4lessEEvPKT2_PS2_PKjT3_.numbered_sgpr, 7
	.set _Z19sort_keys_segmentedILj256ELj64ELj1EhN10test_utils4lessEEvPKT2_PS2_PKjT3_.num_named_barrier, 0
	.set _Z19sort_keys_segmentedILj256ELj64ELj1EhN10test_utils4lessEEvPKT2_PS2_PKjT3_.private_seg_size, 0
	.set _Z19sort_keys_segmentedILj256ELj64ELj1EhN10test_utils4lessEEvPKT2_PS2_PKjT3_.uses_vcc, 1
	.set _Z19sort_keys_segmentedILj256ELj64ELj1EhN10test_utils4lessEEvPKT2_PS2_PKjT3_.uses_flat_scratch, 0
	.set _Z19sort_keys_segmentedILj256ELj64ELj1EhN10test_utils4lessEEvPKT2_PS2_PKjT3_.has_dyn_sized_stack, 0
	.set _Z19sort_keys_segmentedILj256ELj64ELj1EhN10test_utils4lessEEvPKT2_PS2_PKjT3_.has_recursion, 0
	.set _Z19sort_keys_segmentedILj256ELj64ELj1EhN10test_utils4lessEEvPKT2_PS2_PKjT3_.has_indirect_call, 0
	.section	.AMDGPU.csdata,"",@progbits
; Kernel info:
; codeLenInByte = 2144
; TotalNumSgprs: 9
; NumVgprs: 17
; ScratchSize: 0
; MemoryBound: 0
; FloatMode: 240
; IeeeMode: 1
; LDSByteSize: 260 bytes/workgroup (compile time only)
; SGPRBlocks: 0
; VGPRBlocks: 2
; NumSGPRsForWavesPerEU: 9
; NumVGPRsForWavesPerEU: 17
; Occupancy: 16
; WaveLimiterHint : 0
; COMPUTE_PGM_RSRC2:SCRATCH_EN: 0
; COMPUTE_PGM_RSRC2:USER_SGPR: 6
; COMPUTE_PGM_RSRC2:TRAP_HANDLER: 0
; COMPUTE_PGM_RSRC2:TGID_X_EN: 1
; COMPUTE_PGM_RSRC2:TGID_Y_EN: 0
; COMPUTE_PGM_RSRC2:TGID_Z_EN: 0
; COMPUTE_PGM_RSRC2:TIDIG_COMP_CNT: 0
	.section	.text._Z20sort_pairs_segmentedILj256ELj64ELj1EhN10test_utils4lessEEvPKT2_PS2_PKjT3_,"axG",@progbits,_Z20sort_pairs_segmentedILj256ELj64ELj1EhN10test_utils4lessEEvPKT2_PS2_PKjT3_,comdat
	.protected	_Z20sort_pairs_segmentedILj256ELj64ELj1EhN10test_utils4lessEEvPKT2_PS2_PKjT3_ ; -- Begin function _Z20sort_pairs_segmentedILj256ELj64ELj1EhN10test_utils4lessEEvPKT2_PS2_PKjT3_
	.globl	_Z20sort_pairs_segmentedILj256ELj64ELj1EhN10test_utils4lessEEvPKT2_PS2_PKjT3_
	.p2align	8
	.type	_Z20sort_pairs_segmentedILj256ELj64ELj1EhN10test_utils4lessEEvPKT2_PS2_PKjT3_,@function
_Z20sort_pairs_segmentedILj256ELj64ELj1EhN10test_utils4lessEEvPKT2_PS2_PKjT3_: ; @_Z20sort_pairs_segmentedILj256ELj64ELj1EhN10test_utils4lessEEvPKT2_PS2_PKjT3_
; %bb.0:
	s_load_dwordx2 s[0:1], s[4:5], 0x10
	v_lshrrev_b32_e32 v2, 6, v0
	v_mov_b32_e32 v5, 0
	v_lshl_or_b32 v4, s6, 2, v2
	v_lshlrev_b64 v[0:1], 2, v[4:5]
	s_waitcnt lgkmcnt(0)
	v_add_co_u32 v0, vcc_lo, s0, v0
	v_add_co_ci_u32_e64 v1, null, s1, v1, vcc_lo
	s_load_dwordx4 s[0:3], s[4:5], 0x0
	global_load_dword v3, v[0:1], off
	v_mbcnt_lo_u32_b32 v0, -1, 0
	v_lshlrev_b32_e32 v1, 6, v4
                                        ; implicit-def: $vgpr4
	s_waitcnt vmcnt(0)
	v_cmp_lt_u32_e32 vcc_lo, v0, v3
	s_and_saveexec_b32 s4, vcc_lo
	s_cbranch_execz .LBB135_2
; %bb.1:
	s_waitcnt lgkmcnt(0)
	v_add_co_u32 v4, s0, s0, v1
	v_add_co_ci_u32_e64 v5, null, s1, 0, s0
	v_add_co_u32 v4, s0, v4, v0
	v_add_co_ci_u32_e64 v5, null, 0, v5, s0
	global_load_ubyte v4, v[4:5], off
.LBB135_2:
	s_or_b32 exec_lo, exec_lo, s4
	v_and_b32_e32 v5, 30, v0
	v_and_b32_e32 v8, 1, v0
	s_waitcnt lgkmcnt(0)
	s_mov_b32 s1, exec_lo
	; wave barrier
	v_min_i32_e32 v7, v3, v5
	v_min_i32_e32 v8, v3, v8
	v_add_nc_u32_e32 v5, 1, v7
	v_min_i32_e32 v5, v3, v5
	v_add_nc_u32_e32 v6, 1, v5
	v_sub_nc_u32_e32 v11, v5, v7
	v_min_i32_e32 v6, v3, v6
	v_sub_nc_u32_e32 v9, v6, v5
	v_sub_nc_u32_e32 v10, v8, v9
	v_cmp_ge_i32_e64 s0, v8, v9
	v_cndmask_b32_e64 v9, 0, v10, s0
	v_min_i32_e32 v10, v8, v11
	v_mad_u32_u24 v11, 0x41, v2, v0
	v_mul_u32_u24_e32 v2, 0x41, v2
	s_waitcnt vmcnt(0)
	ds_write_b8 v11, v4
	; wave barrier
	v_cmpx_lt_i32_e64 v9, v10
	s_cbranch_execz .LBB135_6
; %bb.3:
	v_add_nc_u32_e32 v11, v2, v7
	v_add3_u32 v12, v2, v5, v8
	s_mov_b32 s4, 0
	.p2align	6
.LBB135_4:                              ; =>This Inner Loop Header: Depth=1
	v_sub_nc_u32_e32 v13, v10, v9
	v_lshrrev_b32_e32 v13, 1, v13
	v_add_nc_u32_e32 v13, v13, v9
	v_add_nc_u32_e32 v14, v11, v13
	v_xad_u32 v15, v13, -1, v12
	v_add_nc_u32_e32 v16, 1, v13
	ds_read_u8 v14, v14
	ds_read_u8 v15, v15
	s_waitcnt lgkmcnt(0)
	v_cmp_lt_u16_e64 s0, v15, v14
	v_cndmask_b32_e64 v10, v10, v13, s0
	v_cndmask_b32_e64 v9, v16, v9, s0
	v_cmp_ge_i32_e64 s0, v9, v10
	s_or_b32 s4, s0, s4
	s_andn2_b32 exec_lo, exec_lo, s4
	s_cbranch_execnz .LBB135_4
; %bb.5:
	s_or_b32 exec_lo, exec_lo, s4
.LBB135_6:
	s_or_b32 exec_lo, exec_lo, s1
	v_add_nc_u32_e32 v8, v5, v8
	v_add_nc_u32_e32 v7, v9, v7
	v_sub_nc_u32_e32 v9, v8, v9
	v_add_nc_u32_e32 v8, v2, v7
	v_cmp_le_i32_e64 s0, v5, v7
	v_add_nc_u32_e32 v10, v2, v9
	v_cmp_gt_i32_e64 s1, v6, v9
	v_add_nc_u16 v6, v4, 1
	v_add_nc_u32_e32 v4, v2, v0
	ds_read_u8 v11, v8
	ds_read_u8 v10, v10
	v_and_b32_e32 v8, 28, v0
	; wave barrier
	ds_write_b8 v4, v6
	v_and_b32_e32 v6, 3, v0
	v_min_i32_e32 v8, v3, v8
	; wave barrier
	v_add_nc_u32_e32 v12, 2, v8
	v_min_i32_e32 v5, v3, v12
	s_waitcnt lgkmcnt(1)
	v_cmp_lt_u16_sdwa s4, v10, v11 src0_sel:BYTE_0 src1_sel:BYTE_0
	v_add_nc_u32_e32 v12, 2, v5
	s_or_b32 s0, s0, s4
	s_mov_b32 s4, 0
	s_and_b32 s0, s1, s0
	s_mov_b32 s1, exec_lo
	v_cndmask_b32_e64 v9, v7, v9, s0
	v_cndmask_b32_e64 v13, v11, v10, s0
	v_min_i32_e32 v7, v3, v12
	v_sub_nc_u32_e32 v12, v5, v8
	v_add_nc_u32_e32 v10, v2, v9
	v_min_i32_e32 v9, v3, v6
	v_sub_nc_u32_e32 v11, v7, v5
	ds_read_u8 v6, v10
	v_sub_nc_u32_e32 v10, v9, v11
	v_cmp_ge_i32_e64 s0, v9, v11
	v_min_i32_e32 v11, v9, v12
	; wave barrier
	ds_write_b8 v4, v13
	v_cndmask_b32_e64 v10, 0, v10, s0
	; wave barrier
	v_cmpx_lt_i32_e64 v10, v11
	s_cbranch_execz .LBB135_10
; %bb.7:
	v_add_nc_u32_e32 v12, v2, v8
	v_add3_u32 v13, v2, v5, v9
	.p2align	6
.LBB135_8:                              ; =>This Inner Loop Header: Depth=1
	v_sub_nc_u32_e32 v14, v11, v10
	v_lshrrev_b32_e32 v14, 1, v14
	v_add_nc_u32_e32 v14, v14, v10
	v_add_nc_u32_e32 v15, v12, v14
	v_xad_u32 v16, v14, -1, v13
	v_add_nc_u32_e32 v17, 1, v14
	ds_read_u8 v15, v15
	ds_read_u8 v16, v16
	s_waitcnt lgkmcnt(0)
	v_cmp_lt_u16_e64 s0, v16, v15
	v_cndmask_b32_e64 v11, v11, v14, s0
	v_cndmask_b32_e64 v10, v17, v10, s0
	v_cmp_ge_i32_e64 s0, v10, v11
	s_or_b32 s4, s0, s4
	s_andn2_b32 exec_lo, exec_lo, s4
	s_cbranch_execnz .LBB135_8
; %bb.9:
	s_or_b32 exec_lo, exec_lo, s4
.LBB135_10:
	s_or_b32 exec_lo, exec_lo, s1
	v_add_nc_u32_e32 v9, v5, v9
	v_add_nc_u32_e32 v8, v10, v8
	v_sub_nc_u32_e32 v10, v9, v10
	v_add_nc_u32_e32 v9, v2, v8
	v_cmp_le_i32_e64 s0, v5, v8
	v_add_nc_u32_e32 v11, v2, v10
	v_cmp_gt_i32_e64 s1, v7, v10
	ds_read_u8 v12, v9
	ds_read_u8 v11, v11
	v_and_b32_e32 v9, 24, v0
	; wave barrier
	s_waitcnt lgkmcnt(3)
	ds_write_b8 v4, v6
	v_and_b32_e32 v6, 7, v0
	v_min_i32_e32 v9, v3, v9
	; wave barrier
	v_min_i32_e32 v6, v3, v6
	v_add_nc_u32_e32 v13, 4, v9
	v_min_i32_e32 v5, v3, v13
	s_waitcnt lgkmcnt(1)
	v_cmp_lt_u16_sdwa s4, v11, v12 src0_sel:BYTE_0 src1_sel:BYTE_0
	v_add_nc_u32_e32 v7, 4, v5
	v_sub_nc_u32_e32 v13, v5, v9
	s_or_b32 s0, s0, s4
	s_mov_b32 s4, 0
	s_and_b32 s0, s1, s0
	s_mov_b32 s1, exec_lo
	v_cndmask_b32_e64 v10, v8, v10, s0
	v_min_i32_e32 v8, v3, v7
	v_cndmask_b32_e64 v12, v12, v11, s0
	v_add_nc_u32_e32 v7, v2, v10
	v_sub_nc_u32_e32 v10, v8, v5
	ds_read_u8 v7, v7
	v_sub_nc_u32_e32 v11, v6, v10
	v_cmp_ge_i32_e64 s0, v6, v10
	; wave barrier
	ds_write_b8 v4, v12
	v_cndmask_b32_e64 v10, 0, v11, s0
	v_min_i32_e32 v11, v6, v13
	; wave barrier
	v_cmpx_lt_i32_e64 v10, v11
	s_cbranch_execz .LBB135_14
; %bb.11:
	v_add_nc_u32_e32 v12, v2, v9
	v_add3_u32 v13, v2, v5, v6
	.p2align	6
.LBB135_12:                             ; =>This Inner Loop Header: Depth=1
	v_sub_nc_u32_e32 v14, v11, v10
	v_lshrrev_b32_e32 v14, 1, v14
	v_add_nc_u32_e32 v14, v14, v10
	v_add_nc_u32_e32 v15, v12, v14
	v_xad_u32 v16, v14, -1, v13
	v_add_nc_u32_e32 v17, 1, v14
	ds_read_u8 v15, v15
	ds_read_u8 v16, v16
	s_waitcnt lgkmcnt(0)
	v_cmp_lt_u16_e64 s0, v16, v15
	v_cndmask_b32_e64 v11, v11, v14, s0
	v_cndmask_b32_e64 v10, v17, v10, s0
	v_cmp_ge_i32_e64 s0, v10, v11
	s_or_b32 s4, s0, s4
	s_andn2_b32 exec_lo, exec_lo, s4
	s_cbranch_execnz .LBB135_12
; %bb.13:
	s_or_b32 exec_lo, exec_lo, s4
.LBB135_14:
	s_or_b32 exec_lo, exec_lo, s1
	v_add_nc_u32_e32 v6, v5, v6
	v_add_nc_u32_e32 v11, v10, v9
	v_sub_nc_u32_e32 v10, v6, v10
	v_add_nc_u32_e32 v6, v2, v11
	v_cmp_le_i32_e64 s0, v5, v11
	v_add_nc_u32_e32 v9, v2, v10
	v_cmp_gt_i32_e64 s1, v8, v10
	ds_read_u8 v12, v6
	ds_read_u8 v13, v9
	v_and_b32_e32 v6, 16, v0
	; wave barrier
	s_waitcnt lgkmcnt(3)
	ds_write_b8 v4, v7
	v_min_i32_e32 v9, v3, v6
	; wave barrier
	v_add_nc_u32_e32 v6, 8, v9
	v_min_i32_e32 v6, v3, v6
	s_waitcnt lgkmcnt(1)
	v_cmp_lt_u16_sdwa s4, v13, v12 src0_sel:BYTE_0 src1_sel:BYTE_0
	v_add_nc_u32_e32 v5, 8, v6
	s_or_b32 s0, s0, s4
	v_min_i32_e32 v7, v3, v5
	s_and_b32 s0, s1, s0
	s_mov_b32 s4, 0
	v_cndmask_b32_e64 v8, v11, v10, s0
	v_and_b32_e32 v10, 15, v0
	v_cndmask_b32_e64 v12, v12, v13, s0
	v_sub_nc_u32_e32 v13, v6, v9
	s_mov_b32 s1, exec_lo
	v_add_nc_u32_e32 v8, v2, v8
	v_min_i32_e32 v5, v3, v10
	v_sub_nc_u32_e32 v10, v7, v6
	ds_read_u8 v8, v8
	v_sub_nc_u32_e32 v11, v5, v10
	v_cmp_ge_i32_e64 s0, v5, v10
	; wave barrier
	ds_write_b8 v4, v12
	; wave barrier
	v_cndmask_b32_e64 v10, 0, v11, s0
	v_min_i32_e32 v11, v5, v13
	v_cmpx_lt_i32_e64 v10, v11
	s_cbranch_execz .LBB135_18
; %bb.15:
	v_add_nc_u32_e32 v12, v2, v9
	v_add3_u32 v13, v2, v6, v5
	.p2align	6
.LBB135_16:                             ; =>This Inner Loop Header: Depth=1
	v_sub_nc_u32_e32 v14, v11, v10
	v_lshrrev_b32_e32 v14, 1, v14
	v_add_nc_u32_e32 v14, v14, v10
	v_add_nc_u32_e32 v15, v12, v14
	v_xad_u32 v16, v14, -1, v13
	v_add_nc_u32_e32 v17, 1, v14
	ds_read_u8 v15, v15
	ds_read_u8 v16, v16
	s_waitcnt lgkmcnt(0)
	v_cmp_lt_u16_e64 s0, v16, v15
	v_cndmask_b32_e64 v11, v11, v14, s0
	v_cndmask_b32_e64 v10, v17, v10, s0
	v_cmp_ge_i32_e64 s0, v10, v11
	s_or_b32 s4, s0, s4
	s_andn2_b32 exec_lo, exec_lo, s4
	s_cbranch_execnz .LBB135_16
; %bb.17:
	s_or_b32 exec_lo, exec_lo, s4
.LBB135_18:
	s_or_b32 exec_lo, exec_lo, s1
	v_add_nc_u32_e32 v5, v6, v5
	v_add_nc_u32_e32 v9, v10, v9
	v_sub_nc_u32_e32 v10, v5, v10
	v_add_nc_u32_e32 v5, v2, v9
	v_cmp_le_i32_e64 s0, v6, v9
	v_add_nc_u32_e32 v11, v2, v10
	v_cmp_gt_i32_e64 s1, v7, v10
	ds_read_u8 v12, v5
	ds_read_u8 v11, v11
	v_min_i32_e32 v5, 0, v3
	; wave barrier
	s_waitcnt lgkmcnt(3)
	ds_write_b8 v4, v8
	v_add_nc_u32_e32 v6, 16, v5
	; wave barrier
	v_min_i32_e32 v7, v3, v6
	v_add_nc_u32_e32 v6, 16, v7
	v_sub_nc_u32_e32 v13, v7, v5
	s_waitcnt lgkmcnt(1)
	v_cmp_lt_u16_sdwa s4, v11, v12 src0_sel:BYTE_0 src1_sel:BYTE_0
	s_or_b32 s0, s0, s4
	s_mov_b32 s4, 0
	s_and_b32 s0, s1, s0
	s_mov_b32 s1, exec_lo
	v_cndmask_b32_e64 v10, v9, v10, s0
	v_min_i32_e32 v9, v3, v6
	v_min_i32_e32 v6, v3, v0
	v_cndmask_b32_e64 v12, v12, v11, s0
	v_add_nc_u32_e32 v8, v2, v10
	v_sub_nc_u32_e32 v10, v9, v7
	ds_read_u8 v8, v8
	v_sub_nc_u32_e32 v11, v6, v10
	v_cmp_ge_i32_e64 s0, v6, v10
	; wave barrier
	ds_write_b8 v4, v12
	v_cndmask_b32_e64 v10, 0, v11, s0
	v_min_i32_e32 v11, v6, v13
	; wave barrier
	v_cmpx_lt_i32_e64 v10, v11
	s_cbranch_execz .LBB135_22
; %bb.19:
	v_add_nc_u32_e32 v12, v2, v5
	v_add3_u32 v13, v2, v7, v6
	.p2align	6
.LBB135_20:                             ; =>This Inner Loop Header: Depth=1
	v_sub_nc_u32_e32 v14, v11, v10
	v_lshrrev_b32_e32 v14, 1, v14
	v_add_nc_u32_e32 v14, v14, v10
	v_add_nc_u32_e32 v15, v12, v14
	v_xad_u32 v16, v14, -1, v13
	v_add_nc_u32_e32 v17, 1, v14
	ds_read_u8 v15, v15
	ds_read_u8 v16, v16
	s_waitcnt lgkmcnt(0)
	v_cmp_lt_u16_e64 s0, v16, v15
	v_cndmask_b32_e64 v11, v11, v14, s0
	v_cndmask_b32_e64 v10, v17, v10, s0
	v_cmp_ge_i32_e64 s0, v10, v11
	s_or_b32 s4, s0, s4
	s_andn2_b32 exec_lo, exec_lo, s4
	s_cbranch_execnz .LBB135_20
; %bb.21:
	s_or_b32 exec_lo, exec_lo, s4
.LBB135_22:
	s_or_b32 exec_lo, exec_lo, s1
	v_add_nc_u32_e32 v11, v7, v6
	v_add_nc_u32_e32 v12, v10, v5
	;; [unrolled: 1-line block ×3, first 2 shown]
	v_sub_nc_u32_e32 v10, v11, v10
	v_add_nc_u32_e32 v11, v2, v12
	v_cmp_le_i32_e64 s0, v7, v12
	v_min_i32_e32 v7, v3, v14
	v_add_nc_u32_e32 v13, v2, v10
	v_cmp_gt_i32_e64 s1, v9, v10
	ds_read_u8 v11, v11
	ds_read_u8 v13, v13
	v_add_nc_u32_e32 v9, 32, v7
	; wave barrier
	s_waitcnt lgkmcnt(3)
	ds_write_b8 v4, v8
	v_min_i32_e32 v3, v3, v9
	; wave barrier
	s_waitcnt lgkmcnt(1)
	v_cmp_lt_u16_sdwa s4, v13, v11 src0_sel:BYTE_0 src1_sel:BYTE_0
	s_or_b32 s0, s0, s4
	s_mov_b32 s4, 0
	s_and_b32 s0, s1, s0
	s_mov_b32 s1, exec_lo
	v_cndmask_b32_e64 v10, v12, v10, s0
	v_cndmask_b32_e64 v11, v11, v13, s0
	v_sub_nc_u32_e32 v12, v7, v5
	v_add_nc_u32_e32 v9, v2, v10
	v_sub_nc_u32_e32 v10, v3, v7
	ds_read_u8 v8, v9
	v_sub_nc_u32_e32 v9, v6, v10
	v_cmp_ge_i32_e64 s0, v6, v10
	v_min_i32_e32 v10, v6, v12
	; wave barrier
	ds_write_b8 v4, v11
	v_cndmask_b32_e64 v9, 0, v9, s0
	; wave barrier
	v_cmpx_lt_i32_e64 v9, v10
	s_cbranch_execz .LBB135_26
; %bb.23:
	v_add_nc_u32_e32 v11, v2, v5
	v_add3_u32 v12, v2, v7, v6
	.p2align	6
.LBB135_24:                             ; =>This Inner Loop Header: Depth=1
	v_sub_nc_u32_e32 v13, v10, v9
	v_lshrrev_b32_e32 v13, 1, v13
	v_add_nc_u32_e32 v13, v13, v9
	v_add_nc_u32_e32 v14, v11, v13
	v_xad_u32 v15, v13, -1, v12
	v_add_nc_u32_e32 v16, 1, v13
	ds_read_u8 v14, v14
	ds_read_u8 v15, v15
	s_waitcnt lgkmcnt(0)
	v_cmp_lt_u16_e64 s0, v15, v14
	v_cndmask_b32_e64 v10, v10, v13, s0
	v_cndmask_b32_e64 v9, v16, v9, s0
	v_cmp_ge_i32_e64 s0, v9, v10
	s_or_b32 s4, s0, s4
	s_andn2_b32 exec_lo, exec_lo, s4
	s_cbranch_execnz .LBB135_24
; %bb.25:
	s_or_b32 exec_lo, exec_lo, s4
.LBB135_26:
	s_or_b32 exec_lo, exec_lo, s1
	v_add_nc_u32_e32 v6, v7, v6
	v_add_nc_u32_e32 v5, v9, v5
	v_sub_nc_u32_e32 v6, v6, v9
	v_add_nc_u32_e32 v9, v2, v5
	v_add_nc_u32_e32 v10, v2, v6
	ds_read_u8 v9, v9
	ds_read_u8 v10, v10
	; wave barrier
	s_waitcnt lgkmcnt(3)
	ds_write_b8 v4, v8
	; wave barrier
	s_and_saveexec_b32 s0, vcc_lo
	s_cbranch_execz .LBB135_28
; %bb.27:
	v_cmp_le_i32_e32 vcc_lo, v7, v5
	s_waitcnt lgkmcnt(1)
	v_cmp_lt_u16_sdwa s1, v10, v9 src0_sel:BYTE_0 src1_sel:BYTE_0
	v_cmp_gt_i32_e64 s0, v3, v6
	s_or_b32 s1, vcc_lo, s1
	s_and_b32 vcc_lo, s0, s1
	v_add_co_u32 v1, s0, s2, v1
	v_cndmask_b32_e32 v4, v5, v6, vcc_lo
	v_cndmask_b32_e32 v3, v9, v10, vcc_lo
	v_add_co_u32 v0, vcc_lo, v1, v0
	v_add_nc_u32_e32 v2, v2, v4
	v_add_co_ci_u32_e64 v4, null, s3, 0, s0
	ds_read_u8 v2, v2
	v_add_co_ci_u32_e64 v1, null, 0, v4, vcc_lo
	s_waitcnt lgkmcnt(0)
	v_add_nc_u16 v2, v2, v3
	global_store_byte v[0:1], v2, off
.LBB135_28:
	s_endpgm
	.section	.rodata,"a",@progbits
	.p2align	6, 0x0
	.amdhsa_kernel _Z20sort_pairs_segmentedILj256ELj64ELj1EhN10test_utils4lessEEvPKT2_PS2_PKjT3_
		.amdhsa_group_segment_fixed_size 260
		.amdhsa_private_segment_fixed_size 0
		.amdhsa_kernarg_size 28
		.amdhsa_user_sgpr_count 6
		.amdhsa_user_sgpr_private_segment_buffer 1
		.amdhsa_user_sgpr_dispatch_ptr 0
		.amdhsa_user_sgpr_queue_ptr 0
		.amdhsa_user_sgpr_kernarg_segment_ptr 1
		.amdhsa_user_sgpr_dispatch_id 0
		.amdhsa_user_sgpr_flat_scratch_init 0
		.amdhsa_user_sgpr_private_segment_size 0
		.amdhsa_wavefront_size32 1
		.amdhsa_uses_dynamic_stack 0
		.amdhsa_system_sgpr_private_segment_wavefront_offset 0
		.amdhsa_system_sgpr_workgroup_id_x 1
		.amdhsa_system_sgpr_workgroup_id_y 0
		.amdhsa_system_sgpr_workgroup_id_z 0
		.amdhsa_system_sgpr_workgroup_info 0
		.amdhsa_system_vgpr_workitem_id 0
		.amdhsa_next_free_vgpr 18
		.amdhsa_next_free_sgpr 7
		.amdhsa_reserve_vcc 1
		.amdhsa_reserve_flat_scratch 0
		.amdhsa_float_round_mode_32 0
		.amdhsa_float_round_mode_16_64 0
		.amdhsa_float_denorm_mode_32 3
		.amdhsa_float_denorm_mode_16_64 3
		.amdhsa_dx10_clamp 1
		.amdhsa_ieee_mode 1
		.amdhsa_fp16_overflow 0
		.amdhsa_workgroup_processor_mode 1
		.amdhsa_memory_ordered 1
		.amdhsa_forward_progress 1
		.amdhsa_shared_vgpr_count 0
		.amdhsa_exception_fp_ieee_invalid_op 0
		.amdhsa_exception_fp_denorm_src 0
		.amdhsa_exception_fp_ieee_div_zero 0
		.amdhsa_exception_fp_ieee_overflow 0
		.amdhsa_exception_fp_ieee_underflow 0
		.amdhsa_exception_fp_ieee_inexact 0
		.amdhsa_exception_int_div_zero 0
	.end_amdhsa_kernel
	.section	.text._Z20sort_pairs_segmentedILj256ELj64ELj1EhN10test_utils4lessEEvPKT2_PS2_PKjT3_,"axG",@progbits,_Z20sort_pairs_segmentedILj256ELj64ELj1EhN10test_utils4lessEEvPKT2_PS2_PKjT3_,comdat
.Lfunc_end135:
	.size	_Z20sort_pairs_segmentedILj256ELj64ELj1EhN10test_utils4lessEEvPKT2_PS2_PKjT3_, .Lfunc_end135-_Z20sort_pairs_segmentedILj256ELj64ELj1EhN10test_utils4lessEEvPKT2_PS2_PKjT3_
                                        ; -- End function
	.set _Z20sort_pairs_segmentedILj256ELj64ELj1EhN10test_utils4lessEEvPKT2_PS2_PKjT3_.num_vgpr, 18
	.set _Z20sort_pairs_segmentedILj256ELj64ELj1EhN10test_utils4lessEEvPKT2_PS2_PKjT3_.num_agpr, 0
	.set _Z20sort_pairs_segmentedILj256ELj64ELj1EhN10test_utils4lessEEvPKT2_PS2_PKjT3_.numbered_sgpr, 7
	.set _Z20sort_pairs_segmentedILj256ELj64ELj1EhN10test_utils4lessEEvPKT2_PS2_PKjT3_.num_named_barrier, 0
	.set _Z20sort_pairs_segmentedILj256ELj64ELj1EhN10test_utils4lessEEvPKT2_PS2_PKjT3_.private_seg_size, 0
	.set _Z20sort_pairs_segmentedILj256ELj64ELj1EhN10test_utils4lessEEvPKT2_PS2_PKjT3_.uses_vcc, 1
	.set _Z20sort_pairs_segmentedILj256ELj64ELj1EhN10test_utils4lessEEvPKT2_PS2_PKjT3_.uses_flat_scratch, 0
	.set _Z20sort_pairs_segmentedILj256ELj64ELj1EhN10test_utils4lessEEvPKT2_PS2_PKjT3_.has_dyn_sized_stack, 0
	.set _Z20sort_pairs_segmentedILj256ELj64ELj1EhN10test_utils4lessEEvPKT2_PS2_PKjT3_.has_recursion, 0
	.set _Z20sort_pairs_segmentedILj256ELj64ELj1EhN10test_utils4lessEEvPKT2_PS2_PKjT3_.has_indirect_call, 0
	.section	.AMDGPU.csdata,"",@progbits
; Kernel info:
; codeLenInByte = 2248
; TotalNumSgprs: 9
; NumVgprs: 18
; ScratchSize: 0
; MemoryBound: 0
; FloatMode: 240
; IeeeMode: 1
; LDSByteSize: 260 bytes/workgroup (compile time only)
; SGPRBlocks: 0
; VGPRBlocks: 2
; NumSGPRsForWavesPerEU: 9
; NumVGPRsForWavesPerEU: 18
; Occupancy: 16
; WaveLimiterHint : 0
; COMPUTE_PGM_RSRC2:SCRATCH_EN: 0
; COMPUTE_PGM_RSRC2:USER_SGPR: 6
; COMPUTE_PGM_RSRC2:TRAP_HANDLER: 0
; COMPUTE_PGM_RSRC2:TGID_X_EN: 1
; COMPUTE_PGM_RSRC2:TGID_Y_EN: 0
; COMPUTE_PGM_RSRC2:TGID_Z_EN: 0
; COMPUTE_PGM_RSRC2:TIDIG_COMP_CNT: 0
	.section	.text._Z9sort_keysILj256ELj64ELj4EhN10test_utils4lessEEvPKT2_PS2_T3_,"axG",@progbits,_Z9sort_keysILj256ELj64ELj4EhN10test_utils4lessEEvPKT2_PS2_T3_,comdat
	.protected	_Z9sort_keysILj256ELj64ELj4EhN10test_utils4lessEEvPKT2_PS2_T3_ ; -- Begin function _Z9sort_keysILj256ELj64ELj4EhN10test_utils4lessEEvPKT2_PS2_T3_
	.globl	_Z9sort_keysILj256ELj64ELj4EhN10test_utils4lessEEvPKT2_PS2_T3_
	.p2align	8
	.type	_Z9sort_keysILj256ELj64ELj4EhN10test_utils4lessEEvPKT2_PS2_T3_,@function
_Z9sort_keysILj256ELj64ELj4EhN10test_utils4lessEEvPKT2_PS2_T3_: ; @_Z9sort_keysILj256ELj64ELj4EhN10test_utils4lessEEvPKT2_PS2_T3_
; %bb.0:
	s_load_dwordx4 s[8:11], s[4:5], 0x0
	s_lshl_b32 s3, s6, 10
	v_lshlrev_b32_e32 v1, 2, v0
	v_mov_b32_e32 v8, 0xffffff00
	v_lshrrev_b32_e32 v0, 6, v0
	s_waitcnt lgkmcnt(0)
	s_add_u32 s0, s8, s3
	s_addc_u32 s1, s9, 0
	global_load_dword v2, v1, s[0:1]
	s_mov_b32 s1, exec_lo
	; wave barrier
	s_waitcnt vmcnt(0)
	v_lshrrev_b32_e32 v3, 8, v2
	v_and_b32_e32 v4, 0xff, v2
	v_perm_b32 v5, v2, v2, 0x7060405
	v_and_b32_e32 v3, 0xff, v3
	v_cmp_lt_u16_e32 vcc_lo, v3, v4
	v_cndmask_b32_e32 v2, v2, v5, vcc_lo
	v_lshrrev_b32_e32 v5, 16, v2
	v_lshrrev_b32_e32 v7, 24, v2
	v_perm_b32 v6, 0, v5, 0xc0c0001
	v_and_b32_e32 v5, 0xff, v5
	v_lshlrev_b32_e32 v6, 16, v6
	v_cmp_lt_u16_e32 vcc_lo, v7, v5
	v_min_u16 v9, v7, v5
	v_and_or_b32 v6, 0xffff, v2, v6
	v_cndmask_b32_e32 v2, v2, v6, vcc_lo
	v_min_u16 v6, v3, v4
	v_max_u16 v3, v3, v4
	v_lshlrev_b16 v4, 8, v9
	v_and_b32_sdwa v10, v2, v8 dst_sel:DWORD dst_unused:UNUSED_PAD src0_sel:WORD_1 src1_sel:DWORD
	v_lshlrev_b16 v11, 8, v6
	v_min_u16 v12, v9, v3
	v_or_b32_sdwa v4, v2, v4 dst_sel:DWORD dst_unused:UNUSED_PAD src0_sel:BYTE_0 src1_sel:DWORD
	v_cmp_lt_u16_e32 vcc_lo, v9, v3
	v_or_b32_sdwa v10, v3, v10 dst_sel:WORD_1 dst_unused:UNUSED_PAD src0_sel:DWORD src1_sel:DWORD
	v_or_b32_e32 v11, v12, v11
	v_or_b32_sdwa v4, v4, v10 dst_sel:DWORD dst_unused:UNUSED_PAD src0_sel:WORD_0 src1_sel:DWORD
	v_max_u16 v10, v9, v3
	v_and_b32_e32 v11, 0xffff, v11
	v_cndmask_b32_e32 v2, v2, v4, vcc_lo
	v_max_u16 v4, v7, v5
	v_lshlrev_b16 v5, 8, v10
	v_cmp_lt_u16_e32 vcc_lo, v9, v6
	v_and_or_b32 v7, 0xffff0000, v2, v11
	v_mbcnt_lo_u32_b32 v11, -1, 0
	v_or_b32_sdwa v5, v4, v5 dst_sel:WORD_1 dst_unused:UNUSED_PAD src0_sel:DWORD src1_sel:DWORD
	v_cmp_gt_u16_e64 s0, v3, v4
	v_cndmask_b32_e32 v7, v2, v7, vcc_lo
	v_lshlrev_b32_e32 v2, 2, v11
	v_cndmask_b32_e32 v11, v12, v6, vcc_lo
	v_cndmask_b32_e64 v10, v10, v4, s0
	v_and_or_b32 v9, 0xffff, v7, v5
	v_and_b32_e32 v5, 0x78, v2
	v_and_b32_e32 v6, 4, v2
	v_mad_u32_u24 v15, 0x101, v0, v2
	v_mul_u32_u24_e32 v0, 0x101, v0
	v_cndmask_b32_e64 v9, v7, v9, s0
	v_or_b32_e32 v4, 4, v5
	v_add_nc_u32_e32 v3, 8, v5
	s_mov_b32 s0, 0
	v_and_b32_sdwa v7, v9, v8 dst_sel:DWORD dst_unused:UNUSED_PAD src0_sel:WORD_1 src1_sel:DWORD
	v_lshlrev_b16 v8, 8, v10
	v_sub_nc_u32_e32 v12, v3, v4
	v_sub_nc_u32_e32 v13, v4, v5
	v_or_b32_sdwa v7, v11, v7 dst_sel:WORD_1 dst_unused:UNUSED_PAD src0_sel:DWORD src1_sel:DWORD
	v_or_b32_sdwa v8, v9, v8 dst_sel:DWORD dst_unused:UNUSED_PAD src0_sel:BYTE_0 src1_sel:DWORD
	v_sub_nc_u32_e32 v14, v6, v12
	v_cmp_ge_i32_e32 vcc_lo, v6, v12
	v_or_b32_sdwa v16, v8, v7 dst_sel:DWORD dst_unused:UNUSED_PAD src0_sel:WORD_0 src1_sel:DWORD
	v_min_i32_e32 v8, v6, v13
	v_cndmask_b32_e32 v7, 0, v14, vcc_lo
	v_cmp_lt_u16_e32 vcc_lo, v10, v11
	v_cndmask_b32_e32 v9, v9, v16, vcc_lo
	ds_write_b32 v15, v9
	; wave barrier
	v_cmpx_lt_i32_e64 v7, v8
	s_cbranch_execz .LBB136_4
; %bb.1:
	v_add_nc_u32_e32 v9, v0, v5
	v_add3_u32 v10, v0, v4, v6
	.p2align	6
.LBB136_2:                              ; =>This Inner Loop Header: Depth=1
	v_sub_nc_u32_e32 v11, v8, v7
	v_lshrrev_b32_e32 v11, 1, v11
	v_add_nc_u32_e32 v11, v11, v7
	v_add_nc_u32_e32 v12, v9, v11
	v_xad_u32 v13, v11, -1, v10
	v_add_nc_u32_e32 v14, 1, v11
	ds_read_u8 v12, v12
	ds_read_u8 v13, v13
	s_waitcnt lgkmcnt(0)
	v_cmp_lt_u16_e32 vcc_lo, v13, v12
	v_cndmask_b32_e32 v8, v8, v11, vcc_lo
	v_cndmask_b32_e32 v7, v14, v7, vcc_lo
	v_cmp_ge_i32_e32 vcc_lo, v7, v8
	s_or_b32 s0, vcc_lo, s0
	s_andn2_b32 exec_lo, exec_lo, s0
	s_cbranch_execnz .LBB136_2
; %bb.3:
	s_or_b32 exec_lo, exec_lo, s0
.LBB136_4:
	s_or_b32 exec_lo, exec_lo, s1
	v_add_nc_u32_e32 v6, v4, v6
	v_add_nc_u32_e32 v5, v7, v5
                                        ; implicit-def: $vgpr9
	v_sub_nc_u32_e32 v6, v6, v7
	v_add_nc_u32_e32 v10, v0, v5
	v_cmp_le_i32_e32 vcc_lo, v4, v5
	v_add_nc_u32_e32 v11, v0, v6
	v_cmp_gt_i32_e64 s0, v3, v6
	ds_read_u8 v7, v10
	ds_read_u8 v8, v11
	s_waitcnt lgkmcnt(0)
	v_cmp_lt_u16_sdwa s1, v8, v7 src0_sel:BYTE_0 src1_sel:BYTE_0
	s_or_b32 s1, vcc_lo, s1
	s_and_b32 vcc_lo, s0, s1
	s_xor_b32 s0, vcc_lo, -1
	s_and_saveexec_b32 s1, s0
	s_xor_b32 s0, exec_lo, s1
; %bb.5:
	ds_read_u8 v9, v10 offset:1
                                        ; implicit-def: $vgpr11
; %bb.6:
	s_or_saveexec_b32 s0, s0
	v_mov_b32_e32 v10, v8
	s_xor_b32 exec_lo, exec_lo, s0
	s_cbranch_execz .LBB136_8
; %bb.7:
	ds_read_u8 v10, v11 offset:1
	s_waitcnt lgkmcnt(1)
	v_mov_b32_e32 v9, v7
.LBB136_8:
	s_or_b32 exec_lo, exec_lo, s0
	v_add_nc_u32_e32 v11, 1, v5
	v_add_nc_u32_e32 v13, 1, v6
	s_waitcnt lgkmcnt(0)
	v_cmp_lt_u16_sdwa s2, v10, v9 src0_sel:BYTE_0 src1_sel:BYTE_0
	v_cndmask_b32_e32 v12, v11, v5, vcc_lo
	v_cndmask_b32_e32 v11, v6, v13, vcc_lo
                                        ; implicit-def: $vgpr5
	v_cmp_ge_i32_e64 s0, v12, v4
	v_cmp_lt_i32_e64 s1, v11, v3
	s_or_b32 s0, s0, s2
	s_and_b32 s0, s1, s0
	s_xor_b32 s1, s0, -1
	s_and_saveexec_b32 s2, s1
	s_xor_b32 s1, exec_lo, s2
; %bb.9:
	v_add_nc_u32_e32 v5, v0, v12
	ds_read_u8 v5, v5 offset:1
; %bb.10:
	s_or_saveexec_b32 s1, s1
	v_mov_b32_e32 v6, v10
	s_xor_b32 exec_lo, exec_lo, s1
	s_cbranch_execz .LBB136_12
; %bb.11:
	s_waitcnt lgkmcnt(0)
	v_add_nc_u32_e32 v5, v0, v11
	ds_read_u8 v6, v5 offset:1
	v_mov_b32_e32 v5, v9
.LBB136_12:
	s_or_b32 exec_lo, exec_lo, s1
	v_add_nc_u32_e32 v13, 1, v12
	v_add_nc_u32_e32 v15, 1, v11
	s_waitcnt lgkmcnt(0)
	v_cmp_lt_u16_sdwa s4, v6, v5 src0_sel:BYTE_0 src1_sel:BYTE_0
	v_cndmask_b32_e64 v14, v13, v12, s0
	v_cndmask_b32_e64 v12, v11, v15, s0
                                        ; implicit-def: $vgpr13
	v_cmp_ge_i32_e64 s1, v14, v4
	v_cmp_lt_i32_e64 s2, v12, v3
	s_or_b32 s1, s1, s4
	s_and_b32 s1, s2, s1
	s_xor_b32 s2, s1, -1
	s_and_saveexec_b32 s4, s2
	s_xor_b32 s2, exec_lo, s4
; %bb.13:
	v_add_nc_u32_e32 v11, v0, v14
	ds_read_u8 v13, v11 offset:1
; %bb.14:
	s_or_saveexec_b32 s2, s2
	v_mov_b32_e32 v15, v6
	s_xor_b32 exec_lo, exec_lo, s2
	s_cbranch_execz .LBB136_16
; %bb.15:
	v_add_nc_u32_e32 v11, v0, v12
	s_waitcnt lgkmcnt(0)
	v_mov_b32_e32 v13, v5
	ds_read_u8 v15, v11 offset:1
.LBB136_16:
	s_or_b32 exec_lo, exec_lo, s2
	v_add_nc_u32_e32 v16, 1, v14
	v_add_nc_u32_e32 v17, 1, v12
	v_and_b32_e32 v11, 0x70, v2
	v_cndmask_b32_e64 v18, v5, v6, s1
	s_waitcnt lgkmcnt(0)
	v_cmp_lt_u16_sdwa s2, v15, v13 src0_sel:BYTE_0 src1_sel:BYTE_0
	v_cndmask_b32_e64 v14, v16, v14, s1
	v_cndmask_b32_e64 v12, v12, v17, s1
	v_or_b32_e32 v6, 8, v11
	v_add_nc_u32_e32 v5, 16, v11
	v_cndmask_b32_e64 v9, v9, v10, s0
	v_cmp_ge_i32_e64 s1, v14, v4
	v_cmp_lt_i32_e64 s0, v12, v3
	v_and_b32_e32 v4, 12, v2
	v_sub_nc_u32_e32 v10, v5, v6
	v_cndmask_b32_e32 v12, v7, v8, vcc_lo
	s_or_b32 s1, s1, s2
	v_sub_nc_u32_e32 v8, v6, v11
	s_and_b32 vcc_lo, s0, s1
	v_sub_nc_u32_e32 v7, v4, v10
	v_cndmask_b32_e32 v13, v13, v15, vcc_lo
	v_cmp_ge_i32_e32 vcc_lo, v4, v10
	v_add_nc_u32_e32 v3, v0, v2
	v_min_i32_e32 v8, v4, v8
	s_mov_b32 s1, 0
	s_mov_b32 s0, exec_lo
	v_cndmask_b32_e32 v7, 0, v7, vcc_lo
	; wave barrier
	ds_write_b8 v3, v12
	ds_write_b8 v3, v9 offset:1
	ds_write_b8 v3, v18 offset:2
	;; [unrolled: 1-line block ×3, first 2 shown]
	; wave barrier
	v_cmpx_lt_i32_e64 v7, v8
	s_cbranch_execz .LBB136_20
; %bb.17:
	v_add_nc_u32_e32 v9, v0, v11
	v_add3_u32 v10, v0, v6, v4
	.p2align	6
.LBB136_18:                             ; =>This Inner Loop Header: Depth=1
	v_sub_nc_u32_e32 v12, v8, v7
	v_lshrrev_b32_e32 v12, 1, v12
	v_add_nc_u32_e32 v12, v12, v7
	v_add_nc_u32_e32 v13, v9, v12
	v_xad_u32 v14, v12, -1, v10
	v_add_nc_u32_e32 v15, 1, v12
	ds_read_u8 v13, v13
	ds_read_u8 v14, v14
	s_waitcnt lgkmcnt(0)
	v_cmp_lt_u16_e32 vcc_lo, v14, v13
	v_cndmask_b32_e32 v8, v8, v12, vcc_lo
	v_cndmask_b32_e32 v7, v15, v7, vcc_lo
	v_cmp_ge_i32_e32 vcc_lo, v7, v8
	s_or_b32 s1, vcc_lo, s1
	s_andn2_b32 exec_lo, exec_lo, s1
	s_cbranch_execnz .LBB136_18
; %bb.19:
	s_or_b32 exec_lo, exec_lo, s1
.LBB136_20:
	s_or_b32 exec_lo, exec_lo, s0
	v_add_nc_u32_e32 v4, v6, v4
	v_add_nc_u32_e32 v10, v7, v11
	v_sub_nc_u32_e32 v11, v4, v7
	v_add_nc_u32_e32 v7, v0, v10
	v_cmp_le_i32_e32 vcc_lo, v6, v10
                                        ; implicit-def: $vgpr4
	v_add_nc_u32_e32 v12, v0, v11
	v_cmp_gt_i32_e64 s0, v5, v11
	ds_read_u8 v8, v7
	ds_read_u8 v9, v12
	s_waitcnt lgkmcnt(0)
	v_cmp_lt_u16_sdwa s1, v9, v8 src0_sel:BYTE_0 src1_sel:BYTE_0
	s_or_b32 s1, vcc_lo, s1
	s_and_b32 vcc_lo, s0, s1
	s_xor_b32 s0, vcc_lo, -1
	s_and_saveexec_b32 s1, s0
	s_xor_b32 s0, exec_lo, s1
; %bb.21:
	ds_read_u8 v4, v7 offset:1
                                        ; implicit-def: $vgpr12
; %bb.22:
	s_or_saveexec_b32 s0, s0
	v_mov_b32_e32 v7, v9
	s_xor_b32 exec_lo, exec_lo, s0
	s_cbranch_execz .LBB136_24
; %bb.23:
	ds_read_u8 v7, v12 offset:1
	s_waitcnt lgkmcnt(1)
	v_mov_b32_e32 v4, v8
.LBB136_24:
	s_or_b32 exec_lo, exec_lo, s0
	v_add_nc_u32_e32 v12, 1, v10
	v_add_nc_u32_e32 v14, 1, v11
	s_waitcnt lgkmcnt(0)
	v_cmp_lt_u16_sdwa s2, v7, v4 src0_sel:BYTE_0 src1_sel:BYTE_0
	v_cndmask_b32_e32 v13, v12, v10, vcc_lo
	v_cndmask_b32_e32 v11, v11, v14, vcc_lo
                                        ; implicit-def: $vgpr10
	v_cmp_ge_i32_e64 s0, v13, v6
	v_cmp_lt_i32_e64 s1, v11, v5
	s_or_b32 s0, s0, s2
	s_and_b32 s0, s1, s0
	s_xor_b32 s1, s0, -1
	s_and_saveexec_b32 s2, s1
	s_xor_b32 s1, exec_lo, s2
; %bb.25:
	v_add_nc_u32_e32 v10, v0, v13
	ds_read_u8 v10, v10 offset:1
; %bb.26:
	s_or_saveexec_b32 s1, s1
	v_mov_b32_e32 v12, v7
	s_xor_b32 exec_lo, exec_lo, s1
	s_cbranch_execz .LBB136_28
; %bb.27:
	s_waitcnt lgkmcnt(0)
	v_add_nc_u32_e32 v10, v0, v11
	ds_read_u8 v12, v10 offset:1
	v_mov_b32_e32 v10, v4
.LBB136_28:
	s_or_b32 exec_lo, exec_lo, s1
	v_add_nc_u32_e32 v14, 1, v13
	v_add_nc_u32_e32 v16, 1, v11
	s_waitcnt lgkmcnt(0)
	v_cmp_lt_u16_sdwa s4, v12, v10 src0_sel:BYTE_0 src1_sel:BYTE_0
	v_cndmask_b32_e64 v15, v14, v13, s0
	v_cndmask_b32_e64 v13, v11, v16, s0
                                        ; implicit-def: $vgpr14
	v_cmp_ge_i32_e64 s1, v15, v6
	v_cmp_lt_i32_e64 s2, v13, v5
	s_or_b32 s1, s1, s4
	s_and_b32 s1, s2, s1
	s_xor_b32 s2, s1, -1
	s_and_saveexec_b32 s4, s2
	s_xor_b32 s2, exec_lo, s4
; %bb.29:
	v_add_nc_u32_e32 v11, v0, v15
	ds_read_u8 v14, v11 offset:1
; %bb.30:
	s_or_saveexec_b32 s2, s2
	v_mov_b32_e32 v16, v12
	s_xor_b32 exec_lo, exec_lo, s2
	s_cbranch_execz .LBB136_32
; %bb.31:
	v_add_nc_u32_e32 v11, v0, v13
	s_waitcnt lgkmcnt(0)
	v_mov_b32_e32 v14, v10
	ds_read_u8 v16, v11 offset:1
.LBB136_32:
	s_or_b32 exec_lo, exec_lo, s2
	v_add_nc_u32_e32 v17, 1, v15
	v_cndmask_b32_e64 v10, v10, v12, s1
	v_add_nc_u32_e32 v12, 1, v13
	v_and_b32_e32 v11, 0x60, v2
	v_cndmask_b32_e64 v18, v4, v7, s0
	v_cndmask_b32_e64 v15, v17, v15, s1
	s_waitcnt lgkmcnt(0)
	v_cmp_lt_u16_sdwa s2, v16, v14 src0_sel:BYTE_0 src1_sel:BYTE_0
	v_cndmask_b32_e64 v12, v13, v12, s1
	v_or_b32_e32 v7, 16, v11
	v_add_nc_u32_e32 v4, 32, v11
	v_cmp_ge_i32_e64 s0, v15, v6
	v_and_b32_e32 v6, 28, v2
	v_cmp_lt_i32_e64 s1, v12, v5
	v_cndmask_b32_e32 v9, v8, v9, vcc_lo
	v_sub_nc_u32_e32 v13, v4, v7
	s_or_b32 s0, s0, s2
	v_sub_nc_u32_e32 v8, v7, v11
	s_and_b32 vcc_lo, s1, s0
	s_mov_b32 s1, 0
	v_sub_nc_u32_e32 v5, v6, v13
	v_cndmask_b32_e32 v12, v14, v16, vcc_lo
	v_cmp_ge_i32_e32 vcc_lo, v6, v13
	v_min_i32_e32 v8, v6, v8
	s_mov_b32 s0, exec_lo
	; wave barrier
	v_cndmask_b32_e32 v5, 0, v5, vcc_lo
	ds_write_b8 v3, v9
	ds_write_b8 v3, v18 offset:1
	ds_write_b8 v3, v10 offset:2
	;; [unrolled: 1-line block ×3, first 2 shown]
	; wave barrier
	v_cmpx_lt_i32_e64 v5, v8
	s_cbranch_execz .LBB136_36
; %bb.33:
	v_add_nc_u32_e32 v9, v0, v11
	v_add3_u32 v10, v0, v7, v6
	.p2align	6
.LBB136_34:                             ; =>This Inner Loop Header: Depth=1
	v_sub_nc_u32_e32 v12, v8, v5
	v_lshrrev_b32_e32 v12, 1, v12
	v_add_nc_u32_e32 v12, v12, v5
	v_add_nc_u32_e32 v13, v9, v12
	v_xad_u32 v14, v12, -1, v10
	v_add_nc_u32_e32 v15, 1, v12
	ds_read_u8 v13, v13
	ds_read_u8 v14, v14
	s_waitcnt lgkmcnt(0)
	v_cmp_lt_u16_e32 vcc_lo, v14, v13
	v_cndmask_b32_e32 v8, v8, v12, vcc_lo
	v_cndmask_b32_e32 v5, v15, v5, vcc_lo
	v_cmp_ge_i32_e32 vcc_lo, v5, v8
	s_or_b32 s1, vcc_lo, s1
	s_andn2_b32 exec_lo, exec_lo, s1
	s_cbranch_execnz .LBB136_34
; %bb.35:
	s_or_b32 exec_lo, exec_lo, s1
.LBB136_36:
	s_or_b32 exec_lo, exec_lo, s0
	v_add_nc_u32_e32 v6, v7, v6
	v_add_nc_u32_e32 v10, v5, v11
	v_sub_nc_u32_e32 v11, v6, v5
	v_add_nc_u32_e32 v6, v0, v10
	v_cmp_le_i32_e32 vcc_lo, v7, v10
                                        ; implicit-def: $vgpr5
	v_add_nc_u32_e32 v12, v0, v11
	v_cmp_gt_i32_e64 s0, v4, v11
	ds_read_u8 v8, v6
	ds_read_u8 v9, v12
	s_waitcnt lgkmcnt(0)
	v_cmp_lt_u16_sdwa s1, v9, v8 src0_sel:BYTE_0 src1_sel:BYTE_0
	s_or_b32 s1, vcc_lo, s1
	s_and_b32 vcc_lo, s0, s1
	s_xor_b32 s0, vcc_lo, -1
	s_and_saveexec_b32 s1, s0
	s_xor_b32 s0, exec_lo, s1
; %bb.37:
	ds_read_u8 v5, v6 offset:1
                                        ; implicit-def: $vgpr12
; %bb.38:
	s_or_saveexec_b32 s0, s0
	v_mov_b32_e32 v6, v9
	s_xor_b32 exec_lo, exec_lo, s0
	s_cbranch_execz .LBB136_40
; %bb.39:
	ds_read_u8 v6, v12 offset:1
	s_waitcnt lgkmcnt(1)
	v_mov_b32_e32 v5, v8
.LBB136_40:
	s_or_b32 exec_lo, exec_lo, s0
	v_add_nc_u32_e32 v12, 1, v10
	v_add_nc_u32_e32 v14, 1, v11
	s_waitcnt lgkmcnt(0)
	v_cmp_lt_u16_sdwa s2, v6, v5 src0_sel:BYTE_0 src1_sel:BYTE_0
	v_cndmask_b32_e32 v13, v12, v10, vcc_lo
	v_cndmask_b32_e32 v11, v11, v14, vcc_lo
                                        ; implicit-def: $vgpr10
	v_cmp_ge_i32_e64 s0, v13, v7
	v_cmp_lt_i32_e64 s1, v11, v4
	s_or_b32 s0, s0, s2
	s_and_b32 s0, s1, s0
	s_xor_b32 s1, s0, -1
	s_and_saveexec_b32 s2, s1
	s_xor_b32 s1, exec_lo, s2
; %bb.41:
	v_add_nc_u32_e32 v10, v0, v13
	ds_read_u8 v10, v10 offset:1
; %bb.42:
	s_or_saveexec_b32 s1, s1
	v_mov_b32_e32 v12, v6
	s_xor_b32 exec_lo, exec_lo, s1
	s_cbranch_execz .LBB136_44
; %bb.43:
	s_waitcnt lgkmcnt(0)
	v_add_nc_u32_e32 v10, v0, v11
	ds_read_u8 v12, v10 offset:1
	v_mov_b32_e32 v10, v5
.LBB136_44:
	s_or_b32 exec_lo, exec_lo, s1
	v_add_nc_u32_e32 v14, 1, v13
	v_add_nc_u32_e32 v16, 1, v11
	s_waitcnt lgkmcnt(0)
	v_cmp_lt_u16_sdwa s4, v12, v10 src0_sel:BYTE_0 src1_sel:BYTE_0
	v_cndmask_b32_e64 v15, v14, v13, s0
	v_cndmask_b32_e64 v13, v11, v16, s0
                                        ; implicit-def: $vgpr14
	v_cmp_ge_i32_e64 s1, v15, v7
	v_cmp_lt_i32_e64 s2, v13, v4
	s_or_b32 s1, s1, s4
	s_and_b32 s1, s2, s1
	s_xor_b32 s2, s1, -1
	s_and_saveexec_b32 s4, s2
	s_xor_b32 s2, exec_lo, s4
; %bb.45:
	v_add_nc_u32_e32 v11, v0, v15
	ds_read_u8 v14, v11 offset:1
; %bb.46:
	s_or_saveexec_b32 s2, s2
	v_mov_b32_e32 v16, v12
	s_xor_b32 exec_lo, exec_lo, s2
	s_cbranch_execz .LBB136_48
; %bb.47:
	v_add_nc_u32_e32 v11, v0, v13
	s_waitcnt lgkmcnt(0)
	v_mov_b32_e32 v14, v10
	ds_read_u8 v16, v11 offset:1
.LBB136_48:
	s_or_b32 exec_lo, exec_lo, s2
	v_add_nc_u32_e32 v17, 1, v15
	v_cndmask_b32_e64 v10, v10, v12, s1
	v_add_nc_u32_e32 v12, 1, v13
	v_and_b32_e32 v11, 64, v2
	v_cndmask_b32_e64 v18, v5, v6, s0
	v_cndmask_b32_e64 v15, v17, v15, s1
	s_waitcnt lgkmcnt(0)
	v_cmp_lt_u16_sdwa s2, v16, v14 src0_sel:BYTE_0 src1_sel:BYTE_0
	v_cndmask_b32_e64 v12, v13, v12, s1
	v_or_b32_e32 v6, 32, v11
	v_add_nc_u32_e32 v5, 64, v11
	v_cmp_ge_i32_e64 s0, v15, v7
	v_and_b32_e32 v7, 60, v2
	v_cmp_lt_i32_e64 s1, v12, v4
	v_cndmask_b32_e32 v9, v8, v9, vcc_lo
	v_sub_nc_u32_e32 v13, v5, v6
	s_or_b32 s0, s0, s2
	v_sub_nc_u32_e32 v8, v6, v11
	s_and_b32 vcc_lo, s1, s0
	s_mov_b32 s1, 0
	v_sub_nc_u32_e32 v4, v7, v13
	v_cndmask_b32_e32 v12, v14, v16, vcc_lo
	v_cmp_ge_i32_e32 vcc_lo, v7, v13
	v_min_i32_e32 v8, v7, v8
	s_mov_b32 s0, exec_lo
	; wave barrier
	v_cndmask_b32_e32 v4, 0, v4, vcc_lo
	ds_write_b8 v3, v9
	ds_write_b8 v3, v18 offset:1
	ds_write_b8 v3, v10 offset:2
	;; [unrolled: 1-line block ×3, first 2 shown]
	; wave barrier
	v_cmpx_lt_i32_e64 v4, v8
	s_cbranch_execz .LBB136_52
; %bb.49:
	v_add_nc_u32_e32 v9, v0, v11
	v_add3_u32 v10, v0, v6, v7
	.p2align	6
.LBB136_50:                             ; =>This Inner Loop Header: Depth=1
	v_sub_nc_u32_e32 v12, v8, v4
	v_lshrrev_b32_e32 v12, 1, v12
	v_add_nc_u32_e32 v12, v12, v4
	v_add_nc_u32_e32 v13, v9, v12
	v_xad_u32 v14, v12, -1, v10
	v_add_nc_u32_e32 v15, 1, v12
	ds_read_u8 v13, v13
	ds_read_u8 v14, v14
	s_waitcnt lgkmcnt(0)
	v_cmp_lt_u16_e32 vcc_lo, v14, v13
	v_cndmask_b32_e32 v8, v8, v12, vcc_lo
	v_cndmask_b32_e32 v4, v15, v4, vcc_lo
	v_cmp_ge_i32_e32 vcc_lo, v4, v8
	s_or_b32 s1, vcc_lo, s1
	s_andn2_b32 exec_lo, exec_lo, s1
	s_cbranch_execnz .LBB136_50
; %bb.51:
	s_or_b32 exec_lo, exec_lo, s1
.LBB136_52:
	s_or_b32 exec_lo, exec_lo, s0
	v_add_nc_u32_e32 v7, v6, v7
	v_add_nc_u32_e32 v10, v4, v11
                                        ; implicit-def: $vgpr8
	v_sub_nc_u32_e32 v11, v7, v4
	v_add_nc_u32_e32 v9, v0, v10
	v_cmp_le_i32_e32 vcc_lo, v6, v10
	v_add_nc_u32_e32 v12, v0, v11
	v_cmp_gt_i32_e64 s0, v5, v11
	ds_read_u8 v4, v9
	ds_read_u8 v7, v12
	s_waitcnt lgkmcnt(0)
	v_cmp_lt_u16_sdwa s1, v7, v4 src0_sel:BYTE_0 src1_sel:BYTE_0
	s_or_b32 s1, vcc_lo, s1
	s_and_b32 vcc_lo, s0, s1
	s_xor_b32 s0, vcc_lo, -1
	s_and_saveexec_b32 s1, s0
	s_xor_b32 s0, exec_lo, s1
; %bb.53:
	ds_read_u8 v8, v9 offset:1
                                        ; implicit-def: $vgpr12
; %bb.54:
	s_or_saveexec_b32 s0, s0
	v_mov_b32_e32 v9, v7
	s_xor_b32 exec_lo, exec_lo, s0
	s_cbranch_execz .LBB136_56
; %bb.55:
	ds_read_u8 v9, v12 offset:1
	s_waitcnt lgkmcnt(1)
	v_mov_b32_e32 v8, v4
.LBB136_56:
	s_or_b32 exec_lo, exec_lo, s0
	v_add_nc_u32_e32 v12, 1, v10
	v_add_nc_u32_e32 v13, 1, v11
	s_waitcnt lgkmcnt(0)
	v_cmp_lt_u16_sdwa s2, v9, v8 src0_sel:BYTE_0 src1_sel:BYTE_0
	v_cndmask_b32_e32 v12, v12, v10, vcc_lo
	v_cndmask_b32_e32 v11, v11, v13, vcc_lo
                                        ; implicit-def: $vgpr10
	v_cmp_ge_i32_e64 s0, v12, v6
	v_cmp_lt_i32_e64 s1, v11, v5
	s_or_b32 s0, s0, s2
	s_and_b32 s0, s1, s0
	s_xor_b32 s1, s0, -1
	s_and_saveexec_b32 s2, s1
	s_xor_b32 s1, exec_lo, s2
; %bb.57:
	v_add_nc_u32_e32 v10, v0, v12
	ds_read_u8 v10, v10 offset:1
; %bb.58:
	s_or_saveexec_b32 s1, s1
	v_mov_b32_e32 v13, v9
	s_xor_b32 exec_lo, exec_lo, s1
	s_cbranch_execz .LBB136_60
; %bb.59:
	s_waitcnt lgkmcnt(0)
	v_add_nc_u32_e32 v10, v0, v11
	ds_read_u8 v13, v10 offset:1
	v_mov_b32_e32 v10, v8
.LBB136_60:
	s_or_b32 exec_lo, exec_lo, s1
	v_add_nc_u32_e32 v14, 1, v12
	v_add_nc_u32_e32 v16, 1, v11
	s_waitcnt lgkmcnt(0)
	v_cmp_lt_u16_sdwa s4, v13, v10 src0_sel:BYTE_0 src1_sel:BYTE_0
	v_cndmask_b32_e64 v15, v14, v12, s0
	v_cndmask_b32_e64 v11, v11, v16, s0
                                        ; implicit-def: $vgpr12
	v_cmp_ge_i32_e64 s1, v15, v6
	v_cmp_lt_i32_e64 s2, v11, v5
	s_or_b32 s1, s1, s4
	s_and_b32 s1, s2, s1
	s_xor_b32 s2, s1, -1
	s_and_saveexec_b32 s4, s2
	s_xor_b32 s2, exec_lo, s4
; %bb.61:
	v_add_nc_u32_e32 v12, v0, v15
	ds_read_u8 v12, v12 offset:1
; %bb.62:
	s_or_saveexec_b32 s2, s2
	v_mov_b32_e32 v14, v13
	s_xor_b32 exec_lo, exec_lo, s2
	s_cbranch_execz .LBB136_64
; %bb.63:
	s_waitcnt lgkmcnt(0)
	v_add_nc_u32_e32 v12, v0, v11
	ds_read_u8 v14, v12 offset:1
	v_mov_b32_e32 v12, v10
.LBB136_64:
	s_or_b32 exec_lo, exec_lo, s2
	v_add_nc_u32_e32 v16, 1, v15
	v_add_nc_u32_e32 v17, 1, v11
	v_cndmask_b32_e64 v10, v10, v13, s1
	v_cndmask_b32_e64 v8, v8, v9, s0
	v_and_b32_e32 v2, 0x7c, v2
	v_cndmask_b32_e64 v13, v16, v15, s1
	v_cndmask_b32_e64 v9, v11, v17, s1
	s_waitcnt lgkmcnt(0)
	v_cmp_lt_u16_sdwa s1, v14, v12 src0_sel:BYTE_0 src1_sel:BYTE_0
	; wave barrier
	v_cmp_ge_i32_e64 s0, v13, v6
	v_cndmask_b32_e32 v6, v4, v7, vcc_lo
	v_subrev_nc_u32_e32 v7, 64, v2
	v_cmp_lt_i32_e32 vcc_lo, v9, v5
	v_min_i32_e32 v4, 64, v2
	s_or_b32 s1, s0, s1
	v_cmp_lt_i32_e64 s0, 63, v2
	s_and_b32 vcc_lo, vcc_lo, s1
	v_cndmask_b32_e32 v5, v12, v14, vcc_lo
	v_cndmask_b32_e64 v7, 0, v7, s0
	s_mov_b32 s0, exec_lo
	ds_write_b8 v3, v6
	ds_write_b8 v3, v8 offset:1
	ds_write_b8 v3, v10 offset:2
	;; [unrolled: 1-line block ×3, first 2 shown]
	; wave barrier
	v_cmpx_lt_i32_e64 v7, v4
	s_cbranch_execz .LBB136_68
; %bb.65:
	v_add3_u32 v5, v0, 64, v2
	s_mov_b32 s1, 0
	.p2align	6
.LBB136_66:                             ; =>This Inner Loop Header: Depth=1
	v_sub_nc_u32_e32 v6, v4, v7
	v_lshrrev_b32_e32 v6, 1, v6
	v_add_nc_u32_e32 v6, v6, v7
	v_add_nc_u32_e32 v8, v0, v6
	v_xad_u32 v9, v6, -1, v5
	v_add_nc_u32_e32 v10, 1, v6
	ds_read_u8 v8, v8
	ds_read_u8 v9, v9
	s_waitcnt lgkmcnt(0)
	v_cmp_lt_u16_e32 vcc_lo, v9, v8
	v_cndmask_b32_e32 v4, v4, v6, vcc_lo
	v_cndmask_b32_e32 v7, v10, v7, vcc_lo
	v_cmp_ge_i32_e32 vcc_lo, v7, v4
	s_or_b32 s1, vcc_lo, s1
	s_andn2_b32 exec_lo, exec_lo, s1
	s_cbranch_execnz .LBB136_66
; %bb.67:
	s_or_b32 exec_lo, exec_lo, s1
.LBB136_68:
	s_or_b32 exec_lo, exec_lo, s0
	v_add_nc_u32_e32 v4, 64, v2
	v_add_nc_u32_e32 v8, v0, v7
	v_cmp_le_i32_e32 vcc_lo, 64, v7
                                        ; implicit-def: $vgpr6
	v_sub_nc_u32_e32 v9, v4, v7
	v_add_nc_u32_e32 v10, v0, v9
	v_cmp_gt_i32_e64 s0, 0x80, v9
	ds_read_u8 v4, v8
	ds_read_u8 v5, v10
	s_waitcnt lgkmcnt(0)
	v_cmp_lt_u16_sdwa s1, v5, v4 src0_sel:BYTE_0 src1_sel:BYTE_0
	s_or_b32 s1, vcc_lo, s1
	s_and_b32 vcc_lo, s0, s1
	s_xor_b32 s0, vcc_lo, -1
	s_and_saveexec_b32 s1, s0
	s_xor_b32 s0, exec_lo, s1
; %bb.69:
	ds_read_u8 v6, v8 offset:1
                                        ; implicit-def: $vgpr10
; %bb.70:
	s_or_saveexec_b32 s0, s0
	v_mov_b32_e32 v8, v5
	s_xor_b32 exec_lo, exec_lo, s0
	s_cbranch_execz .LBB136_72
; %bb.71:
	ds_read_u8 v8, v10 offset:1
	s_waitcnt lgkmcnt(1)
	v_mov_b32_e32 v6, v4
.LBB136_72:
	s_or_b32 exec_lo, exec_lo, s0
	v_add_nc_u32_e32 v10, 1, v7
	v_add_nc_u32_e32 v12, 1, v9
	s_waitcnt lgkmcnt(0)
	v_cmp_lt_u16_sdwa s2, v8, v6 src0_sel:BYTE_0 src1_sel:BYTE_0
	v_cndmask_b32_e32 v11, v10, v7, vcc_lo
	v_cndmask_b32_e32 v10, v9, v12, vcc_lo
                                        ; implicit-def: $vgpr7
	v_cmp_le_i32_e64 s0, 64, v11
	v_cmp_gt_i32_e64 s1, 0x80, v10
	s_or_b32 s0, s0, s2
	s_and_b32 s0, s1, s0
	s_xor_b32 s1, s0, -1
	s_and_saveexec_b32 s2, s1
	s_xor_b32 s1, exec_lo, s2
; %bb.73:
	v_add_nc_u32_e32 v7, v0, v11
	ds_read_u8 v7, v7 offset:1
; %bb.74:
	s_or_saveexec_b32 s1, s1
	v_mov_b32_e32 v9, v8
	s_xor_b32 exec_lo, exec_lo, s1
	s_cbranch_execz .LBB136_76
; %bb.75:
	s_waitcnt lgkmcnt(0)
	v_add_nc_u32_e32 v7, v0, v10
	ds_read_u8 v9, v7 offset:1
	v_mov_b32_e32 v7, v6
.LBB136_76:
	s_or_b32 exec_lo, exec_lo, s1
	v_add_nc_u32_e32 v12, 1, v11
	v_add_nc_u32_e32 v14, 1, v10
	s_waitcnt lgkmcnt(0)
	v_cmp_lt_u16_sdwa s4, v9, v7 src0_sel:BYTE_0 src1_sel:BYTE_0
	v_cndmask_b32_e64 v13, v12, v11, s0
	v_cndmask_b32_e64 v11, v10, v14, s0
                                        ; implicit-def: $vgpr10
	v_cmp_le_i32_e64 s1, 64, v13
	v_cmp_gt_i32_e64 s2, 0x80, v11
	s_or_b32 s1, s1, s4
	s_and_b32 s1, s2, s1
	s_xor_b32 s2, s1, -1
	s_and_saveexec_b32 s4, s2
	s_xor_b32 s2, exec_lo, s4
; %bb.77:
	v_add_nc_u32_e32 v10, v0, v13
	ds_read_u8 v10, v10 offset:1
; %bb.78:
	s_or_saveexec_b32 s2, s2
	v_mov_b32_e32 v12, v9
	s_xor_b32 exec_lo, exec_lo, s2
	s_cbranch_execz .LBB136_80
; %bb.79:
	s_waitcnt lgkmcnt(0)
	v_add_nc_u32_e32 v10, v0, v11
	ds_read_u8 v12, v10 offset:1
	v_mov_b32_e32 v10, v7
.LBB136_80:
	s_or_b32 exec_lo, exec_lo, s2
	v_add_nc_u32_e32 v14, 1, v13
	v_add_nc_u32_e32 v15, 1, v11
	v_cndmask_b32_e64 v7, v7, v9, s1
	v_cndmask_b32_e32 v4, v4, v5, vcc_lo
	v_cndmask_b32_e64 v8, v6, v8, s0
	v_cndmask_b32_e64 v9, v14, v13, s1
	;; [unrolled: 1-line block ×3, first 2 shown]
	s_waitcnt lgkmcnt(0)
	v_cmp_lt_u16_sdwa s1, v12, v10 src0_sel:BYTE_0 src1_sel:BYTE_0
	v_or_b32_e32 v6, 0xffffff80, v2
	v_cmp_le_i32_e32 vcc_lo, 64, v9
	v_cmp_gt_i32_e64 s0, 0x80, v5
	; wave barrier
	s_or_b32 s1, vcc_lo, s1
	v_cmp_lt_i32_e32 vcc_lo, 0x7f, v2
	v_cndmask_b32_e32 v6, 0, v6, vcc_lo
	s_and_b32 vcc_lo, s0, s1
	s_mov_b32 s0, exec_lo
	v_cndmask_b32_e32 v5, v10, v12, vcc_lo
	ds_write_b8 v3, v4
	ds_write_b8 v3, v8 offset:1
	ds_write_b8 v3, v7 offset:2
	;; [unrolled: 1-line block ×3, first 2 shown]
	; wave barrier
	v_cmpx_lt_i32_e64 v6, v2
	s_cbranch_execz .LBB136_84
; %bb.81:
	v_add3_u32 v3, 0x80, v0, v2
	v_mov_b32_e32 v4, v2
	s_mov_b32 s1, 0
	.p2align	6
.LBB136_82:                             ; =>This Inner Loop Header: Depth=1
	v_sub_nc_u32_e32 v5, v4, v6
	v_lshrrev_b32_e32 v5, 1, v5
	v_add_nc_u32_e32 v5, v5, v6
	v_add_nc_u32_e32 v7, v0, v5
	v_xad_u32 v8, v5, -1, v3
	v_add_nc_u32_e32 v9, 1, v5
	ds_read_u8 v7, v7
	ds_read_u8 v8, v8
	s_waitcnt lgkmcnt(0)
	v_cmp_lt_u16_e32 vcc_lo, v8, v7
	v_cndmask_b32_e32 v4, v4, v5, vcc_lo
	v_cndmask_b32_e32 v6, v9, v6, vcc_lo
	v_cmp_ge_i32_e32 vcc_lo, v6, v4
	s_or_b32 s1, vcc_lo, s1
	s_andn2_b32 exec_lo, exec_lo, s1
	s_cbranch_execnz .LBB136_82
; %bb.83:
	s_or_b32 exec_lo, exec_lo, s1
.LBB136_84:
	s_or_b32 exec_lo, exec_lo, s0
	v_add_nc_u32_e32 v2, 0x80, v2
	v_add_nc_u32_e32 v5, v0, v6
	v_cmp_le_i32_e32 vcc_lo, 0x80, v6
                                        ; implicit-def: $vgpr4
	v_sub_nc_u32_e32 v7, v2, v6
	v_add_nc_u32_e32 v8, v0, v7
	v_cmp_gt_i32_e64 s0, 0x100, v7
	ds_read_u8 v2, v5
	ds_read_u8 v3, v8
	s_waitcnt lgkmcnt(0)
	v_cmp_lt_u16_sdwa s1, v3, v2 src0_sel:BYTE_0 src1_sel:BYTE_0
	s_or_b32 s1, vcc_lo, s1
	s_and_b32 s0, s0, s1
	s_xor_b32 s1, s0, -1
	s_and_saveexec_b32 s2, s1
	s_xor_b32 s1, exec_lo, s2
; %bb.85:
	ds_read_u8 v4, v5 offset:1
                                        ; implicit-def: $vgpr8
; %bb.86:
	s_or_saveexec_b32 s1, s1
	v_mov_b32_e32 v5, v3
	s_xor_b32 exec_lo, exec_lo, s1
	s_cbranch_execz .LBB136_88
; %bb.87:
	ds_read_u8 v5, v8 offset:1
	s_waitcnt lgkmcnt(1)
	v_mov_b32_e32 v4, v2
.LBB136_88:
	s_or_b32 exec_lo, exec_lo, s1
	v_add_nc_u32_e32 v8, 1, v6
	v_add_nc_u32_e32 v10, 1, v7
	s_waitcnt lgkmcnt(0)
	v_cmp_lt_u16_sdwa s2, v5, v4 src0_sel:BYTE_0 src1_sel:BYTE_0
	v_cndmask_b32_e64 v9, v8, v6, s0
	v_cndmask_b32_e64 v8, v7, v10, s0
                                        ; implicit-def: $vgpr7
	v_cmp_le_i32_e32 vcc_lo, 0x80, v9
	v_cmp_gt_i32_e64 s1, 0x100, v8
	s_or_b32 s2, vcc_lo, s2
	s_and_b32 vcc_lo, s1, s2
	s_xor_b32 s1, vcc_lo, -1
	s_and_saveexec_b32 s2, s1
	s_xor_b32 s1, exec_lo, s2
; %bb.89:
	v_add_nc_u32_e32 v6, v0, v9
	ds_read_u8 v7, v6 offset:1
; %bb.90:
	s_or_saveexec_b32 s1, s1
	v_mov_b32_e32 v6, v5
	s_xor_b32 exec_lo, exec_lo, s1
	s_cbranch_execz .LBB136_92
; %bb.91:
	v_add_nc_u32_e32 v6, v0, v8
	s_waitcnt lgkmcnt(0)
	v_mov_b32_e32 v7, v4
	ds_read_u8 v6, v6 offset:1
.LBB136_92:
	s_or_b32 exec_lo, exec_lo, s1
	v_add_nc_u32_e32 v10, 1, v9
	v_add_nc_u32_e32 v11, 1, v8
	s_waitcnt lgkmcnt(0)
	v_cmp_ge_u16_sdwa s4, v6, v7 src0_sel:BYTE_0 src1_sel:BYTE_0
                                        ; implicit-def: $vgpr12
	v_cndmask_b32_e32 v10, v10, v9, vcc_lo
	v_cndmask_b32_e32 v8, v8, v11, vcc_lo
                                        ; implicit-def: $vgpr9
	v_cmp_gt_i32_e64 s1, 0x80, v10
	v_cmp_le_i32_e64 s2, 0x100, v8
	s_and_b32 s1, s1, s4
	s_or_b32 s1, s2, s1
	s_and_saveexec_b32 s2, s1
	s_xor_b32 s1, exec_lo, s2
; %bb.93:
	v_add_nc_u32_e32 v0, v0, v10
	v_add_nc_u32_e32 v12, 1, v10
                                        ; implicit-def: $vgpr10
	ds_read_u8 v9, v0 offset:1
                                        ; implicit-def: $vgpr0
; %bb.94:
	s_or_saveexec_b32 s1, s1
	v_mov_b32_e32 v11, v7
	s_xor_b32 exec_lo, exec_lo, s1
	s_cbranch_execz .LBB136_96
; %bb.95:
	v_add_nc_u32_e32 v0, v0, v8
	v_add_nc_u32_e32 v8, 1, v8
	v_mov_b32_e32 v11, v6
	v_mov_b32_e32 v12, v10
	s_waitcnt lgkmcnt(0)
	v_mov_b32_e32 v9, v7
	ds_read_u8 v0, v0 offset:1
	s_waitcnt lgkmcnt(0)
	v_mov_b32_e32 v6, v0
.LBB136_96:
	s_or_b32 exec_lo, exec_lo, s1
	v_cmp_le_i32_e64 s1, 0x80, v12
	s_waitcnt lgkmcnt(0)
	v_cmp_lt_u16_sdwa s4, v6, v9 src0_sel:BYTE_0 src1_sel:BYTE_0
	v_cmp_gt_i32_e64 s2, 0x100, v8
	v_cndmask_b32_sdwa v4, v4, v5, vcc_lo dst_sel:BYTE_1 dst_unused:UNUSED_PAD src0_sel:DWORD src1_sel:DWORD
	v_cndmask_b32_e64 v2, v2, v3, s0
	s_or_b32 s1, s1, s4
	s_and_b32 s1, s2, s1
	v_or_b32_sdwa v2, v2, v4 dst_sel:DWORD dst_unused:UNUSED_PAD src0_sel:BYTE_0 src1_sel:DWORD
	v_cndmask_b32_e64 v0, v9, v6, s1
	s_add_u32 s0, s10, s3
	s_addc_u32 s1, s11, 0
	v_lshlrev_b16 v0, 8, v0
	v_or_b32_sdwa v3, v11, v0 dst_sel:WORD_1 dst_unused:UNUSED_PAD src0_sel:BYTE_0 src1_sel:DWORD
	v_add_co_u32 v0, s0, s0, v1
	v_add_co_ci_u32_e64 v1, null, s1, 0, s0
	v_or_b32_sdwa v2, v2, v3 dst_sel:DWORD dst_unused:UNUSED_PAD src0_sel:WORD_0 src1_sel:DWORD
	global_store_dword v[0:1], v2, off
	s_endpgm
	.section	.rodata,"a",@progbits
	.p2align	6, 0x0
	.amdhsa_kernel _Z9sort_keysILj256ELj64ELj4EhN10test_utils4lessEEvPKT2_PS2_T3_
		.amdhsa_group_segment_fixed_size 1028
		.amdhsa_private_segment_fixed_size 0
		.amdhsa_kernarg_size 20
		.amdhsa_user_sgpr_count 6
		.amdhsa_user_sgpr_private_segment_buffer 1
		.amdhsa_user_sgpr_dispatch_ptr 0
		.amdhsa_user_sgpr_queue_ptr 0
		.amdhsa_user_sgpr_kernarg_segment_ptr 1
		.amdhsa_user_sgpr_dispatch_id 0
		.amdhsa_user_sgpr_flat_scratch_init 0
		.amdhsa_user_sgpr_private_segment_size 0
		.amdhsa_wavefront_size32 1
		.amdhsa_uses_dynamic_stack 0
		.amdhsa_system_sgpr_private_segment_wavefront_offset 0
		.amdhsa_system_sgpr_workgroup_id_x 1
		.amdhsa_system_sgpr_workgroup_id_y 0
		.amdhsa_system_sgpr_workgroup_id_z 0
		.amdhsa_system_sgpr_workgroup_info 0
		.amdhsa_system_vgpr_workitem_id 0
		.amdhsa_next_free_vgpr 19
		.amdhsa_next_free_sgpr 12
		.amdhsa_reserve_vcc 1
		.amdhsa_reserve_flat_scratch 0
		.amdhsa_float_round_mode_32 0
		.amdhsa_float_round_mode_16_64 0
		.amdhsa_float_denorm_mode_32 3
		.amdhsa_float_denorm_mode_16_64 3
		.amdhsa_dx10_clamp 1
		.amdhsa_ieee_mode 1
		.amdhsa_fp16_overflow 0
		.amdhsa_workgroup_processor_mode 1
		.amdhsa_memory_ordered 1
		.amdhsa_forward_progress 1
		.amdhsa_shared_vgpr_count 0
		.amdhsa_exception_fp_ieee_invalid_op 0
		.amdhsa_exception_fp_denorm_src 0
		.amdhsa_exception_fp_ieee_div_zero 0
		.amdhsa_exception_fp_ieee_overflow 0
		.amdhsa_exception_fp_ieee_underflow 0
		.amdhsa_exception_fp_ieee_inexact 0
		.amdhsa_exception_int_div_zero 0
	.end_amdhsa_kernel
	.section	.text._Z9sort_keysILj256ELj64ELj4EhN10test_utils4lessEEvPKT2_PS2_T3_,"axG",@progbits,_Z9sort_keysILj256ELj64ELj4EhN10test_utils4lessEEvPKT2_PS2_T3_,comdat
.Lfunc_end136:
	.size	_Z9sort_keysILj256ELj64ELj4EhN10test_utils4lessEEvPKT2_PS2_T3_, .Lfunc_end136-_Z9sort_keysILj256ELj64ELj4EhN10test_utils4lessEEvPKT2_PS2_T3_
                                        ; -- End function
	.set _Z9sort_keysILj256ELj64ELj4EhN10test_utils4lessEEvPKT2_PS2_T3_.num_vgpr, 19
	.set _Z9sort_keysILj256ELj64ELj4EhN10test_utils4lessEEvPKT2_PS2_T3_.num_agpr, 0
	.set _Z9sort_keysILj256ELj64ELj4EhN10test_utils4lessEEvPKT2_PS2_T3_.numbered_sgpr, 12
	.set _Z9sort_keysILj256ELj64ELj4EhN10test_utils4lessEEvPKT2_PS2_T3_.num_named_barrier, 0
	.set _Z9sort_keysILj256ELj64ELj4EhN10test_utils4lessEEvPKT2_PS2_T3_.private_seg_size, 0
	.set _Z9sort_keysILj256ELj64ELj4EhN10test_utils4lessEEvPKT2_PS2_T3_.uses_vcc, 1
	.set _Z9sort_keysILj256ELj64ELj4EhN10test_utils4lessEEvPKT2_PS2_T3_.uses_flat_scratch, 0
	.set _Z9sort_keysILj256ELj64ELj4EhN10test_utils4lessEEvPKT2_PS2_T3_.has_dyn_sized_stack, 0
	.set _Z9sort_keysILj256ELj64ELj4EhN10test_utils4lessEEvPKT2_PS2_T3_.has_recursion, 0
	.set _Z9sort_keysILj256ELj64ELj4EhN10test_utils4lessEEvPKT2_PS2_T3_.has_indirect_call, 0
	.section	.AMDGPU.csdata,"",@progbits
; Kernel info:
; codeLenInByte = 4400
; TotalNumSgprs: 14
; NumVgprs: 19
; ScratchSize: 0
; MemoryBound: 0
; FloatMode: 240
; IeeeMode: 1
; LDSByteSize: 1028 bytes/workgroup (compile time only)
; SGPRBlocks: 0
; VGPRBlocks: 2
; NumSGPRsForWavesPerEU: 14
; NumVGPRsForWavesPerEU: 19
; Occupancy: 16
; WaveLimiterHint : 0
; COMPUTE_PGM_RSRC2:SCRATCH_EN: 0
; COMPUTE_PGM_RSRC2:USER_SGPR: 6
; COMPUTE_PGM_RSRC2:TRAP_HANDLER: 0
; COMPUTE_PGM_RSRC2:TGID_X_EN: 1
; COMPUTE_PGM_RSRC2:TGID_Y_EN: 0
; COMPUTE_PGM_RSRC2:TGID_Z_EN: 0
; COMPUTE_PGM_RSRC2:TIDIG_COMP_CNT: 0
	.section	.text._Z10sort_pairsILj256ELj64ELj4EhN10test_utils4lessEEvPKT2_PS2_T3_,"axG",@progbits,_Z10sort_pairsILj256ELj64ELj4EhN10test_utils4lessEEvPKT2_PS2_T3_,comdat
	.protected	_Z10sort_pairsILj256ELj64ELj4EhN10test_utils4lessEEvPKT2_PS2_T3_ ; -- Begin function _Z10sort_pairsILj256ELj64ELj4EhN10test_utils4lessEEvPKT2_PS2_T3_
	.globl	_Z10sort_pairsILj256ELj64ELj4EhN10test_utils4lessEEvPKT2_PS2_T3_
	.p2align	8
	.type	_Z10sort_pairsILj256ELj64ELj4EhN10test_utils4lessEEvPKT2_PS2_T3_,@function
_Z10sort_pairsILj256ELj64ELj4EhN10test_utils4lessEEvPKT2_PS2_T3_: ; @_Z10sort_pairsILj256ELj64ELj4EhN10test_utils4lessEEvPKT2_PS2_T3_
; %bb.0:
	s_load_dwordx4 s[8:11], s[4:5], 0x0
	s_lshl_b32 s12, s6, 10
	v_lshlrev_b32_e32 v1, 2, v0
	v_mov_b32_e32 v8, 0xffffff00
	v_lshrrev_b32_e32 v0, 6, v0
	s_mov_b32 s6, 0
	s_mov_b32 s7, exec_lo
	s_waitcnt lgkmcnt(0)
	s_add_u32 s0, s8, s12
	s_addc_u32 s1, s9, 0
	global_load_dword v2, v1, s[0:1]
	; wave barrier
	s_waitcnt vmcnt(0)
	v_lshrrev_b32_e32 v5, 8, v2
	v_perm_b32 v3, v2, v2, 0x7060405
	v_cmp_lt_u16_sdwa vcc_lo, v5, v2 src0_sel:BYTE_0 src1_sel:BYTE_0
	v_cndmask_b32_e32 v3, v2, v3, vcc_lo
	v_lshrrev_b32_e32 v4, 16, v3
	v_lshrrev_b32_e32 v7, 24, v3
	v_perm_b32 v6, 0, v4, 0xc0c0001
	v_and_b32_e32 v4, 0xff, v4
	v_lshlrev_b32_e32 v6, 16, v6
	v_cmp_lt_u16_e64 s1, v7, v4
	v_min_u16 v9, v7, v4
	v_and_or_b32 v6, 0xffff, v3, v6
	v_lshlrev_b16 v4, 8, v9
	v_cndmask_b32_e64 v3, v3, v6, s1
	v_and_b32_sdwa v6, v3, v8 dst_sel:DWORD dst_unused:UNUSED_PAD src0_sel:WORD_1 src1_sel:DWORD
	v_lshrrev_b32_e32 v7, 8, v3
	v_or_b32_sdwa v4, v3, v4 dst_sel:DWORD dst_unused:UNUSED_PAD src0_sel:BYTE_0 src1_sel:DWORD
	v_or_b32_sdwa v6, v3, v6 dst_sel:WORD_1 dst_unused:UNUSED_PAD src0_sel:BYTE_1 src1_sel:DWORD
	v_and_b32_e32 v7, 0xff, v7
	v_or_b32_sdwa v4, v4, v6 dst_sel:DWORD dst_unused:UNUSED_PAD src0_sel:WORD_0 src1_sel:DWORD
	v_cmp_lt_u16_e64 s2, v9, v7
	v_cndmask_b32_e64 v3, v3, v4, s2
	v_min_u16 v4, v9, v7
	v_mbcnt_lo_u32_b32 v7, -1, 0
	v_lshlrev_b16 v6, 8, v3
	v_cmp_lt_u16_sdwa s4, v4, v3 src0_sel:DWORD src1_sel:BYTE_0
	v_or_b32_e32 v6, v4, v6
	v_and_b32_e32 v6, 0xffff, v6
	v_and_or_b32 v6, 0xffff0000, v3, v6
	v_cndmask_b32_e64 v4, v3, v6, s4
	v_lshrrev_b32_e32 v6, 16, v4
	v_lshrrev_b32_e32 v10, 24, v4
	v_perm_b32 v3, 0, v6, 0xc0c0001
	v_and_b32_e32 v6, 0xff, v6
	v_lshlrev_b32_e32 v9, 16, v3
	v_lshlrev_b32_e32 v3, 2, v7
	v_cmp_lt_u16_e64 s0, v10, v6
	v_min_u16 v11, v10, v6
	v_and_or_b32 v9, 0xffff, v4, v9
	v_and_b32_e32 v7, 0x78, v3
	v_mad_u32_u24 v15, 0x101, v0, v3
	v_mul_u32_u24_e32 v0, 0x101, v0
	v_cndmask_b32_e64 v12, v4, v9, s0
	v_or_b32_e32 v6, 4, v7
	v_add_nc_u32_e32 v4, 8, v7
	v_lshlrev_b16 v9, 8, v11
	v_and_b32_sdwa v10, v12, v8 dst_sel:DWORD dst_unused:UNUSED_PAD src0_sel:WORD_1 src1_sel:DWORD
	v_and_b32_e32 v8, 4, v3
	v_sub_nc_u32_e32 v13, v4, v6
	v_or_b32_sdwa v9, v12, v9 dst_sel:DWORD dst_unused:UNUSED_PAD src0_sel:BYTE_0 src1_sel:DWORD
	v_lshrrev_b32_e32 v17, 8, v12
	v_or_b32_sdwa v10, v12, v10 dst_sel:WORD_1 dst_unused:UNUSED_PAD src0_sel:BYTE_1 src1_sel:DWORD
	v_sub_nc_u32_e32 v14, v6, v7
	v_sub_nc_u32_e32 v16, v8, v13
	v_cmp_ge_i32_e64 s3, v8, v13
	v_or_b32_sdwa v18, v9, v10 dst_sel:DWORD dst_unused:UNUSED_PAD src0_sel:WORD_0 src1_sel:DWORD
	v_min_i32_e32 v10, v8, v14
	v_cndmask_b32_e64 v9, 0, v16, s3
	v_cmp_lt_u16_sdwa s3, v11, v17 src0_sel:DWORD src1_sel:BYTE_0
	v_cndmask_b32_e64 v11, v12, v18, s3
	ds_write_b32 v15, v11
	; wave barrier
	v_cmpx_lt_i32_e64 v9, v10
	s_cbranch_execz .LBB137_4
; %bb.1:
	v_add_nc_u32_e32 v11, v0, v7
	v_add3_u32 v12, v0, v6, v8
	.p2align	6
.LBB137_2:                              ; =>This Inner Loop Header: Depth=1
	v_sub_nc_u32_e32 v13, v10, v9
	v_lshrrev_b32_e32 v13, 1, v13
	v_add_nc_u32_e32 v13, v13, v9
	v_add_nc_u32_e32 v14, v11, v13
	v_xad_u32 v15, v13, -1, v12
	v_add_nc_u32_e32 v16, 1, v13
	ds_read_u8 v14, v14
	ds_read_u8 v15, v15
	s_waitcnt lgkmcnt(0)
	v_cmp_lt_u16_e64 s5, v15, v14
	v_cndmask_b32_e64 v10, v10, v13, s5
	v_cndmask_b32_e64 v9, v16, v9, s5
	v_cmp_ge_i32_e64 s5, v9, v10
	s_or_b32 s6, s5, s6
	s_andn2_b32 exec_lo, exec_lo, s6
	s_cbranch_execnz .LBB137_2
; %bb.3:
	s_or_b32 exec_lo, exec_lo, s6
.LBB137_4:
	s_or_b32 exec_lo, exec_lo, s7
	v_mov_b32_e32 v10, 24
	v_add_nc_u32_e32 v8, v6, v8
	v_lshrrev_b32_e32 v16, 16, v2
	v_lshrrev_b32_sdwa v12, v10, v2 dst_sel:BYTE_1 dst_unused:UNUSED_PAD src0_sel:DWORD src1_sel:DWORD
	v_add_nc_u32_e32 v10, v9, v7
	v_sub_nc_u32_e32 v11, v8, v9
                                        ; implicit-def: $vgpr9
	v_add_nc_u32_e32 v13, v0, v10
	v_add_nc_u32_e32 v14, v0, v11
	v_cmp_le_i32_e64 s5, v6, v10
	v_cmp_gt_i32_e64 s6, v4, v11
	ds_read_u8 v7, v13
	ds_read_u8 v8, v14
	s_waitcnt lgkmcnt(0)
	v_cmp_lt_u16_sdwa s7, v8, v7 src0_sel:BYTE_0 src1_sel:BYTE_0
	s_or_b32 s5, s5, s7
	s_and_b32 s5, s6, s5
	s_xor_b32 s6, s5, -1
	s_and_saveexec_b32 s7, s6
	s_xor_b32 s6, exec_lo, s7
; %bb.5:
	ds_read_u8 v9, v13 offset:1
                                        ; implicit-def: $vgpr14
; %bb.6:
	s_or_saveexec_b32 s6, s6
	v_mov_b32_e32 v13, v8
	s_xor_b32 exec_lo, exec_lo, s6
	s_cbranch_execz .LBB137_8
; %bb.7:
	ds_read_u8 v13, v14 offset:1
	s_waitcnt lgkmcnt(1)
	v_mov_b32_e32 v9, v7
.LBB137_8:
	s_or_b32 exec_lo, exec_lo, s6
	v_add_nc_u32_e32 v14, 1, v10
	v_add_nc_u32_e32 v15, 1, v11
	s_waitcnt lgkmcnt(0)
	v_cmp_lt_u16_sdwa s8, v13, v9 src0_sel:BYTE_0 src1_sel:BYTE_0
	v_cndmask_b32_e64 v18, v14, v10, s5
	v_cndmask_b32_e64 v19, v11, v15, s5
                                        ; implicit-def: $vgpr14
	v_cmp_ge_i32_e64 s6, v18, v6
	v_cmp_lt_i32_e64 s7, v19, v4
	s_or_b32 s6, s6, s8
	s_and_b32 s6, s7, s6
	s_xor_b32 s7, s6, -1
	s_and_saveexec_b32 s8, s7
	s_xor_b32 s7, exec_lo, s8
; %bb.9:
	v_add_nc_u32_e32 v14, v0, v18
	ds_read_u8 v14, v14 offset:1
; %bb.10:
	s_or_saveexec_b32 s7, s7
	v_mov_b32_e32 v15, v13
	s_xor_b32 exec_lo, exec_lo, s7
	s_cbranch_execz .LBB137_12
; %bb.11:
	s_waitcnt lgkmcnt(0)
	v_add_nc_u32_e32 v14, v0, v19
	ds_read_u8 v15, v14 offset:1
	v_mov_b32_e32 v14, v9
.LBB137_12:
	s_or_b32 exec_lo, exec_lo, s7
	v_add_nc_u32_e32 v17, 1, v18
	v_add_nc_u32_e32 v20, 1, v19
	s_waitcnt lgkmcnt(0)
	v_cmp_lt_u16_sdwa s9, v15, v14 src0_sel:BYTE_0 src1_sel:BYTE_0
	v_cndmask_b32_e64 v22, v17, v18, s6
	v_cndmask_b32_e64 v17, v19, v20, s6
                                        ; implicit-def: $vgpr20
	v_cmp_ge_i32_e64 s7, v22, v6
	v_cmp_lt_i32_e64 s8, v17, v4
	s_or_b32 s7, s7, s9
	s_and_b32 s7, s8, s7
	s_xor_b32 s8, s7, -1
	s_and_saveexec_b32 s9, s8
	s_xor_b32 s8, exec_lo, s9
; %bb.13:
	v_add_nc_u32_e32 v20, v0, v22
	ds_read_u8 v20, v20 offset:1
; %bb.14:
	s_or_saveexec_b32 s8, s8
	v_mov_b32_e32 v21, v15
	s_xor_b32 exec_lo, exec_lo, s8
	s_cbranch_execz .LBB137_16
; %bb.15:
	s_waitcnt lgkmcnt(0)
	v_add_nc_u32_e32 v20, v0, v17
	ds_read_u8 v21, v20 offset:1
	v_mov_b32_e32 v20, v14
.LBB137_16:
	s_or_b32 exec_lo, exec_lo, s8
	v_add_nc_u16 v5, v5, 1
	v_add_nc_u16 v2, v2, 1
	;; [unrolled: 1-line block ×3, first 2 shown]
	v_cndmask_b32_e64 v10, v10, v11, s5
	v_cndmask_b32_e64 v18, v18, v19, s6
	v_lshlrev_b16 v23, 8, v5
	v_lshlrev_b16 v24, 8, v2
	v_or_b32_sdwa v12, v12, v16 dst_sel:DWORD dst_unused:UNUSED_PAD src0_sel:DWORD src1_sel:BYTE_0
	v_add_nc_u32_e32 v10, v0, v10
	v_or_b32_sdwa v2, v2, v23 dst_sel:DWORD dst_unused:UNUSED_PAD src0_sel:BYTE_0 src1_sel:DWORD
	v_or_b32_sdwa v5, v5, v24 dst_sel:DWORD dst_unused:UNUSED_PAD src0_sel:BYTE_0 src1_sel:DWORD
	v_add_nc_u16 v12, 0x100, v12
	v_cndmask_b32_e64 v23, v22, v17, s7
	; wave barrier
	v_and_b32_e32 v2, 0xffff, v2
	v_and_b32_e32 v5, 0xffff, v5
	v_lshlrev_b32_e32 v16, 16, v12
	v_perm_b32 v12, 0, v12, 0xc0c0001
	v_cndmask_b32_e64 v14, v14, v15, s7
	v_cndmask_b32_e64 v9, v9, v13, s6
	v_cndmask_b32_e32 v2, v2, v5, vcc_lo
	v_lshlrev_b32_e32 v5, 16, v12
	v_add_nc_u32_e32 v12, 1, v17
	v_or_b32_e32 v2, v2, v16
	v_add_nc_u32_e32 v16, 1, v22
	v_cndmask_b32_e64 v12, v17, v12, s7
	v_and_b32_e32 v17, 12, v3
	v_and_or_b32 v5, 0xffff, v2, v5
	v_cndmask_b32_e64 v19, v16, v22, s7
	v_and_b32_e32 v16, 0x70, v3
	v_cndmask_b32_e64 v2, v2, v5, s1
	s_waitcnt lgkmcnt(0)
	v_cmp_lt_u16_sdwa s1, v21, v20 src0_sel:BYTE_0 src1_sel:BYTE_0
	v_cmp_ge_i32_e32 vcc_lo, v19, v6
	v_add_nc_u32_e32 v6, 16, v16
	v_perm_b32 v5, v2, v2, 0x7050604
	s_or_b32 s1, vcc_lo, s1
	v_cndmask_b32_e64 v2, v2, v5, s2
	v_perm_b32 v5, 0, v2, 0xc0c0001
	v_and_or_b32 v5, 0xffff0000, v2, v5
	v_cndmask_b32_e64 v5, v2, v5, s4
	v_lshrrev_b32_e32 v2, 16, v5
	v_perm_b32 v2, 0, v2, 0xc0c0001
	v_lshlrev_b32_e32 v11, 16, v2
	v_add_nc_u32_e32 v2, v0, v3
	v_and_or_b32 v11, 0xffff, v5, v11
	v_cndmask_b32_e64 v11, v5, v11, s0
	v_cmp_lt_i32_e64 s0, v12, v4
	v_or_b32_e32 v5, 8, v16
	v_perm_b32 v4, v11, v11, 0x7050604
	s_and_b32 vcc_lo, s0, s1
	v_sub_nc_u32_e32 v15, v5, v16
	v_cndmask_b32_e32 v12, v19, v12, vcc_lo
	v_cndmask_b32_e32 v20, v20, v21, vcc_lo
	v_cndmask_b32_e64 v4, v11, v4, s3
	v_add_nc_u32_e32 v11, v0, v18
	v_add_nc_u32_e32 v18, v0, v23
	;; [unrolled: 1-line block ×3, first 2 shown]
	v_sub_nc_u32_e32 v19, v6, v5
	ds_write_b32 v2, v4
	; wave barrier
	ds_read_u8 v12, v10
	ds_read_u8 v10, v11
	;; [unrolled: 1-line block ×4, first 2 shown]
	v_sub_nc_u32_e32 v13, v17, v19
	v_cmp_ge_i32_e32 vcc_lo, v17, v19
	v_cndmask_b32_e64 v18, v7, v8, s5
	v_min_i32_e32 v7, v17, v15
	s_mov_b32 s1, 0
	s_mov_b32 s0, exec_lo
	v_cndmask_b32_e32 v8, 0, v13, vcc_lo
	; wave barrier
	ds_write_b8 v2, v18
	ds_write_b8 v2, v9 offset:1
	ds_write_b8 v2, v14 offset:2
	;; [unrolled: 1-line block ×3, first 2 shown]
	; wave barrier
	v_cmpx_lt_i32_e64 v8, v7
	s_cbranch_execz .LBB137_20
; %bb.17:
	v_add_nc_u32_e32 v9, v0, v16
	v_add3_u32 v13, v0, v5, v17
	.p2align	6
.LBB137_18:                             ; =>This Inner Loop Header: Depth=1
	v_sub_nc_u32_e32 v14, v7, v8
	v_lshrrev_b32_e32 v14, 1, v14
	v_add_nc_u32_e32 v14, v14, v8
	v_add_nc_u32_e32 v15, v9, v14
	v_xad_u32 v18, v14, -1, v13
	v_add_nc_u32_e32 v19, 1, v14
	ds_read_u8 v15, v15
	ds_read_u8 v18, v18
	s_waitcnt lgkmcnt(0)
	v_cmp_lt_u16_e32 vcc_lo, v18, v15
	v_cndmask_b32_e32 v7, v7, v14, vcc_lo
	v_cndmask_b32_e32 v8, v19, v8, vcc_lo
	v_cmp_ge_i32_e32 vcc_lo, v8, v7
	s_or_b32 s1, vcc_lo, s1
	s_andn2_b32 exec_lo, exec_lo, s1
	s_cbranch_execnz .LBB137_18
; %bb.19:
	s_or_b32 exec_lo, exec_lo, s1
.LBB137_20:
	s_or_b32 exec_lo, exec_lo, s0
	v_add_nc_u32_e32 v9, v5, v17
	v_add_nc_u32_e32 v7, v8, v16
                                        ; implicit-def: $vgpr15
	v_sub_nc_u32_e32 v8, v9, v8
	v_add_nc_u32_e32 v16, v0, v7
	v_cmp_le_i32_e32 vcc_lo, v5, v7
	v_add_nc_u32_e32 v9, v0, v8
	v_cmp_gt_i32_e64 s0, v6, v8
	ds_read_u8 v13, v16
	ds_read_u8 v14, v9
	s_waitcnt lgkmcnt(0)
	v_cmp_lt_u16_sdwa s1, v14, v13 src0_sel:BYTE_0 src1_sel:BYTE_0
	s_or_b32 s1, vcc_lo, s1
	s_and_b32 vcc_lo, s0, s1
	s_xor_b32 s0, vcc_lo, -1
	s_and_saveexec_b32 s1, s0
	s_xor_b32 s0, exec_lo, s1
; %bb.21:
	ds_read_u8 v15, v16 offset:1
                                        ; implicit-def: $vgpr9
; %bb.22:
	s_or_saveexec_b32 s0, s0
	v_mov_b32_e32 v16, v14
	s_xor_b32 exec_lo, exec_lo, s0
	s_cbranch_execz .LBB137_24
; %bb.23:
	ds_read_u8 v16, v9 offset:1
	s_waitcnt lgkmcnt(1)
	v_mov_b32_e32 v15, v13
.LBB137_24:
	s_or_b32 exec_lo, exec_lo, s0
	v_add_nc_u32_e32 v9, 1, v7
	v_add_nc_u32_e32 v17, 1, v8
	s_waitcnt lgkmcnt(0)
	v_cmp_lt_u16_sdwa s2, v16, v15 src0_sel:BYTE_0 src1_sel:BYTE_0
	v_cndmask_b32_e32 v9, v9, v7, vcc_lo
	v_cndmask_b32_e32 v19, v8, v17, vcc_lo
                                        ; implicit-def: $vgpr17
	v_cmp_ge_i32_e64 s0, v9, v5
	v_cmp_lt_i32_e64 s1, v19, v6
	s_or_b32 s0, s0, s2
	s_and_b32 s0, s1, s0
	s_xor_b32 s1, s0, -1
	s_and_saveexec_b32 s2, s1
	s_xor_b32 s1, exec_lo, s2
; %bb.25:
	v_add_nc_u32_e32 v17, v0, v9
	ds_read_u8 v17, v17 offset:1
; %bb.26:
	s_or_saveexec_b32 s1, s1
	v_mov_b32_e32 v18, v16
	s_xor_b32 exec_lo, exec_lo, s1
	s_cbranch_execz .LBB137_28
; %bb.27:
	s_waitcnt lgkmcnt(0)
	v_add_nc_u32_e32 v17, v0, v19
	ds_read_u8 v18, v17 offset:1
	v_mov_b32_e32 v17, v15
.LBB137_28:
	s_or_b32 exec_lo, exec_lo, s1
	v_add_nc_u32_e32 v20, 1, v9
	v_add_nc_u32_e32 v21, 1, v19
	s_waitcnt lgkmcnt(0)
	v_cmp_lt_u16_sdwa s3, v18, v17 src0_sel:BYTE_0 src1_sel:BYTE_0
	v_cndmask_b32_e64 v23, v20, v9, s0
	v_cndmask_b32_e64 v22, v19, v21, s0
                                        ; implicit-def: $vgpr20
	v_cmp_ge_i32_e64 s1, v23, v5
	v_cmp_lt_i32_e64 s2, v22, v6
	s_or_b32 s1, s1, s3
	s_and_b32 s1, s2, s1
	s_xor_b32 s2, s1, -1
	s_and_saveexec_b32 s3, s2
	s_xor_b32 s2, exec_lo, s3
; %bb.29:
	v_add_nc_u32_e32 v20, v0, v23
	ds_read_u8 v20, v20 offset:1
; %bb.30:
	s_or_saveexec_b32 s2, s2
	v_mov_b32_e32 v21, v18
	s_xor_b32 exec_lo, exec_lo, s2
	s_cbranch_execz .LBB137_32
; %bb.31:
	s_waitcnt lgkmcnt(0)
	v_add_nc_u32_e32 v20, v0, v22
	ds_read_u8 v21, v20 offset:1
	v_mov_b32_e32 v20, v17
.LBB137_32:
	s_or_b32 exec_lo, exec_lo, s2
	v_add_nc_u32_e32 v24, 1, v23
	v_add_nc_u32_e32 v25, 1, v22
	v_cndmask_b32_e32 v7, v7, v8, vcc_lo
	v_cndmask_b32_e64 v9, v9, v19, s0
	s_waitcnt lgkmcnt(0)
	v_cmp_lt_u16_sdwa s4, v21, v20 src0_sel:BYTE_0 src1_sel:BYTE_0
	v_cndmask_b32_e64 v8, v24, v23, s1
	v_cndmask_b32_e64 v19, v22, v25, s1
	;; [unrolled: 1-line block ×3, first 2 shown]
	; wave barrier
	v_cmp_ge_i32_e64 s2, v8, v5
	v_cmp_lt_i32_e64 s3, v19, v6
	ds_write_b8 v2, v12
	ds_write_b8 v2, v10 offset:1
	ds_write_b8 v2, v11 offset:2
	ds_write_b8 v2, v4 offset:3
	s_or_b32 s2, s2, s4
	v_add_nc_u32_e32 v4, v0, v7
	s_and_b32 s2, s3, s2
	v_add_nc_u32_e32 v7, v0, v9
	v_cndmask_b32_e64 v8, v8, v19, s2
	v_and_b32_e32 v10, 0x60, v3
	v_add_nc_u32_e32 v12, v0, v26
	; wave barrier
	v_add_nc_u32_e32 v19, v0, v8
	v_or_b32_e32 v6, 16, v10
	ds_read_u8 v9, v4
	ds_read_u8 v7, v7
	ds_read_u8 v8, v12
	ds_read_u8 v4, v19
	v_add_nc_u32_e32 v5, 32, v10
	v_cndmask_b32_e64 v20, v20, v21, s2
	v_and_b32_e32 v11, 28, v3
	v_cndmask_b32_e64 v15, v15, v16, s0
	v_sub_nc_u32_e32 v16, v6, v10
	v_sub_nc_u32_e32 v21, v5, v6
	v_cndmask_b32_e32 v14, v13, v14, vcc_lo
	v_cndmask_b32_e64 v17, v17, v18, s1
	s_mov_b32 s1, 0
	v_min_i32_e32 v13, v11, v16
	v_sub_nc_u32_e32 v12, v11, v21
	v_cmp_ge_i32_e32 vcc_lo, v11, v21
	s_mov_b32 s0, exec_lo
	; wave barrier
	ds_write_b8 v2, v14
	ds_write_b8 v2, v15 offset:1
	ds_write_b8 v2, v17 offset:2
	;; [unrolled: 1-line block ×3, first 2 shown]
	v_cndmask_b32_e32 v12, 0, v12, vcc_lo
	; wave barrier
	v_cmpx_lt_i32_e64 v12, v13
	s_cbranch_execz .LBB137_36
; %bb.33:
	v_add_nc_u32_e32 v14, v0, v10
	v_add3_u32 v15, v0, v6, v11
	.p2align	6
.LBB137_34:                             ; =>This Inner Loop Header: Depth=1
	v_sub_nc_u32_e32 v16, v13, v12
	v_lshrrev_b32_e32 v16, 1, v16
	v_add_nc_u32_e32 v16, v16, v12
	v_add_nc_u32_e32 v17, v14, v16
	v_xad_u32 v18, v16, -1, v15
	v_add_nc_u32_e32 v19, 1, v16
	ds_read_u8 v17, v17
	ds_read_u8 v18, v18
	s_waitcnt lgkmcnt(0)
	v_cmp_lt_u16_e32 vcc_lo, v18, v17
	v_cndmask_b32_e32 v13, v13, v16, vcc_lo
	v_cndmask_b32_e32 v12, v19, v12, vcc_lo
	v_cmp_ge_i32_e32 vcc_lo, v12, v13
	s_or_b32 s1, vcc_lo, s1
	s_andn2_b32 exec_lo, exec_lo, s1
	s_cbranch_execnz .LBB137_34
; %bb.35:
	s_or_b32 exec_lo, exec_lo, s1
.LBB137_36:
	s_or_b32 exec_lo, exec_lo, s0
	v_add_nc_u32_e32 v11, v6, v11
	v_add_nc_u32_e32 v14, v12, v10
	v_sub_nc_u32_e32 v15, v11, v12
	v_add_nc_u32_e32 v13, v0, v14
	v_cmp_le_i32_e32 vcc_lo, v6, v14
                                        ; implicit-def: $vgpr12
	v_add_nc_u32_e32 v16, v0, v15
	v_cmp_gt_i32_e64 s0, v5, v15
	ds_read_u8 v10, v13
	ds_read_u8 v11, v16
	s_waitcnt lgkmcnt(0)
	v_cmp_lt_u16_sdwa s1, v11, v10 src0_sel:BYTE_0 src1_sel:BYTE_0
	s_or_b32 s1, vcc_lo, s1
	s_and_b32 vcc_lo, s0, s1
	s_xor_b32 s0, vcc_lo, -1
	s_and_saveexec_b32 s1, s0
	s_xor_b32 s0, exec_lo, s1
; %bb.37:
	ds_read_u8 v12, v13 offset:1
                                        ; implicit-def: $vgpr16
; %bb.38:
	s_or_saveexec_b32 s0, s0
	v_mov_b32_e32 v13, v11
	s_xor_b32 exec_lo, exec_lo, s0
	s_cbranch_execz .LBB137_40
; %bb.39:
	ds_read_u8 v13, v16 offset:1
	s_waitcnt lgkmcnt(1)
	v_mov_b32_e32 v12, v10
.LBB137_40:
	s_or_b32 exec_lo, exec_lo, s0
	v_add_nc_u32_e32 v16, 1, v14
	v_add_nc_u32_e32 v17, 1, v15
	s_waitcnt lgkmcnt(0)
	v_cmp_lt_u16_sdwa s2, v13, v12 src0_sel:BYTE_0 src1_sel:BYTE_0
	v_cndmask_b32_e32 v18, v16, v14, vcc_lo
	v_cndmask_b32_e32 v19, v15, v17, vcc_lo
                                        ; implicit-def: $vgpr16
	v_cmp_ge_i32_e64 s0, v18, v6
	v_cmp_lt_i32_e64 s1, v19, v5
	s_or_b32 s0, s0, s2
	s_and_b32 s0, s1, s0
	s_xor_b32 s1, s0, -1
	s_and_saveexec_b32 s2, s1
	s_xor_b32 s1, exec_lo, s2
; %bb.41:
	v_add_nc_u32_e32 v16, v0, v18
	ds_read_u8 v16, v16 offset:1
; %bb.42:
	s_or_saveexec_b32 s1, s1
	v_mov_b32_e32 v17, v13
	s_xor_b32 exec_lo, exec_lo, s1
	s_cbranch_execz .LBB137_44
; %bb.43:
	s_waitcnt lgkmcnt(0)
	v_add_nc_u32_e32 v16, v0, v19
	ds_read_u8 v17, v16 offset:1
	v_mov_b32_e32 v16, v12
.LBB137_44:
	s_or_b32 exec_lo, exec_lo, s1
	v_add_nc_u32_e32 v20, 1, v18
	v_add_nc_u32_e32 v21, 1, v19
	s_waitcnt lgkmcnt(0)
	v_cmp_lt_u16_sdwa s3, v17, v16 src0_sel:BYTE_0 src1_sel:BYTE_0
	v_cndmask_b32_e64 v23, v20, v18, s0
	v_cndmask_b32_e64 v22, v19, v21, s0
                                        ; implicit-def: $vgpr20
	v_cmp_ge_i32_e64 s1, v23, v6
	v_cmp_lt_i32_e64 s2, v22, v5
	s_or_b32 s1, s1, s3
	s_and_b32 s1, s2, s1
	s_xor_b32 s2, s1, -1
	s_and_saveexec_b32 s3, s2
	s_xor_b32 s2, exec_lo, s3
; %bb.45:
	v_add_nc_u32_e32 v20, v0, v23
	ds_read_u8 v20, v20 offset:1
; %bb.46:
	s_or_saveexec_b32 s2, s2
	v_mov_b32_e32 v21, v17
	s_xor_b32 exec_lo, exec_lo, s2
	s_cbranch_execz .LBB137_48
; %bb.47:
	s_waitcnt lgkmcnt(0)
	v_add_nc_u32_e32 v20, v0, v22
	ds_read_u8 v21, v20 offset:1
	v_mov_b32_e32 v20, v16
.LBB137_48:
	s_or_b32 exec_lo, exec_lo, s2
	v_add_nc_u32_e32 v24, 1, v23
	v_add_nc_u32_e32 v25, 1, v22
	v_cndmask_b32_e64 v18, v18, v19, s0
	v_cndmask_b32_e64 v26, v23, v22, s1
	s_waitcnt lgkmcnt(0)
	v_cmp_lt_u16_sdwa s4, v21, v20 src0_sel:BYTE_0 src1_sel:BYTE_0
	v_cndmask_b32_e64 v19, v24, v23, s1
	v_cndmask_b32_e64 v22, v22, v25, s1
	v_cndmask_b32_e32 v15, v14, v15, vcc_lo
	; wave barrier
	v_cmp_ge_i32_e64 s2, v19, v6
	v_cmp_lt_i32_e64 s3, v22, v5
	ds_write_b8 v2, v9
	ds_write_b8 v2, v7 offset:1
	ds_write_b8 v2, v8 offset:2
	v_add_nc_u32_e32 v7, v0, v15
	s_or_b32 s2, s2, s4
	v_add_nc_u32_e32 v8, v0, v18
	s_and_b32 s2, s3, s2
	v_and_b32_e32 v14, 64, v3
	v_cndmask_b32_e64 v6, v19, v22, s2
	v_add_nc_u32_e32 v18, v0, v26
	ds_write_b8 v2, v4 offset:3
	; wave barrier
	v_add_nc_u32_e32 v6, v0, v6
	v_or_b32_e32 v5, 32, v14
	ds_read_u8 v9, v7
	ds_read_u8 v7, v8
	;; [unrolled: 1-line block ×4, first 2 shown]
	v_add_nc_u32_e32 v4, 64, v14
	v_and_b32_e32 v15, 60, v3
	v_cndmask_b32_e64 v16, v16, v17, s1
	v_cndmask_b32_e64 v12, v12, v13, s0
	v_sub_nc_u32_e32 v17, v5, v14
	v_sub_nc_u32_e32 v19, v4, v5
	v_cndmask_b32_e32 v18, v10, v11, vcc_lo
	v_cndmask_b32_e64 v20, v20, v21, s2
	s_mov_b32 s1, 0
	v_min_i32_e32 v11, v15, v17
	v_sub_nc_u32_e32 v13, v15, v19
	v_cmp_ge_i32_e32 vcc_lo, v15, v19
	s_mov_b32 s0, exec_lo
	; wave barrier
	ds_write_b8 v2, v18
	ds_write_b8 v2, v12 offset:1
	ds_write_b8 v2, v16 offset:2
	;; [unrolled: 1-line block ×3, first 2 shown]
	v_cndmask_b32_e32 v10, 0, v13, vcc_lo
	; wave barrier
	v_cmpx_lt_i32_e64 v10, v11
	s_cbranch_execz .LBB137_52
; %bb.49:
	v_add_nc_u32_e32 v12, v0, v14
	v_add3_u32 v13, v0, v5, v15
	.p2align	6
.LBB137_50:                             ; =>This Inner Loop Header: Depth=1
	v_sub_nc_u32_e32 v16, v11, v10
	v_lshrrev_b32_e32 v16, 1, v16
	v_add_nc_u32_e32 v16, v16, v10
	v_add_nc_u32_e32 v17, v12, v16
	v_xad_u32 v18, v16, -1, v13
	v_add_nc_u32_e32 v19, 1, v16
	ds_read_u8 v17, v17
	ds_read_u8 v18, v18
	s_waitcnt lgkmcnt(0)
	v_cmp_lt_u16_e32 vcc_lo, v18, v17
	v_cndmask_b32_e32 v11, v11, v16, vcc_lo
	v_cndmask_b32_e32 v10, v19, v10, vcc_lo
	v_cmp_ge_i32_e32 vcc_lo, v10, v11
	s_or_b32 s1, vcc_lo, s1
	s_andn2_b32 exec_lo, exec_lo, s1
	s_cbranch_execnz .LBB137_50
; %bb.51:
	s_or_b32 exec_lo, exec_lo, s1
.LBB137_52:
	s_or_b32 exec_lo, exec_lo, s0
	v_add_nc_u32_e32 v11, v5, v15
	v_add_nc_u32_e32 v14, v10, v14
                                        ; implicit-def: $vgpr12
	v_sub_nc_u32_e32 v15, v11, v10
	v_add_nc_u32_e32 v13, v0, v14
	v_cmp_le_i32_e32 vcc_lo, v5, v14
	v_add_nc_u32_e32 v16, v0, v15
	v_cmp_gt_i32_e64 s0, v4, v15
	ds_read_u8 v10, v13
	ds_read_u8 v11, v16
	s_waitcnt lgkmcnt(0)
	v_cmp_lt_u16_sdwa s1, v11, v10 src0_sel:BYTE_0 src1_sel:BYTE_0
	s_or_b32 s1, vcc_lo, s1
	s_and_b32 vcc_lo, s0, s1
	s_xor_b32 s0, vcc_lo, -1
	s_and_saveexec_b32 s1, s0
	s_xor_b32 s0, exec_lo, s1
; %bb.53:
	ds_read_u8 v12, v13 offset:1
                                        ; implicit-def: $vgpr16
; %bb.54:
	s_or_saveexec_b32 s0, s0
	v_mov_b32_e32 v13, v11
	s_xor_b32 exec_lo, exec_lo, s0
	s_cbranch_execz .LBB137_56
; %bb.55:
	ds_read_u8 v13, v16 offset:1
	s_waitcnt lgkmcnt(1)
	v_mov_b32_e32 v12, v10
.LBB137_56:
	s_or_b32 exec_lo, exec_lo, s0
	v_add_nc_u32_e32 v16, 1, v14
	v_add_nc_u32_e32 v17, 1, v15
	s_waitcnt lgkmcnt(0)
	v_cmp_lt_u16_sdwa s2, v13, v12 src0_sel:BYTE_0 src1_sel:BYTE_0
	v_cndmask_b32_e32 v18, v16, v14, vcc_lo
	v_cndmask_b32_e32 v19, v15, v17, vcc_lo
                                        ; implicit-def: $vgpr16
	v_cmp_ge_i32_e64 s0, v18, v5
	v_cmp_lt_i32_e64 s1, v19, v4
	s_or_b32 s0, s0, s2
	s_and_b32 s0, s1, s0
	s_xor_b32 s1, s0, -1
	s_and_saveexec_b32 s2, s1
	s_xor_b32 s1, exec_lo, s2
; %bb.57:
	v_add_nc_u32_e32 v16, v0, v18
	ds_read_u8 v16, v16 offset:1
; %bb.58:
	s_or_saveexec_b32 s1, s1
	v_mov_b32_e32 v17, v13
	s_xor_b32 exec_lo, exec_lo, s1
	s_cbranch_execz .LBB137_60
; %bb.59:
	s_waitcnt lgkmcnt(0)
	v_add_nc_u32_e32 v16, v0, v19
	ds_read_u8 v17, v16 offset:1
	v_mov_b32_e32 v16, v12
.LBB137_60:
	s_or_b32 exec_lo, exec_lo, s1
	v_add_nc_u32_e32 v20, 1, v18
	v_add_nc_u32_e32 v21, 1, v19
	s_waitcnt lgkmcnt(0)
	v_cmp_lt_u16_sdwa s3, v17, v16 src0_sel:BYTE_0 src1_sel:BYTE_0
	v_cndmask_b32_e64 v22, v20, v18, s0
	v_cndmask_b32_e64 v21, v19, v21, s0
                                        ; implicit-def: $vgpr20
	v_cmp_ge_i32_e64 s1, v22, v5
	v_cmp_lt_i32_e64 s2, v21, v4
	s_or_b32 s1, s1, s3
	s_and_b32 s1, s2, s1
	s_xor_b32 s2, s1, -1
	s_and_saveexec_b32 s3, s2
	s_xor_b32 s2, exec_lo, s3
; %bb.61:
	v_add_nc_u32_e32 v20, v0, v22
	ds_read_u8 v20, v20 offset:1
; %bb.62:
	s_or_saveexec_b32 s2, s2
	v_mov_b32_e32 v23, v17
	s_xor_b32 exec_lo, exec_lo, s2
	s_cbranch_execz .LBB137_64
; %bb.63:
	s_waitcnt lgkmcnt(0)
	v_add_nc_u32_e32 v20, v0, v21
	ds_read_u8 v23, v20 offset:1
	v_mov_b32_e32 v20, v16
.LBB137_64:
	s_or_b32 exec_lo, exec_lo, s2
	v_add_nc_u32_e32 v24, 1, v22
	v_add_nc_u32_e32 v25, 1, v21
	v_cndmask_b32_e32 v14, v14, v15, vcc_lo
	v_cndmask_b32_e64 v18, v18, v19, s0
	s_waitcnt lgkmcnt(0)
	v_cmp_lt_u16_sdwa s4, v23, v20 src0_sel:BYTE_0 src1_sel:BYTE_0
	v_cndmask_b32_e64 v15, v24, v22, s1
	v_cndmask_b32_e64 v19, v21, v25, s1
	;; [unrolled: 1-line block ×3, first 2 shown]
	; wave barrier
	v_cmp_ge_i32_e64 s2, v15, v5
	v_cmp_lt_i32_e64 s3, v19, v4
	v_add_nc_u32_e32 v5, v0, v14
	ds_write_b8 v2, v9
	ds_write_b8 v2, v7 offset:1
	ds_write_b8 v2, v8 offset:2
	s_or_b32 s2, s2, s4
	v_add_nc_u32_e32 v7, v0, v18
	s_and_b32 s2, s3, s2
	v_add_nc_u32_e32 v8, v0, v26
	v_cndmask_b32_e64 v4, v15, v19, s2
	ds_write_b8 v2, v6 offset:3
	; wave barrier
	v_and_b32_e32 v3, 0x7c, v3
	v_add_nc_u32_e32 v4, v0, v4
	v_cndmask_b32_e32 v10, v10, v11, vcc_lo
	ds_read_u8 v6, v5
	ds_read_u8 v7, v7
	;; [unrolled: 1-line block ×4, first 2 shown]
	v_cndmask_b32_e64 v12, v12, v13, s0
	v_subrev_nc_u32_e32 v8, 64, v3
	v_cmp_lt_i32_e32 vcc_lo, 63, v3
	v_min_i32_e32 v9, 64, v3
	v_cndmask_b32_e64 v14, v16, v17, s1
	v_cndmask_b32_e64 v20, v20, v23, s2
	s_mov_b32 s0, exec_lo
	v_cndmask_b32_e32 v8, 0, v8, vcc_lo
	; wave barrier
	ds_write_b8 v2, v10
	ds_write_b8 v2, v12 offset:1
	ds_write_b8 v2, v14 offset:2
	;; [unrolled: 1-line block ×3, first 2 shown]
	; wave barrier
	v_cmpx_lt_i32_e64 v8, v9
	s_cbranch_execz .LBB137_68
; %bb.65:
	v_add3_u32 v10, v0, 64, v3
	s_mov_b32 s1, 0
	.p2align	6
.LBB137_66:                             ; =>This Inner Loop Header: Depth=1
	v_sub_nc_u32_e32 v11, v9, v8
	v_lshrrev_b32_e32 v11, 1, v11
	v_add_nc_u32_e32 v11, v11, v8
	v_add_nc_u32_e32 v12, v0, v11
	v_xad_u32 v13, v11, -1, v10
	v_add_nc_u32_e32 v14, 1, v11
	ds_read_u8 v12, v12
	ds_read_u8 v13, v13
	s_waitcnt lgkmcnt(0)
	v_cmp_lt_u16_e32 vcc_lo, v13, v12
	v_cndmask_b32_e32 v9, v9, v11, vcc_lo
	v_cndmask_b32_e32 v8, v14, v8, vcc_lo
	v_cmp_ge_i32_e32 vcc_lo, v8, v9
	s_or_b32 s1, vcc_lo, s1
	s_andn2_b32 exec_lo, exec_lo, s1
	s_cbranch_execnz .LBB137_66
; %bb.67:
	s_or_b32 exec_lo, exec_lo, s1
.LBB137_68:
	s_or_b32 exec_lo, exec_lo, s0
	v_add_nc_u32_e32 v9, 64, v3
	v_add_nc_u32_e32 v12, v0, v8
	v_cmp_le_i32_e32 vcc_lo, 64, v8
                                        ; implicit-def: $vgpr11
	v_sub_nc_u32_e32 v13, v9, v8
	v_add_nc_u32_e32 v14, v0, v13
	v_cmp_gt_i32_e64 s0, 0x80, v13
	ds_read_u8 v9, v12
	ds_read_u8 v10, v14
	s_waitcnt lgkmcnt(0)
	v_cmp_lt_u16_sdwa s1, v10, v9 src0_sel:BYTE_0 src1_sel:BYTE_0
	s_or_b32 s1, vcc_lo, s1
	s_and_b32 vcc_lo, s0, s1
	s_xor_b32 s0, vcc_lo, -1
	s_and_saveexec_b32 s1, s0
	s_xor_b32 s0, exec_lo, s1
; %bb.69:
	ds_read_u8 v11, v12 offset:1
                                        ; implicit-def: $vgpr14
; %bb.70:
	s_or_saveexec_b32 s0, s0
	v_mov_b32_e32 v12, v10
	s_xor_b32 exec_lo, exec_lo, s0
	s_cbranch_execz .LBB137_72
; %bb.71:
	ds_read_u8 v12, v14 offset:1
	s_waitcnt lgkmcnt(1)
	v_mov_b32_e32 v11, v9
.LBB137_72:
	s_or_b32 exec_lo, exec_lo, s0
	v_add_nc_u32_e32 v14, 1, v8
	v_add_nc_u32_e32 v15, 1, v13
	s_waitcnt lgkmcnt(0)
	v_cmp_lt_u16_sdwa s2, v12, v11 src0_sel:BYTE_0 src1_sel:BYTE_0
	v_cndmask_b32_e32 v16, v14, v8, vcc_lo
	v_cndmask_b32_e32 v17, v13, v15, vcc_lo
                                        ; implicit-def: $vgpr14
	v_cmp_le_i32_e64 s0, 64, v16
	v_cmp_gt_i32_e64 s1, 0x80, v17
	s_or_b32 s0, s0, s2
	s_and_b32 s0, s1, s0
	s_xor_b32 s1, s0, -1
	s_and_saveexec_b32 s2, s1
	s_xor_b32 s1, exec_lo, s2
; %bb.73:
	v_add_nc_u32_e32 v14, v0, v16
	ds_read_u8 v14, v14 offset:1
; %bb.74:
	s_or_saveexec_b32 s1, s1
	v_mov_b32_e32 v15, v12
	s_xor_b32 exec_lo, exec_lo, s1
	s_cbranch_execz .LBB137_76
; %bb.75:
	s_waitcnt lgkmcnt(0)
	v_add_nc_u32_e32 v14, v0, v17
	ds_read_u8 v15, v14 offset:1
	v_mov_b32_e32 v14, v11
.LBB137_76:
	s_or_b32 exec_lo, exec_lo, s1
	v_add_nc_u32_e32 v18, 1, v16
	v_add_nc_u32_e32 v19, 1, v17
	s_waitcnt lgkmcnt(0)
	v_cmp_lt_u16_sdwa s3, v15, v14 src0_sel:BYTE_0 src1_sel:BYTE_0
	v_cndmask_b32_e64 v20, v18, v16, s0
	v_cndmask_b32_e64 v19, v17, v19, s0
                                        ; implicit-def: $vgpr18
	v_cmp_le_i32_e64 s1, 64, v20
	v_cmp_gt_i32_e64 s2, 0x80, v19
	s_or_b32 s1, s1, s3
	s_and_b32 s1, s2, s1
	s_xor_b32 s2, s1, -1
	s_and_saveexec_b32 s3, s2
	s_xor_b32 s2, exec_lo, s3
; %bb.77:
	v_add_nc_u32_e32 v18, v0, v20
	ds_read_u8 v18, v18 offset:1
; %bb.78:
	s_or_saveexec_b32 s2, s2
	v_mov_b32_e32 v21, v15
	s_xor_b32 exec_lo, exec_lo, s2
	s_cbranch_execz .LBB137_80
; %bb.79:
	s_waitcnt lgkmcnt(0)
	v_add_nc_u32_e32 v18, v0, v19
	ds_read_u8 v21, v18 offset:1
	v_mov_b32_e32 v18, v14
.LBB137_80:
	s_or_b32 exec_lo, exec_lo, s2
	v_add_nc_u32_e32 v22, 1, v20
	v_add_nc_u32_e32 v23, 1, v19
	v_cndmask_b32_e64 v16, v16, v17, s0
	v_cndmask_b32_e32 v8, v8, v13, vcc_lo
	s_waitcnt lgkmcnt(0)
	v_cmp_lt_u16_sdwa s4, v21, v18 src0_sel:BYTE_0 src1_sel:BYTE_0
	v_cndmask_b32_e64 v17, v22, v20, s1
	v_cndmask_b32_e64 v13, v19, v23, s1
	;; [unrolled: 1-line block ×3, first 2 shown]
	; wave barrier
	v_cmp_le_i32_e64 s2, 64, v17
	v_cmp_gt_i32_e64 s3, 0x80, v13
	ds_write_b8 v2, v6
	ds_write_b8 v2, v7 offset:1
	ds_write_b8 v2, v5 offset:2
	;; [unrolled: 1-line block ×3, first 2 shown]
	s_or_b32 s2, s2, s4
	v_add_nc_u32_e32 v4, v0, v8
	s_and_b32 s2, s3, s2
	v_add_nc_u32_e32 v6, v0, v16
	v_cndmask_b32_e64 v5, v17, v13, s2
	v_add_nc_u32_e32 v7, v0, v24
	; wave barrier
	v_cndmask_b32_e32 v9, v9, v10, vcc_lo
	v_add_nc_u32_e32 v8, v0, v5
	v_cmp_lt_i32_e32 vcc_lo, 0x7f, v3
	ds_read_u8 v4, v4
	ds_read_u8 v5, v6
	;; [unrolled: 1-line block ×4, first 2 shown]
	v_or_b32_e32 v8, 0xffffff80, v3
	v_cndmask_b32_e64 v11, v11, v12, s0
	v_cndmask_b32_e64 v13, v14, v15, s1
	;; [unrolled: 1-line block ×3, first 2 shown]
	s_mov_b32 s0, exec_lo
	v_cndmask_b32_e32 v8, 0, v8, vcc_lo
	; wave barrier
	ds_write_b8 v2, v9
	ds_write_b8 v2, v11 offset:1
	ds_write_b8 v2, v13 offset:2
	;; [unrolled: 1-line block ×3, first 2 shown]
	; wave barrier
	v_cmpx_lt_i32_e64 v8, v3
	s_cbranch_execz .LBB137_84
; %bb.81:
	v_add3_u32 v9, 0x80, v0, v3
	v_mov_b32_e32 v10, v3
	s_mov_b32 s1, 0
	.p2align	6
.LBB137_82:                             ; =>This Inner Loop Header: Depth=1
	v_sub_nc_u32_e32 v11, v10, v8
	v_lshrrev_b32_e32 v11, 1, v11
	v_add_nc_u32_e32 v11, v11, v8
	v_add_nc_u32_e32 v12, v0, v11
	v_xad_u32 v13, v11, -1, v9
	v_add_nc_u32_e32 v14, 1, v11
	ds_read_u8 v12, v12
	ds_read_u8 v13, v13
	s_waitcnt lgkmcnt(0)
	v_cmp_lt_u16_e32 vcc_lo, v13, v12
	v_cndmask_b32_e32 v10, v10, v11, vcc_lo
	v_cndmask_b32_e32 v8, v14, v8, vcc_lo
	v_cmp_ge_i32_e32 vcc_lo, v8, v10
	s_or_b32 s1, vcc_lo, s1
	s_andn2_b32 exec_lo, exec_lo, s1
	s_cbranch_execnz .LBB137_82
; %bb.83:
	s_or_b32 exec_lo, exec_lo, s1
.LBB137_84:
	s_or_b32 exec_lo, exec_lo, s0
	v_add_nc_u32_e32 v3, 0x80, v3
	v_add_nc_u32_e32 v12, v0, v8
	v_cmp_le_i32_e32 vcc_lo, 0x80, v8
                                        ; implicit-def: $vgpr10
	v_sub_nc_u32_e32 v11, v3, v8
	v_add_nc_u32_e32 v13, v0, v11
	v_cmp_gt_i32_e64 s0, 0x100, v11
	ds_read_u8 v3, v12
	ds_read_u8 v9, v13
	s_waitcnt lgkmcnt(0)
	v_cmp_lt_u16_sdwa s1, v9, v3 src0_sel:BYTE_0 src1_sel:BYTE_0
	s_or_b32 s1, vcc_lo, s1
	s_and_b32 vcc_lo, s0, s1
	s_xor_b32 s0, vcc_lo, -1
	s_and_saveexec_b32 s1, s0
	s_xor_b32 s0, exec_lo, s1
; %bb.85:
	ds_read_u8 v10, v12 offset:1
                                        ; implicit-def: $vgpr13
; %bb.86:
	s_or_saveexec_b32 s0, s0
	v_mov_b32_e32 v12, v9
	s_xor_b32 exec_lo, exec_lo, s0
	s_cbranch_execz .LBB137_88
; %bb.87:
	ds_read_u8 v12, v13 offset:1
	s_waitcnt lgkmcnt(1)
	v_mov_b32_e32 v10, v3
.LBB137_88:
	s_or_b32 exec_lo, exec_lo, s0
	v_add_nc_u32_e32 v13, 1, v8
	v_add_nc_u32_e32 v14, 1, v11
	s_waitcnt lgkmcnt(0)
	v_cmp_lt_u16_sdwa s2, v12, v10 src0_sel:BYTE_0 src1_sel:BYTE_0
                                        ; implicit-def: $vgpr16
	v_cndmask_b32_e32 v13, v13, v8, vcc_lo
	v_cndmask_b32_e32 v14, v11, v14, vcc_lo
	v_cmp_le_i32_e64 s0, 0x80, v13
	v_cmp_gt_i32_e64 s1, 0x100, v14
	s_or_b32 s0, s0, s2
	s_and_b32 s0, s1, s0
	s_xor_b32 s1, s0, -1
	s_and_saveexec_b32 s2, s1
	s_xor_b32 s1, exec_lo, s2
; %bb.89:
	v_add_nc_u32_e32 v15, v0, v13
	ds_read_u8 v16, v15 offset:1
; %bb.90:
	s_or_saveexec_b32 s1, s1
	v_mov_b32_e32 v15, v12
	s_xor_b32 exec_lo, exec_lo, s1
	s_cbranch_execz .LBB137_92
; %bb.91:
	v_add_nc_u32_e32 v15, v0, v14
	s_waitcnt lgkmcnt(0)
	v_mov_b32_e32 v16, v10
	ds_read_u8 v15, v15 offset:1
.LBB137_92:
	s_or_b32 exec_lo, exec_lo, s1
	v_add_nc_u32_e32 v17, 1, v13
	v_add_nc_u32_e32 v18, 1, v14
	s_waitcnt lgkmcnt(0)
	v_cmp_ge_u16_sdwa s3, v15, v16 src0_sel:BYTE_0 src1_sel:BYTE_0
                                        ; implicit-def: $vgpr21
                                        ; implicit-def: $vgpr20
	v_cndmask_b32_e64 v22, v17, v13, s0
	v_cndmask_b32_e64 v18, v14, v18, s0
	v_cmp_gt_i32_e64 s1, 0x80, v22
	v_cmp_le_i32_e64 s2, 0x100, v18
	s_and_b32 s1, s1, s3
	s_or_b32 s1, s2, s1
	s_and_saveexec_b32 s2, s1
	s_xor_b32 s1, exec_lo, s2
; %bb.93:
	v_add_nc_u32_e32 v17, v0, v22
	v_add_nc_u32_e32 v20, 1, v22
	ds_read_u8 v21, v17 offset:1
; %bb.94:
	s_or_saveexec_b32 s1, s1
	v_mov_b32_e32 v17, v16
	v_mov_b32_e32 v19, v22
	s_xor_b32 exec_lo, exec_lo, s1
	s_cbranch_execz .LBB137_96
; %bb.95:
	v_add_nc_u32_e32 v17, v0, v18
	s_waitcnt lgkmcnt(0)
	v_add_nc_u32_e32 v21, 1, v18
	v_mov_b32_e32 v19, v18
	v_mov_b32_e32 v20, v22
	ds_read_u8 v23, v17 offset:1
	v_mov_b32_e32 v17, v15
	v_mov_b32_e32 v18, v21
	;; [unrolled: 1-line block ×3, first 2 shown]
	s_waitcnt lgkmcnt(0)
	v_mov_b32_e32 v15, v23
.LBB137_96:
	s_or_b32 exec_lo, exec_lo, s1
	v_cmp_le_i32_e64 s1, 0x80, v20
	s_waitcnt lgkmcnt(0)
	v_cmp_lt_u16_sdwa s3, v15, v21 src0_sel:BYTE_0 src1_sel:BYTE_0
	v_cmp_gt_i32_e64 s2, 0x100, v18
	v_cndmask_b32_e64 v13, v13, v14, s0
	v_cndmask_b32_e32 v8, v8, v11, vcc_lo
	s_or_b32 s1, s1, s3
	; wave barrier
	s_and_b32 s1, s2, s1
	ds_write_b8 v2, v4
	ds_write_b8 v2, v5 offset:1
	ds_write_b8 v2, v6 offset:2
	;; [unrolled: 1-line block ×3, first 2 shown]
	v_cndmask_b32_e64 v14, v20, v18, s1
	v_add_nc_u32_e32 v2, v0, v13
	v_add_nc_u32_e32 v5, v0, v8
	; wave barrier
	v_add_nc_u32_e32 v4, v0, v14
	v_add_nc_u32_e32 v0, v0, v19
	v_cndmask_b32_e64 v11, v21, v15, s1
	ds_read_u8 v2, v2
	ds_read_u8 v4, v4
	;; [unrolled: 1-line block ×4, first 2 shown]
	v_cndmask_b32_e64 v6, v10, v12, s0
	v_cndmask_b32_e32 v3, v3, v9, vcc_lo
	s_add_u32 s0, s10, s12
	s_addc_u32 s1, s11, 0
	s_waitcnt lgkmcnt(3)
	v_add_nc_u16 v2, v2, v6
	s_waitcnt lgkmcnt(2)
	v_add_nc_u16 v4, v4, v11
	;; [unrolled: 2-line block ×4, first 2 shown]
	v_lshlrev_b16 v2, 8, v2
	v_lshlrev_b16 v4, 8, v4
	v_or_b32_sdwa v2, v3, v2 dst_sel:DWORD dst_unused:UNUSED_PAD src0_sel:BYTE_0 src1_sel:DWORD
	v_or_b32_sdwa v3, v0, v4 dst_sel:WORD_1 dst_unused:UNUSED_PAD src0_sel:BYTE_0 src1_sel:DWORD
	v_add_co_u32 v0, s0, s0, v1
	v_add_co_ci_u32_e64 v1, null, s1, 0, s0
	v_or_b32_sdwa v2, v2, v3 dst_sel:DWORD dst_unused:UNUSED_PAD src0_sel:WORD_0 src1_sel:DWORD
	global_store_dword v[0:1], v2, off
	s_endpgm
	.section	.rodata,"a",@progbits
	.p2align	6, 0x0
	.amdhsa_kernel _Z10sort_pairsILj256ELj64ELj4EhN10test_utils4lessEEvPKT2_PS2_T3_
		.amdhsa_group_segment_fixed_size 1028
		.amdhsa_private_segment_fixed_size 0
		.amdhsa_kernarg_size 20
		.amdhsa_user_sgpr_count 6
		.amdhsa_user_sgpr_private_segment_buffer 1
		.amdhsa_user_sgpr_dispatch_ptr 0
		.amdhsa_user_sgpr_queue_ptr 0
		.amdhsa_user_sgpr_kernarg_segment_ptr 1
		.amdhsa_user_sgpr_dispatch_id 0
		.amdhsa_user_sgpr_flat_scratch_init 0
		.amdhsa_user_sgpr_private_segment_size 0
		.amdhsa_wavefront_size32 1
		.amdhsa_uses_dynamic_stack 0
		.amdhsa_system_sgpr_private_segment_wavefront_offset 0
		.amdhsa_system_sgpr_workgroup_id_x 1
		.amdhsa_system_sgpr_workgroup_id_y 0
		.amdhsa_system_sgpr_workgroup_id_z 0
		.amdhsa_system_sgpr_workgroup_info 0
		.amdhsa_system_vgpr_workitem_id 0
		.amdhsa_next_free_vgpr 27
		.amdhsa_next_free_sgpr 13
		.amdhsa_reserve_vcc 1
		.amdhsa_reserve_flat_scratch 0
		.amdhsa_float_round_mode_32 0
		.amdhsa_float_round_mode_16_64 0
		.amdhsa_float_denorm_mode_32 3
		.amdhsa_float_denorm_mode_16_64 3
		.amdhsa_dx10_clamp 1
		.amdhsa_ieee_mode 1
		.amdhsa_fp16_overflow 0
		.amdhsa_workgroup_processor_mode 1
		.amdhsa_memory_ordered 1
		.amdhsa_forward_progress 1
		.amdhsa_shared_vgpr_count 0
		.amdhsa_exception_fp_ieee_invalid_op 0
		.amdhsa_exception_fp_denorm_src 0
		.amdhsa_exception_fp_ieee_div_zero 0
		.amdhsa_exception_fp_ieee_overflow 0
		.amdhsa_exception_fp_ieee_underflow 0
		.amdhsa_exception_fp_ieee_inexact 0
		.amdhsa_exception_int_div_zero 0
	.end_amdhsa_kernel
	.section	.text._Z10sort_pairsILj256ELj64ELj4EhN10test_utils4lessEEvPKT2_PS2_T3_,"axG",@progbits,_Z10sort_pairsILj256ELj64ELj4EhN10test_utils4lessEEvPKT2_PS2_T3_,comdat
.Lfunc_end137:
	.size	_Z10sort_pairsILj256ELj64ELj4EhN10test_utils4lessEEvPKT2_PS2_T3_, .Lfunc_end137-_Z10sort_pairsILj256ELj64ELj4EhN10test_utils4lessEEvPKT2_PS2_T3_
                                        ; -- End function
	.set _Z10sort_pairsILj256ELj64ELj4EhN10test_utils4lessEEvPKT2_PS2_T3_.num_vgpr, 27
	.set _Z10sort_pairsILj256ELj64ELj4EhN10test_utils4lessEEvPKT2_PS2_T3_.num_agpr, 0
	.set _Z10sort_pairsILj256ELj64ELj4EhN10test_utils4lessEEvPKT2_PS2_T3_.numbered_sgpr, 13
	.set _Z10sort_pairsILj256ELj64ELj4EhN10test_utils4lessEEvPKT2_PS2_T3_.num_named_barrier, 0
	.set _Z10sort_pairsILj256ELj64ELj4EhN10test_utils4lessEEvPKT2_PS2_T3_.private_seg_size, 0
	.set _Z10sort_pairsILj256ELj64ELj4EhN10test_utils4lessEEvPKT2_PS2_T3_.uses_vcc, 1
	.set _Z10sort_pairsILj256ELj64ELj4EhN10test_utils4lessEEvPKT2_PS2_T3_.uses_flat_scratch, 0
	.set _Z10sort_pairsILj256ELj64ELj4EhN10test_utils4lessEEvPKT2_PS2_T3_.has_dyn_sized_stack, 0
	.set _Z10sort_pairsILj256ELj64ELj4EhN10test_utils4lessEEvPKT2_PS2_T3_.has_recursion, 0
	.set _Z10sort_pairsILj256ELj64ELj4EhN10test_utils4lessEEvPKT2_PS2_T3_.has_indirect_call, 0
	.section	.AMDGPU.csdata,"",@progbits
; Kernel info:
; codeLenInByte = 5464
; TotalNumSgprs: 15
; NumVgprs: 27
; ScratchSize: 0
; MemoryBound: 0
; FloatMode: 240
; IeeeMode: 1
; LDSByteSize: 1028 bytes/workgroup (compile time only)
; SGPRBlocks: 0
; VGPRBlocks: 3
; NumSGPRsForWavesPerEU: 15
; NumVGPRsForWavesPerEU: 27
; Occupancy: 16
; WaveLimiterHint : 0
; COMPUTE_PGM_RSRC2:SCRATCH_EN: 0
; COMPUTE_PGM_RSRC2:USER_SGPR: 6
; COMPUTE_PGM_RSRC2:TRAP_HANDLER: 0
; COMPUTE_PGM_RSRC2:TGID_X_EN: 1
; COMPUTE_PGM_RSRC2:TGID_Y_EN: 0
; COMPUTE_PGM_RSRC2:TGID_Z_EN: 0
; COMPUTE_PGM_RSRC2:TIDIG_COMP_CNT: 0
	.section	.text._Z19sort_keys_segmentedILj256ELj64ELj4EhN10test_utils4lessEEvPKT2_PS2_PKjT3_,"axG",@progbits,_Z19sort_keys_segmentedILj256ELj64ELj4EhN10test_utils4lessEEvPKT2_PS2_PKjT3_,comdat
	.protected	_Z19sort_keys_segmentedILj256ELj64ELj4EhN10test_utils4lessEEvPKT2_PS2_PKjT3_ ; -- Begin function _Z19sort_keys_segmentedILj256ELj64ELj4EhN10test_utils4lessEEvPKT2_PS2_PKjT3_
	.globl	_Z19sort_keys_segmentedILj256ELj64ELj4EhN10test_utils4lessEEvPKT2_PS2_PKjT3_
	.p2align	8
	.type	_Z19sort_keys_segmentedILj256ELj64ELj4EhN10test_utils4lessEEvPKT2_PS2_PKjT3_,@function
_Z19sort_keys_segmentedILj256ELj64ELj4EhN10test_utils4lessEEvPKT2_PS2_PKjT3_: ; @_Z19sort_keys_segmentedILj256ELj64ELj4EhN10test_utils4lessEEvPKT2_PS2_PKjT3_
; %bb.0:
	s_clause 0x1
	s_load_dwordx2 s[0:1], s[4:5], 0x10
	s_load_dwordx4 s[8:11], s[4:5], 0x0
	v_lshrrev_b32_e32 v6, 6, v0
	v_mov_b32_e32 v1, 0
	v_mov_b32_e32 v7, 0
	;; [unrolled: 1-line block ×3, first 2 shown]
	v_lshl_or_b32 v0, s6, 2, v6
	v_lshlrev_b64 v[2:3], 2, v[0:1]
	v_lshlrev_b32_e32 v0, 8, v0
	s_waitcnt lgkmcnt(0)
	v_add_co_u32 v2, vcc_lo, s0, v2
	v_add_co_ci_u32_e64 v3, null, s1, v3, vcc_lo
	global_load_dword v5, v[2:3], off
	v_mbcnt_lo_u32_b32 v2, -1, 0
	v_lshlrev_b32_e32 v4, 2, v2
	v_add_co_u32 v2, s0, s8, v0
	v_add_co_ci_u32_e64 v3, null, s9, 0, s0
	v_add_co_u32 v2, vcc_lo, v2, v4
	v_add_co_ci_u32_e64 v3, null, 0, v3, vcc_lo
	s_waitcnt vmcnt(0)
	v_cmp_lt_u32_e32 vcc_lo, v4, v5
	s_and_saveexec_b32 s0, vcc_lo
	s_cbranch_execz .LBB138_2
; %bb.1:
	global_load_ubyte v7, v[2:3], off
	v_mov_b32_e32 v8, 0
.LBB138_2:
	s_or_b32 exec_lo, exec_lo, s0
	v_or_b32_e32 v9, 1, v4
	v_mov_b32_e32 v10, v1
	v_cmp_lt_u32_e64 s0, v9, v5
	s_and_saveexec_b32 s1, s0
	s_cbranch_execz .LBB138_4
; %bb.3:
	global_load_ubyte v10, v[2:3], off offset:1
.LBB138_4:
	s_or_b32 exec_lo, exec_lo, s1
	v_or_b32_e32 v11, 2, v4
	v_cmp_lt_u32_e64 s1, v11, v5
	s_and_saveexec_b32 s2, s1
	s_cbranch_execz .LBB138_6
; %bb.5:
	global_load_ubyte v1, v[2:3], off offset:2
.LBB138_6:
	s_or_b32 exec_lo, exec_lo, s2
	v_or_b32_e32 v12, 3, v4
	v_cmp_lt_u32_e64 s2, v12, v5
	s_and_saveexec_b32 s3, s2
	s_cbranch_execz .LBB138_8
; %bb.7:
	global_load_ubyte v8, v[2:3], off offset:3
.LBB138_8:
	s_or_b32 exec_lo, exec_lo, s3
	s_waitcnt vmcnt(0)
	v_perm_b32 v1, v1, v8, 0xc0c0004
	v_perm_b32 v2, v7, v10, 0xc0c0004
	v_or_b32_e32 v3, 0xffffff00, v7
	v_cmp_lt_i32_e64 s3, v9, v5
	v_cmp_lt_i32_e64 s4, v12, v5
	v_lshlrev_b32_e32 v1, 16, v1
	s_mov_b32 s5, exec_lo
	v_or_b32_e32 v2, v2, v1
	v_or_b32_sdwa v1, v3, v1 dst_sel:DWORD dst_unused:UNUSED_PAD src0_sel:WORD_0 src1_sel:DWORD
	v_mov_b32_e32 v3, 0xff
	v_cndmask_b32_e64 v1, v1, v2, s3
	v_cmp_lt_i32_e64 s3, v11, v5
	v_or_b32_sdwa v3, v1, v3 dst_sel:WORD_1 dst_unused:UNUSED_PAD src0_sel:WORD_1 src1_sel:DWORD
	v_and_or_b32 v1, 0xffff, v1, v3
	v_cndmask_b32_e64 v3, v1, v2, s3
	v_cmpx_ge_i32_e64 v12, v5
; %bb.9:
	v_mov_b32_e32 v1, 0xffffff00
	v_cmp_lt_i32_e64 s3, v4, v5
	s_andn2_b32 s4, s4, exec_lo
	v_or_b32_sdwa v1, v3, v1 dst_sel:WORD_1 dst_unused:UNUSED_PAD src0_sel:WORD_1 src1_sel:DWORD
	s_and_b32 s3, s3, exec_lo
	s_or_b32 s4, s4, s3
	v_and_or_b32 v3, 0xffff, v3, v1
; %bb.10:
	s_or_b32 exec_lo, exec_lo, s5
	s_and_saveexec_b32 s5, s4
	s_cbranch_execz .LBB138_14
; %bb.11:
	v_lshrrev_b32_e32 v1, 8, v3
	v_and_b32_e32 v2, 0xff, v3
	v_and_b32_e32 v7, 0xff, v1
	v_perm_b32 v1, v3, v3, 0x7060405
	v_cmp_lt_u16_e64 s3, v7, v2
	v_cndmask_b32_e64 v3, v3, v1, s3
	v_lshrrev_b32_e32 v1, 16, v3
	v_lshrrev_b32_e32 v9, 24, v3
	v_perm_b32 v8, 0, v1, 0xc0c0001
	v_and_b32_e32 v10, 0xff, v1
	v_mov_b32_e32 v1, 0xffffff00
	v_lshlrev_b32_e32 v8, 16, v8
	v_cmp_lt_u16_e64 s3, v9, v10
	v_min_u16 v11, v9, v10
	v_and_or_b32 v8, 0xffff, v3, v8
	v_cndmask_b32_e64 v3, v3, v8, s3
	v_min_u16 v8, v7, v2
	v_max_u16 v2, v7, v2
	v_lshlrev_b16 v7, 8, v11
	v_and_b32_sdwa v12, v3, v1 dst_sel:DWORD dst_unused:UNUSED_PAD src0_sel:WORD_1 src1_sel:DWORD
	v_lshlrev_b16 v13, 8, v8
	v_min_u16 v14, v11, v2
	v_or_b32_sdwa v7, v3, v7 dst_sel:DWORD dst_unused:UNUSED_PAD src0_sel:BYTE_0 src1_sel:DWORD
	v_cmp_lt_u16_e64 s3, v11, v2
	v_or_b32_sdwa v12, v2, v12 dst_sel:WORD_1 dst_unused:UNUSED_PAD src0_sel:DWORD src1_sel:DWORD
	v_or_b32_e32 v13, v14, v13
	v_or_b32_sdwa v7, v7, v12 dst_sel:DWORD dst_unused:UNUSED_PAD src0_sel:WORD_0 src1_sel:DWORD
	v_max_u16 v12, v11, v2
	v_and_b32_e32 v13, 0xffff, v13
	v_cndmask_b32_e64 v3, v3, v7, s3
	v_max_u16 v7, v9, v10
	v_lshlrev_b16 v9, 8, v12
	v_cmp_lt_u16_e64 s3, v11, v8
	v_and_or_b32 v10, 0xffff0000, v3, v13
	v_cmp_gt_u16_e64 s4, v2, v7
	v_or_b32_sdwa v9, v7, v9 dst_sel:WORD_1 dst_unused:UNUSED_PAD src0_sel:DWORD src1_sel:DWORD
	v_cndmask_b32_e64 v2, v14, v8, s3
	v_cndmask_b32_e64 v3, v3, v10, s3
	;; [unrolled: 1-line block ×3, first 2 shown]
	v_and_or_b32 v9, 0xffff, v3, v9
	v_cndmask_b32_e64 v3, v3, v9, s4
	s_mov_b32 s4, exec_lo
	v_cmpx_lt_u16_e64 v7, v2
; %bb.12:
	v_and_b32_sdwa v1, v3, v1 dst_sel:DWORD dst_unused:UNUSED_PAD src0_sel:WORD_1 src1_sel:DWORD
	v_or_b32_sdwa v1, v2, v1 dst_sel:WORD_1 dst_unused:UNUSED_PAD src0_sel:DWORD src1_sel:DWORD
	v_perm_b32 v2, v3, v7, 0xc0c0004
	v_or_b32_e32 v3, v2, v1
; %bb.13:
	s_or_b32 exec_lo, exec_lo, s4
.LBB138_14:
	s_or_b32 exec_lo, exec_lo, s5
	v_and_b32_e32 v1, 0x78, v4
	v_and_b32_e32 v9, 4, v4
	v_mad_u32_u24 v12, 0x101, v6, v4
	s_mov_b32 s5, 0
	s_mov_b32 s4, exec_lo
	v_min_i32_e32 v7, v5, v1
	v_min_i32_e32 v9, v5, v9
	; wave barrier
	ds_write_b32 v12, v3
	v_add_nc_u32_e32 v1, 4, v7
	; wave barrier
	v_min_i32_e32 v8, v5, v1
	v_add_nc_u32_e32 v1, 4, v8
	v_sub_nc_u32_e32 v11, v8, v7
	v_min_i32_e32 v2, v5, v1
	v_min_i32_e32 v11, v9, v11
	v_sub_nc_u32_e32 v1, v2, v8
	v_sub_nc_u32_e32 v10, v9, v1
	v_cmp_ge_i32_e64 s3, v9, v1
	v_mul_u32_u24_e32 v1, 0x101, v6
	v_cndmask_b32_e64 v10, 0, v10, s3
	v_cmpx_lt_i32_e64 v10, v11
	s_cbranch_execz .LBB138_18
; %bb.15:
	v_add_nc_u32_e32 v3, v1, v7
	v_add3_u32 v6, v1, v8, v9
	.p2align	6
.LBB138_16:                             ; =>This Inner Loop Header: Depth=1
	v_sub_nc_u32_e32 v12, v11, v10
	v_lshrrev_b32_e32 v12, 1, v12
	v_add_nc_u32_e32 v12, v12, v10
	v_add_nc_u32_e32 v13, v3, v12
	v_xad_u32 v14, v12, -1, v6
	v_add_nc_u32_e32 v15, 1, v12
	ds_read_u8 v13, v13
	ds_read_u8 v14, v14
	s_waitcnt lgkmcnt(0)
	v_cmp_lt_u16_e64 s3, v14, v13
	v_cndmask_b32_e64 v11, v11, v12, s3
	v_cndmask_b32_e64 v10, v15, v10, s3
	v_cmp_ge_i32_e64 s3, v10, v11
	s_or_b32 s5, s3, s5
	s_andn2_b32 exec_lo, exec_lo, s5
	s_cbranch_execnz .LBB138_16
; %bb.17:
	s_or_b32 exec_lo, exec_lo, s5
.LBB138_18:
	s_or_b32 exec_lo, exec_lo, s4
	v_add_nc_u32_e32 v6, v8, v9
	v_add_nc_u32_e32 v3, v10, v7
                                        ; implicit-def: $vgpr9
	v_sub_nc_u32_e32 v11, v6, v10
	v_add_nc_u32_e32 v10, v1, v3
	v_cmp_le_i32_e64 s3, v8, v3
	v_add_nc_u32_e32 v12, v1, v11
	v_cmp_gt_i32_e64 s4, v2, v11
	ds_read_u8 v6, v10
	ds_read_u8 v7, v12
	s_waitcnt lgkmcnt(0)
	v_cmp_lt_u16_sdwa s5, v7, v6 src0_sel:BYTE_0 src1_sel:BYTE_0
	s_or_b32 s3, s3, s5
	s_and_b32 s3, s4, s3
	s_xor_b32 s4, s3, -1
	s_and_saveexec_b32 s5, s4
	s_xor_b32 s4, exec_lo, s5
; %bb.19:
	ds_read_u8 v9, v10 offset:1
                                        ; implicit-def: $vgpr12
; %bb.20:
	s_or_saveexec_b32 s4, s4
	v_mov_b32_e32 v10, v7
	s_xor_b32 exec_lo, exec_lo, s4
	s_cbranch_execz .LBB138_22
; %bb.21:
	ds_read_u8 v10, v12 offset:1
	s_waitcnt lgkmcnt(1)
	v_mov_b32_e32 v9, v6
.LBB138_22:
	s_or_b32 exec_lo, exec_lo, s4
	v_add_nc_u32_e32 v12, 1, v3
	v_add_nc_u32_e32 v13, 1, v11
	s_waitcnt lgkmcnt(0)
	v_cmp_lt_u16_sdwa s6, v10, v9 src0_sel:BYTE_0 src1_sel:BYTE_0
	v_cndmask_b32_e64 v12, v12, v3, s3
	v_cndmask_b32_e64 v3, v11, v13, s3
                                        ; implicit-def: $vgpr11
	v_cmp_ge_i32_e64 s4, v12, v8
	v_cmp_lt_i32_e64 s5, v3, v2
	s_or_b32 s4, s4, s6
	s_and_b32 s4, s5, s4
	s_xor_b32 s5, s4, -1
	s_and_saveexec_b32 s6, s5
	s_xor_b32 s5, exec_lo, s6
; %bb.23:
	v_add_nc_u32_e32 v11, v1, v12
	ds_read_u8 v11, v11 offset:1
; %bb.24:
	s_or_saveexec_b32 s5, s5
	v_mov_b32_e32 v13, v10
	s_xor_b32 exec_lo, exec_lo, s5
	s_cbranch_execz .LBB138_26
; %bb.25:
	s_waitcnt lgkmcnt(0)
	v_add_nc_u32_e32 v11, v1, v3
	ds_read_u8 v13, v11 offset:1
	v_mov_b32_e32 v11, v9
.LBB138_26:
	s_or_b32 exec_lo, exec_lo, s5
	v_add_nc_u32_e32 v14, 1, v12
	v_add_nc_u32_e32 v15, 1, v3
	s_waitcnt lgkmcnt(0)
	v_cmp_lt_u16_sdwa s7, v13, v11 src0_sel:BYTE_0 src1_sel:BYTE_0
	v_cndmask_b32_e64 v16, v14, v12, s4
	v_cndmask_b32_e64 v14, v3, v15, s4
                                        ; implicit-def: $vgpr15
	v_cmp_ge_i32_e64 s5, v16, v8
	v_cmp_lt_i32_e64 s6, v14, v2
	s_or_b32 s5, s5, s7
	s_and_b32 s5, s6, s5
	s_xor_b32 s6, s5, -1
	s_and_saveexec_b32 s7, s6
	s_xor_b32 s6, exec_lo, s7
; %bb.27:
	v_add_nc_u32_e32 v3, v1, v16
	ds_read_u8 v15, v3 offset:1
; %bb.28:
	s_or_saveexec_b32 s6, s6
	v_mov_b32_e32 v17, v13
	s_xor_b32 exec_lo, exec_lo, s6
	s_cbranch_execz .LBB138_30
; %bb.29:
	v_add_nc_u32_e32 v3, v1, v14
	s_waitcnt lgkmcnt(0)
	v_mov_b32_e32 v15, v11
	ds_read_u8 v17, v3 offset:1
.LBB138_30:
	s_or_b32 exec_lo, exec_lo, s6
	v_and_b32_e32 v3, 0x70, v4
	v_add_nc_u32_e32 v18, 1, v16
	v_cndmask_b32_e64 v11, v11, v13, s5
	v_add_nc_u32_e32 v13, 1, v14
	v_cndmask_b32_e64 v10, v9, v10, s4
	v_min_i32_e32 v12, v5, v3
	v_cndmask_b32_e64 v9, v18, v16, s5
	v_cndmask_b32_e64 v20, v6, v7, s3
	;; [unrolled: 1-line block ×3, first 2 shown]
	v_and_b32_e32 v6, 12, v4
	v_add_nc_u32_e32 v3, 8, v12
	s_waitcnt lgkmcnt(0)
	v_cmp_lt_u16_sdwa s6, v17, v15 src0_sel:BYTE_0 src1_sel:BYTE_0
	v_cmp_ge_i32_e64 s3, v9, v8
	v_cmp_lt_i32_e64 s4, v13, v2
	v_min_i32_e32 v6, v5, v6
	v_min_i32_e32 v3, v5, v3
	v_add_nc_u32_e32 v2, v1, v4
	s_or_b32 s3, s3, s6
	s_mov_b32 s5, 0
	s_and_b32 s3, s4, s3
	v_add_nc_u32_e32 v19, 8, v3
	v_sub_nc_u32_e32 v13, v3, v12
	v_cndmask_b32_e64 v14, v15, v17, s3
	s_mov_b32 s4, exec_lo
	v_min_i32_e32 v7, v5, v19
	; wave barrier
	ds_write_b8 v2, v20
	ds_write_b8 v2, v10 offset:1
	ds_write_b8 v2, v11 offset:2
	;; [unrolled: 1-line block ×3, first 2 shown]
	; wave barrier
	v_sub_nc_u32_e32 v8, v7, v3
	v_sub_nc_u32_e32 v9, v6, v8
	v_cmp_ge_i32_e64 s3, v6, v8
	v_cndmask_b32_e64 v8, 0, v9, s3
	v_min_i32_e32 v9, v6, v13
	v_cmpx_lt_i32_e64 v8, v9
	s_cbranch_execz .LBB138_34
; %bb.31:
	v_add_nc_u32_e32 v10, v1, v12
	v_add3_u32 v11, v1, v3, v6
	.p2align	6
.LBB138_32:                             ; =>This Inner Loop Header: Depth=1
	v_sub_nc_u32_e32 v13, v9, v8
	v_lshrrev_b32_e32 v13, 1, v13
	v_add_nc_u32_e32 v13, v13, v8
	v_add_nc_u32_e32 v14, v10, v13
	v_xad_u32 v15, v13, -1, v11
	v_add_nc_u32_e32 v16, 1, v13
	ds_read_u8 v14, v14
	ds_read_u8 v15, v15
	s_waitcnt lgkmcnt(0)
	v_cmp_lt_u16_e64 s3, v15, v14
	v_cndmask_b32_e64 v9, v9, v13, s3
	v_cndmask_b32_e64 v8, v16, v8, s3
	v_cmp_ge_i32_e64 s3, v8, v9
	s_or_b32 s5, s3, s5
	s_andn2_b32 exec_lo, exec_lo, s5
	s_cbranch_execnz .LBB138_32
; %bb.33:
	s_or_b32 exec_lo, exec_lo, s5
.LBB138_34:
	s_or_b32 exec_lo, exec_lo, s4
	v_add_nc_u32_e32 v9, v3, v6
	v_add_nc_u32_e32 v6, v8, v12
	v_sub_nc_u32_e32 v12, v9, v8
	v_add_nc_u32_e32 v11, v1, v6
	v_cmp_le_i32_e64 s3, v3, v6
                                        ; implicit-def: $vgpr8
	v_add_nc_u32_e32 v13, v1, v12
	v_cmp_gt_i32_e64 s4, v7, v12
	ds_read_u8 v9, v11
	ds_read_u8 v10, v13
	s_waitcnt lgkmcnt(0)
	v_cmp_lt_u16_sdwa s5, v10, v9 src0_sel:BYTE_0 src1_sel:BYTE_0
	s_or_b32 s3, s3, s5
	s_and_b32 s3, s4, s3
	s_xor_b32 s4, s3, -1
	s_and_saveexec_b32 s5, s4
	s_xor_b32 s4, exec_lo, s5
; %bb.35:
	ds_read_u8 v8, v11 offset:1
                                        ; implicit-def: $vgpr13
; %bb.36:
	s_or_saveexec_b32 s4, s4
	v_mov_b32_e32 v11, v10
	s_xor_b32 exec_lo, exec_lo, s4
	s_cbranch_execz .LBB138_38
; %bb.37:
	ds_read_u8 v11, v13 offset:1
	s_waitcnt lgkmcnt(1)
	v_mov_b32_e32 v8, v9
.LBB138_38:
	s_or_b32 exec_lo, exec_lo, s4
	v_add_nc_u32_e32 v13, 1, v6
	v_add_nc_u32_e32 v14, 1, v12
	s_waitcnt lgkmcnt(0)
	v_cmp_lt_u16_sdwa s6, v11, v8 src0_sel:BYTE_0 src1_sel:BYTE_0
	v_cndmask_b32_e64 v13, v13, v6, s3
	v_cndmask_b32_e64 v6, v12, v14, s3
                                        ; implicit-def: $vgpr12
	v_cmp_ge_i32_e64 s4, v13, v3
	v_cmp_lt_i32_e64 s5, v6, v7
	s_or_b32 s4, s4, s6
	s_and_b32 s4, s5, s4
	s_xor_b32 s5, s4, -1
	s_and_saveexec_b32 s6, s5
	s_xor_b32 s5, exec_lo, s6
; %bb.39:
	v_add_nc_u32_e32 v12, v1, v13
	ds_read_u8 v12, v12 offset:1
; %bb.40:
	s_or_saveexec_b32 s5, s5
	v_mov_b32_e32 v14, v11
	s_xor_b32 exec_lo, exec_lo, s5
	s_cbranch_execz .LBB138_42
; %bb.41:
	s_waitcnt lgkmcnt(0)
	v_add_nc_u32_e32 v12, v1, v6
	ds_read_u8 v14, v12 offset:1
	v_mov_b32_e32 v12, v8
.LBB138_42:
	s_or_b32 exec_lo, exec_lo, s5
	v_add_nc_u32_e32 v15, 1, v13
	v_add_nc_u32_e32 v16, 1, v6
	s_waitcnt lgkmcnt(0)
	v_cmp_lt_u16_sdwa s7, v14, v12 src0_sel:BYTE_0 src1_sel:BYTE_0
	v_cndmask_b32_e64 v17, v15, v13, s4
	v_cndmask_b32_e64 v15, v6, v16, s4
                                        ; implicit-def: $vgpr16
	v_cmp_ge_i32_e64 s5, v17, v3
	v_cmp_lt_i32_e64 s6, v15, v7
	s_or_b32 s5, s5, s7
	s_and_b32 s5, s6, s5
	s_xor_b32 s6, s5, -1
	s_and_saveexec_b32 s7, s6
	s_xor_b32 s6, exec_lo, s7
; %bb.43:
	v_add_nc_u32_e32 v6, v1, v17
	ds_read_u8 v16, v6 offset:1
; %bb.44:
	s_or_saveexec_b32 s6, s6
	v_mov_b32_e32 v18, v14
	s_xor_b32 exec_lo, exec_lo, s6
	s_cbranch_execz .LBB138_46
; %bb.45:
	v_add_nc_u32_e32 v6, v1, v15
	s_waitcnt lgkmcnt(0)
	v_mov_b32_e32 v16, v12
	ds_read_u8 v18, v6 offset:1
.LBB138_46:
	s_or_b32 exec_lo, exec_lo, s6
	v_and_b32_e32 v6, 0x60, v4
	v_cndmask_b32_e64 v12, v12, v14, s5
	v_add_nc_u32_e32 v14, 1, v17
	v_add_nc_u32_e32 v20, 1, v15
	v_cndmask_b32_e64 v21, v8, v11, s4
	v_min_i32_e32 v13, v5, v6
	v_and_b32_e32 v11, 28, v4
	v_cndmask_b32_e64 v14, v14, v17, s5
	v_cndmask_b32_e64 v15, v15, v20, s5
	s_waitcnt lgkmcnt(0)
	v_cmp_lt_u16_sdwa s6, v18, v16 src0_sel:BYTE_0 src1_sel:BYTE_0
	v_add_nc_u32_e32 v6, 16, v13
	v_cndmask_b32_e64 v9, v9, v10, s3
	v_cmp_ge_i32_e64 s4, v14, v3
	v_cmp_lt_i32_e64 s3, v15, v7
	v_min_i32_e32 v11, v5, v11
	v_min_i32_e32 v6, v5, v6
	s_mov_b32 s5, 0
	s_or_b32 s4, s4, s6
	s_and_b32 s3, s3, s4
	v_add_nc_u32_e32 v19, 16, v6
	v_sub_nc_u32_e32 v10, v6, v13
	v_cndmask_b32_e64 v14, v16, v18, s3
	s_mov_b32 s4, exec_lo
	; wave barrier
	v_min_i32_e32 v8, v5, v19
	ds_write_b8 v2, v9
	ds_write_b8 v2, v21 offset:1
	ds_write_b8 v2, v12 offset:2
	;; [unrolled: 1-line block ×3, first 2 shown]
	; wave barrier
	v_sub_nc_u32_e32 v3, v8, v6
	v_sub_nc_u32_e32 v7, v11, v3
	v_cmp_ge_i32_e64 s3, v11, v3
	v_cndmask_b32_e64 v3, 0, v7, s3
	v_min_i32_e32 v7, v11, v10
	v_cmpx_lt_i32_e64 v3, v7
	s_cbranch_execz .LBB138_50
; %bb.47:
	v_add_nc_u32_e32 v9, v1, v13
	v_add3_u32 v10, v1, v6, v11
	.p2align	6
.LBB138_48:                             ; =>This Inner Loop Header: Depth=1
	v_sub_nc_u32_e32 v12, v7, v3
	v_lshrrev_b32_e32 v12, 1, v12
	v_add_nc_u32_e32 v12, v12, v3
	v_add_nc_u32_e32 v14, v9, v12
	v_xad_u32 v15, v12, -1, v10
	v_add_nc_u32_e32 v16, 1, v12
	ds_read_u8 v14, v14
	ds_read_u8 v15, v15
	s_waitcnt lgkmcnt(0)
	v_cmp_lt_u16_e64 s3, v15, v14
	v_cndmask_b32_e64 v7, v7, v12, s3
	v_cndmask_b32_e64 v3, v16, v3, s3
	v_cmp_ge_i32_e64 s3, v3, v7
	s_or_b32 s5, s3, s5
	s_andn2_b32 exec_lo, exec_lo, s5
	s_cbranch_execnz .LBB138_48
; %bb.49:
	s_or_b32 exec_lo, exec_lo, s5
.LBB138_50:
	s_or_b32 exec_lo, exec_lo, s4
	v_add_nc_u32_e32 v9, v6, v11
	v_add_nc_u32_e32 v7, v3, v13
	v_sub_nc_u32_e32 v12, v9, v3
	v_add_nc_u32_e32 v11, v1, v7
	v_cmp_le_i32_e64 s3, v6, v7
                                        ; implicit-def: $vgpr9
	v_add_nc_u32_e32 v13, v1, v12
	v_cmp_gt_i32_e64 s4, v8, v12
	ds_read_u8 v3, v11
	ds_read_u8 v10, v13
	s_waitcnt lgkmcnt(0)
	v_cmp_lt_u16_sdwa s5, v10, v3 src0_sel:BYTE_0 src1_sel:BYTE_0
	s_or_b32 s3, s3, s5
	s_and_b32 s3, s4, s3
	s_xor_b32 s4, s3, -1
	s_and_saveexec_b32 s5, s4
	s_xor_b32 s4, exec_lo, s5
; %bb.51:
	ds_read_u8 v9, v11 offset:1
                                        ; implicit-def: $vgpr13
; %bb.52:
	s_or_saveexec_b32 s4, s4
	v_mov_b32_e32 v11, v10
	s_xor_b32 exec_lo, exec_lo, s4
	s_cbranch_execz .LBB138_54
; %bb.53:
	ds_read_u8 v11, v13 offset:1
	s_waitcnt lgkmcnt(1)
	v_mov_b32_e32 v9, v3
.LBB138_54:
	s_or_b32 exec_lo, exec_lo, s4
	v_add_nc_u32_e32 v13, 1, v7
	v_add_nc_u32_e32 v14, 1, v12
	s_waitcnt lgkmcnt(0)
	v_cmp_lt_u16_sdwa s6, v11, v9 src0_sel:BYTE_0 src1_sel:BYTE_0
	v_cndmask_b32_e64 v13, v13, v7, s3
	v_cndmask_b32_e64 v7, v12, v14, s3
                                        ; implicit-def: $vgpr12
	v_cmp_ge_i32_e64 s4, v13, v6
	v_cmp_lt_i32_e64 s5, v7, v8
	s_or_b32 s4, s4, s6
	s_and_b32 s4, s5, s4
	s_xor_b32 s5, s4, -1
	s_and_saveexec_b32 s6, s5
	s_xor_b32 s5, exec_lo, s6
; %bb.55:
	v_add_nc_u32_e32 v12, v1, v13
	ds_read_u8 v12, v12 offset:1
; %bb.56:
	s_or_saveexec_b32 s5, s5
	v_mov_b32_e32 v14, v11
	s_xor_b32 exec_lo, exec_lo, s5
	s_cbranch_execz .LBB138_58
; %bb.57:
	s_waitcnt lgkmcnt(0)
	v_add_nc_u32_e32 v12, v1, v7
	ds_read_u8 v14, v12 offset:1
	v_mov_b32_e32 v12, v9
.LBB138_58:
	s_or_b32 exec_lo, exec_lo, s5
	v_add_nc_u32_e32 v15, 1, v13
	v_add_nc_u32_e32 v16, 1, v7
	s_waitcnt lgkmcnt(0)
	v_cmp_lt_u16_sdwa s7, v14, v12 src0_sel:BYTE_0 src1_sel:BYTE_0
	v_cndmask_b32_e64 v17, v15, v13, s4
	v_cndmask_b32_e64 v15, v7, v16, s4
                                        ; implicit-def: $vgpr16
	v_cmp_ge_i32_e64 s5, v17, v6
	v_cmp_lt_i32_e64 s6, v15, v8
	s_or_b32 s5, s5, s7
	s_and_b32 s5, s6, s5
	s_xor_b32 s6, s5, -1
	s_and_saveexec_b32 s7, s6
	s_xor_b32 s6, exec_lo, s7
; %bb.59:
	v_add_nc_u32_e32 v7, v1, v17
	ds_read_u8 v16, v7 offset:1
; %bb.60:
	s_or_saveexec_b32 s6, s6
	v_mov_b32_e32 v18, v14
	s_xor_b32 exec_lo, exec_lo, s6
	s_cbranch_execz .LBB138_62
; %bb.61:
	v_add_nc_u32_e32 v7, v1, v15
	s_waitcnt lgkmcnt(0)
	v_mov_b32_e32 v16, v12
	ds_read_u8 v18, v7 offset:1
.LBB138_62:
	s_or_b32 exec_lo, exec_lo, s6
	v_and_b32_e32 v7, 64, v4
	v_cndmask_b32_e64 v12, v12, v14, s5
	v_add_nc_u32_e32 v14, 1, v17
	v_add_nc_u32_e32 v20, 1, v15
	v_cndmask_b32_e64 v21, v9, v11, s4
	v_min_i32_e32 v13, v5, v7
	v_and_b32_e32 v11, 60, v4
	v_cndmask_b32_e64 v14, v14, v17, s5
	v_cndmask_b32_e64 v15, v15, v20, s5
	s_waitcnt lgkmcnt(0)
	v_cmp_lt_u16_sdwa s6, v18, v16 src0_sel:BYTE_0 src1_sel:BYTE_0
	v_add_nc_u32_e32 v7, 32, v13
	v_cndmask_b32_e64 v10, v3, v10, s3
	v_cmp_ge_i32_e64 s4, v14, v6
	v_cmp_lt_i32_e64 s3, v15, v8
	v_min_i32_e32 v11, v5, v11
	v_min_i32_e32 v7, v5, v7
	s_mov_b32 s5, 0
	s_or_b32 s4, s4, s6
	s_and_b32 s3, s3, s4
	v_add_nc_u32_e32 v19, 32, v7
	v_sub_nc_u32_e32 v8, v7, v13
	v_cndmask_b32_e64 v14, v16, v18, s3
	s_mov_b32 s4, exec_lo
	; wave barrier
	v_min_i32_e32 v9, v5, v19
	ds_write_b8 v2, v10
	ds_write_b8 v2, v21 offset:1
	ds_write_b8 v2, v12 offset:2
	;; [unrolled: 1-line block ×3, first 2 shown]
	; wave barrier
	v_sub_nc_u32_e32 v6, v9, v7
	v_sub_nc_u32_e32 v3, v11, v6
	v_cmp_ge_i32_e64 s3, v11, v6
	v_min_i32_e32 v6, v11, v8
	v_cndmask_b32_e64 v3, 0, v3, s3
	v_cmpx_lt_i32_e64 v3, v6
	s_cbranch_execz .LBB138_66
; %bb.63:
	v_add_nc_u32_e32 v8, v1, v13
	v_add3_u32 v10, v1, v7, v11
	.p2align	6
.LBB138_64:                             ; =>This Inner Loop Header: Depth=1
	v_sub_nc_u32_e32 v12, v6, v3
	v_lshrrev_b32_e32 v12, 1, v12
	v_add_nc_u32_e32 v12, v12, v3
	v_add_nc_u32_e32 v14, v8, v12
	v_xad_u32 v15, v12, -1, v10
	v_add_nc_u32_e32 v16, 1, v12
	ds_read_u8 v14, v14
	ds_read_u8 v15, v15
	s_waitcnt lgkmcnt(0)
	v_cmp_lt_u16_e64 s3, v15, v14
	v_cndmask_b32_e64 v6, v6, v12, s3
	v_cndmask_b32_e64 v3, v16, v3, s3
	v_cmp_ge_i32_e64 s3, v3, v6
	s_or_b32 s5, s3, s5
	s_andn2_b32 exec_lo, exec_lo, s5
	s_cbranch_execnz .LBB138_64
; %bb.65:
	s_or_b32 exec_lo, exec_lo, s5
.LBB138_66:
	s_or_b32 exec_lo, exec_lo, s4
	v_add_nc_u32_e32 v6, v7, v11
	v_add_nc_u32_e32 v8, v3, v13
	v_sub_nc_u32_e32 v3, v6, v3
	v_add_nc_u32_e32 v10, v1, v8
	v_cmp_le_i32_e64 s3, v7, v8
                                        ; implicit-def: $vgpr6
	v_add_nc_u32_e32 v13, v1, v3
	v_cmp_gt_i32_e64 s4, v9, v3
	ds_read_u8 v11, v10
	ds_read_u8 v12, v13
	s_waitcnt lgkmcnt(0)
	v_cmp_lt_u16_sdwa s5, v12, v11 src0_sel:BYTE_0 src1_sel:BYTE_0
	s_or_b32 s3, s3, s5
	s_and_b32 s3, s4, s3
	s_xor_b32 s4, s3, -1
	s_and_saveexec_b32 s5, s4
	s_xor_b32 s4, exec_lo, s5
; %bb.67:
	ds_read_u8 v6, v10 offset:1
                                        ; implicit-def: $vgpr13
; %bb.68:
	s_or_saveexec_b32 s4, s4
	v_mov_b32_e32 v10, v12
	s_xor_b32 exec_lo, exec_lo, s4
	s_cbranch_execz .LBB138_70
; %bb.69:
	ds_read_u8 v10, v13 offset:1
	s_waitcnt lgkmcnt(1)
	v_mov_b32_e32 v6, v11
.LBB138_70:
	s_or_b32 exec_lo, exec_lo, s4
	v_add_nc_u32_e32 v13, 1, v8
	v_add_nc_u32_e32 v14, 1, v3
	s_waitcnt lgkmcnt(0)
	v_cmp_lt_u16_sdwa s6, v10, v6 src0_sel:BYTE_0 src1_sel:BYTE_0
	v_cndmask_b32_e64 v8, v13, v8, s3
	v_cndmask_b32_e64 v3, v3, v14, s3
                                        ; implicit-def: $vgpr13
	v_cmp_ge_i32_e64 s4, v8, v7
	v_cmp_lt_i32_e64 s5, v3, v9
	s_or_b32 s4, s4, s6
	s_and_b32 s4, s5, s4
	s_xor_b32 s5, s4, -1
	s_and_saveexec_b32 s6, s5
	s_xor_b32 s5, exec_lo, s6
; %bb.71:
	v_add_nc_u32_e32 v13, v1, v8
	ds_read_u8 v13, v13 offset:1
; %bb.72:
	s_or_saveexec_b32 s5, s5
	v_mov_b32_e32 v14, v10
	s_xor_b32 exec_lo, exec_lo, s5
	s_cbranch_execz .LBB138_74
; %bb.73:
	s_waitcnt lgkmcnt(0)
	v_add_nc_u32_e32 v13, v1, v3
	ds_read_u8 v14, v13 offset:1
	v_mov_b32_e32 v13, v6
.LBB138_74:
	s_or_b32 exec_lo, exec_lo, s5
	v_add_nc_u32_e32 v15, 1, v8
	v_add_nc_u32_e32 v16, 1, v3
	s_waitcnt lgkmcnt(0)
	v_cmp_lt_u16_sdwa s7, v14, v13 src0_sel:BYTE_0 src1_sel:BYTE_0
	v_cndmask_b32_e64 v17, v15, v8, s4
	v_cndmask_b32_e64 v15, v3, v16, s4
                                        ; implicit-def: $vgpr16
	v_cmp_ge_i32_e64 s5, v17, v7
	v_cmp_lt_i32_e64 s6, v15, v9
	s_or_b32 s5, s5, s7
	s_and_b32 s5, s6, s5
	s_xor_b32 s6, s5, -1
	s_and_saveexec_b32 s7, s6
	s_xor_b32 s6, exec_lo, s7
; %bb.75:
	v_add_nc_u32_e32 v3, v1, v17
	ds_read_u8 v16, v3 offset:1
; %bb.76:
	s_or_saveexec_b32 s6, s6
	v_mov_b32_e32 v18, v14
	s_xor_b32 exec_lo, exec_lo, s6
	s_cbranch_execz .LBB138_78
; %bb.77:
	v_add_nc_u32_e32 v3, v1, v15
	s_waitcnt lgkmcnt(0)
	v_mov_b32_e32 v16, v13
	ds_read_u8 v18, v3 offset:1
.LBB138_78:
	s_or_b32 exec_lo, exec_lo, s6
	v_min_i32_e32 v3, 0, v5
	v_cndmask_b32_e64 v13, v13, v14, s5
	v_add_nc_u32_e32 v14, 1, v17
	v_add_nc_u32_e32 v20, 1, v15
	v_cndmask_b32_e64 v21, v6, v10, s4
	v_add_nc_u32_e32 v8, 64, v3
	v_and_b32_e32 v6, 0x7c, v4
	v_cndmask_b32_e64 v14, v14, v17, s5
	v_cndmask_b32_e64 v15, v15, v20, s5
	s_waitcnt lgkmcnt(0)
	v_cmp_lt_u16_sdwa s6, v18, v16 src0_sel:BYTE_0 src1_sel:BYTE_0
	v_min_i32_e32 v8, v5, v8
	v_cndmask_b32_e64 v11, v11, v12, s3
	v_cmp_ge_i32_e64 s4, v14, v7
	v_cmp_lt_i32_e64 s3, v15, v9
	v_min_i32_e32 v6, v5, v6
	v_add_nc_u32_e32 v19, 64, v8
	v_sub_nc_u32_e32 v12, v8, v3
	s_or_b32 s4, s4, s6
	s_mov_b32 s5, 0
	s_and_b32 s3, s3, s4
	v_min_i32_e32 v10, v5, v19
	v_cndmask_b32_e64 v14, v16, v18, s3
	s_mov_b32 s4, exec_lo
	; wave barrier
	v_sub_nc_u32_e32 v7, v10, v8
	ds_write_b8 v2, v11
	ds_write_b8 v2, v21 offset:1
	ds_write_b8 v2, v13 offset:2
	;; [unrolled: 1-line block ×3, first 2 shown]
	; wave barrier
	v_sub_nc_u32_e32 v9, v6, v7
	v_cmp_ge_i32_e64 s3, v6, v7
	v_cndmask_b32_e64 v7, 0, v9, s3
	v_min_i32_e32 v9, v6, v12
	v_cmpx_lt_i32_e64 v7, v9
	s_cbranch_execz .LBB138_82
; %bb.79:
	v_add_nc_u32_e32 v11, v1, v3
	v_add3_u32 v12, v1, v8, v6
	.p2align	6
.LBB138_80:                             ; =>This Inner Loop Header: Depth=1
	v_sub_nc_u32_e32 v13, v9, v7
	v_lshrrev_b32_e32 v13, 1, v13
	v_add_nc_u32_e32 v13, v13, v7
	v_add_nc_u32_e32 v14, v11, v13
	v_xad_u32 v15, v13, -1, v12
	v_add_nc_u32_e32 v16, 1, v13
	ds_read_u8 v14, v14
	ds_read_u8 v15, v15
	s_waitcnt lgkmcnt(0)
	v_cmp_lt_u16_e64 s3, v15, v14
	v_cndmask_b32_e64 v9, v9, v13, s3
	v_cndmask_b32_e64 v7, v16, v7, s3
	v_cmp_ge_i32_e64 s3, v7, v9
	s_or_b32 s5, s3, s5
	s_andn2_b32 exec_lo, exec_lo, s5
	s_cbranch_execnz .LBB138_80
; %bb.81:
	s_or_b32 exec_lo, exec_lo, s5
.LBB138_82:
	s_or_b32 exec_lo, exec_lo, s4
	v_add_nc_u32_e32 v9, v8, v6
	v_add_nc_u32_e32 v14, v7, v3
                                        ; implicit-def: $vgpr12
	v_sub_nc_u32_e32 v7, v9, v7
	v_add_nc_u32_e32 v13, v1, v14
	v_cmp_le_i32_e64 s3, v8, v14
	v_add_nc_u32_e32 v15, v1, v7
	v_cmp_gt_i32_e64 s4, v10, v7
	ds_read_u8 v9, v13
	ds_read_u8 v11, v15
	s_waitcnt lgkmcnt(0)
	v_cmp_lt_u16_sdwa s5, v11, v9 src0_sel:BYTE_0 src1_sel:BYTE_0
	s_or_b32 s3, s3, s5
	s_and_b32 s3, s4, s3
	s_xor_b32 s4, s3, -1
	s_and_saveexec_b32 s5, s4
	s_xor_b32 s4, exec_lo, s5
; %bb.83:
	ds_read_u8 v12, v13 offset:1
                                        ; implicit-def: $vgpr15
; %bb.84:
	s_or_saveexec_b32 s4, s4
	v_mov_b32_e32 v13, v11
	s_xor_b32 exec_lo, exec_lo, s4
	s_cbranch_execz .LBB138_86
; %bb.85:
	ds_read_u8 v13, v15 offset:1
	s_waitcnt lgkmcnt(1)
	v_mov_b32_e32 v12, v9
.LBB138_86:
	s_or_b32 exec_lo, exec_lo, s4
	v_add_nc_u32_e32 v15, 1, v14
	v_add_nc_u32_e32 v17, 1, v7
	s_waitcnt lgkmcnt(0)
	v_cmp_lt_u16_sdwa s6, v13, v12 src0_sel:BYTE_0 src1_sel:BYTE_0
	v_cndmask_b32_e64 v16, v15, v14, s3
	v_cndmask_b32_e64 v7, v7, v17, s3
                                        ; implicit-def: $vgpr14
	v_cmp_ge_i32_e64 s4, v16, v8
	v_cmp_lt_i32_e64 s5, v7, v10
	s_or_b32 s4, s4, s6
	s_and_b32 s4, s5, s4
	s_xor_b32 s5, s4, -1
	s_and_saveexec_b32 s6, s5
	s_xor_b32 s5, exec_lo, s6
; %bb.87:
	v_add_nc_u32_e32 v14, v1, v16
	ds_read_u8 v14, v14 offset:1
; %bb.88:
	s_or_saveexec_b32 s5, s5
	v_mov_b32_e32 v15, v13
	s_xor_b32 exec_lo, exec_lo, s5
	s_cbranch_execz .LBB138_90
; %bb.89:
	s_waitcnt lgkmcnt(0)
	v_add_nc_u32_e32 v14, v1, v7
	ds_read_u8 v15, v14 offset:1
	v_mov_b32_e32 v14, v12
.LBB138_90:
	s_or_b32 exec_lo, exec_lo, s5
	v_add_nc_u32_e32 v17, 1, v16
	v_add_nc_u32_e32 v19, 1, v7
	s_waitcnt lgkmcnt(0)
	v_cmp_lt_u16_sdwa s7, v15, v14 src0_sel:BYTE_0 src1_sel:BYTE_0
	v_cndmask_b32_e64 v18, v17, v16, s4
	v_cndmask_b32_e64 v16, v7, v19, s4
                                        ; implicit-def: $vgpr17
	v_cmp_ge_i32_e64 s5, v18, v8
	v_cmp_lt_i32_e64 s6, v16, v10
	s_or_b32 s5, s5, s7
	s_and_b32 s5, s6, s5
	s_xor_b32 s6, s5, -1
	s_and_saveexec_b32 s7, s6
	s_xor_b32 s6, exec_lo, s7
; %bb.91:
	v_add_nc_u32_e32 v7, v1, v18
	ds_read_u8 v17, v7 offset:1
; %bb.92:
	s_or_saveexec_b32 s6, s6
	v_mov_b32_e32 v19, v15
	s_xor_b32 exec_lo, exec_lo, s6
	s_cbranch_execz .LBB138_94
; %bb.93:
	v_add_nc_u32_e32 v7, v1, v16
	s_waitcnt lgkmcnt(0)
	v_mov_b32_e32 v17, v14
	ds_read_u8 v19, v7 offset:1
.LBB138_94:
	s_or_b32 exec_lo, exec_lo, s6
	v_add_nc_u32_e32 v7, 0x80, v3
	v_add_nc_u32_e32 v20, 1, v18
	;; [unrolled: 1-line block ×3, first 2 shown]
	v_cndmask_b32_e64 v14, v14, v15, s5
	v_cndmask_b32_e64 v12, v12, v13, s4
	v_min_i32_e32 v7, v5, v7
	v_cndmask_b32_e64 v15, v20, v18, s5
	v_cndmask_b32_e64 v13, v16, v22, s5
	s_waitcnt lgkmcnt(0)
	v_cmp_lt_u16_sdwa s5, v19, v17 src0_sel:BYTE_0 src1_sel:BYTE_0
	v_cndmask_b32_e64 v11, v9, v11, s3
	v_add_nc_u32_e32 v21, 0x80, v7
	v_cmp_ge_i32_e64 s4, v15, v8
	v_cmp_lt_i32_e64 s3, v13, v10
	v_sub_nc_u32_e32 v10, v7, v3
	v_min_i32_e32 v5, v5, v21
	s_or_b32 s4, s4, s5
	s_mov_b32 s5, 0
	s_and_b32 s3, s3, s4
	s_mov_b32 s4, exec_lo
	v_sub_nc_u32_e32 v8, v5, v7
	v_cndmask_b32_e64 v13, v17, v19, s3
	; wave barrier
	ds_write_b8 v2, v11
	ds_write_b8 v2, v12 offset:1
	ds_write_b8 v2, v14 offset:2
	;; [unrolled: 1-line block ×3, first 2 shown]
	v_sub_nc_u32_e32 v9, v6, v8
	v_cmp_ge_i32_e64 s3, v6, v8
	; wave barrier
	v_cndmask_b32_e64 v8, 0, v9, s3
	v_min_i32_e32 v9, v6, v10
	v_cmpx_lt_i32_e64 v8, v9
	s_cbranch_execz .LBB138_98
; %bb.95:
	v_add_nc_u32_e32 v2, v1, v3
	v_add3_u32 v10, v1, v7, v6
	.p2align	6
.LBB138_96:                             ; =>This Inner Loop Header: Depth=1
	v_sub_nc_u32_e32 v11, v9, v8
	v_lshrrev_b32_e32 v11, 1, v11
	v_add_nc_u32_e32 v11, v11, v8
	v_add_nc_u32_e32 v12, v2, v11
	v_xad_u32 v13, v11, -1, v10
	v_add_nc_u32_e32 v14, 1, v11
	ds_read_u8 v12, v12
	ds_read_u8 v13, v13
	s_waitcnt lgkmcnt(0)
	v_cmp_lt_u16_e64 s3, v13, v12
	v_cndmask_b32_e64 v9, v9, v11, s3
	v_cndmask_b32_e64 v8, v14, v8, s3
	v_cmp_ge_i32_e64 s3, v8, v9
	s_or_b32 s5, s3, s5
	s_andn2_b32 exec_lo, exec_lo, s5
	s_cbranch_execnz .LBB138_96
; %bb.97:
	s_or_b32 exec_lo, exec_lo, s5
.LBB138_98:
	s_or_b32 exec_lo, exec_lo, s4
	v_add_nc_u32_e32 v2, v7, v6
	v_add_nc_u32_e32 v9, v8, v3
                                        ; implicit-def: $vgpr6
	v_sub_nc_u32_e32 v10, v2, v8
	v_add_nc_u32_e32 v8, v1, v9
	v_cmp_le_i32_e64 s3, v7, v9
	v_add_nc_u32_e32 v11, v1, v10
	v_cmp_gt_i32_e64 s4, v5, v10
	ds_read_u8 v2, v8
	ds_read_u8 v3, v11
	s_waitcnt lgkmcnt(0)
	v_cmp_lt_u16_sdwa s5, v3, v2 src0_sel:BYTE_0 src1_sel:BYTE_0
	s_or_b32 s3, s3, s5
	s_and_b32 s3, s4, s3
	s_xor_b32 s4, s3, -1
	s_and_saveexec_b32 s5, s4
	s_xor_b32 s4, exec_lo, s5
; %bb.99:
	ds_read_u8 v6, v8 offset:1
                                        ; implicit-def: $vgpr11
; %bb.100:
	s_or_saveexec_b32 s4, s4
	v_mov_b32_e32 v8, v3
	s_xor_b32 exec_lo, exec_lo, s4
	s_cbranch_execz .LBB138_102
; %bb.101:
	ds_read_u8 v8, v11 offset:1
	s_waitcnt lgkmcnt(1)
	v_mov_b32_e32 v6, v2
.LBB138_102:
	s_or_b32 exec_lo, exec_lo, s4
	v_add_nc_u32_e32 v11, 1, v9
	v_add_nc_u32_e32 v13, 1, v10
	s_waitcnt lgkmcnt(0)
	v_cmp_lt_u16_sdwa s6, v8, v6 src0_sel:BYTE_0 src1_sel:BYTE_0
	v_cndmask_b32_e64 v12, v11, v9, s3
	v_cndmask_b32_e64 v11, v10, v13, s3
                                        ; implicit-def: $vgpr9
	v_cmp_ge_i32_e64 s4, v12, v7
	v_cmp_lt_i32_e64 s5, v11, v5
	s_or_b32 s4, s4, s6
	s_and_b32 s4, s5, s4
	s_xor_b32 s5, s4, -1
	s_and_saveexec_b32 s6, s5
	s_xor_b32 s5, exec_lo, s6
; %bb.103:
	v_add_nc_u32_e32 v9, v1, v12
	ds_read_u8 v9, v9 offset:1
; %bb.104:
	s_or_saveexec_b32 s5, s5
	v_mov_b32_e32 v10, v8
	s_xor_b32 exec_lo, exec_lo, s5
	s_cbranch_execz .LBB138_106
; %bb.105:
	s_waitcnt lgkmcnt(0)
	v_add_nc_u32_e32 v9, v1, v11
	ds_read_u8 v10, v9 offset:1
	v_mov_b32_e32 v9, v6
.LBB138_106:
	s_or_b32 exec_lo, exec_lo, s5
	v_add_nc_u32_e32 v13, 1, v12
	v_add_nc_u32_e32 v14, 1, v11
	s_waitcnt lgkmcnt(0)
	v_cmp_lt_u16_sdwa s7, v10, v9 src0_sel:BYTE_0 src1_sel:BYTE_0
	v_cndmask_b32_e64 v15, v13, v12, s4
	v_cndmask_b32_e64 v11, v11, v14, s4
                                        ; implicit-def: $vgpr12
                                        ; implicit-def: $vgpr13
	v_cmp_ge_i32_e64 s5, v15, v7
	v_cmp_lt_i32_e64 s6, v11, v5
	s_or_b32 s5, s5, s7
	s_and_b32 s5, s6, s5
	s_xor_b32 s6, s5, -1
	s_and_saveexec_b32 s7, s6
	s_xor_b32 s6, exec_lo, s7
; %bb.107:
	v_add_nc_u32_e32 v1, v1, v15
	v_add_nc_u32_e32 v13, 1, v15
                                        ; implicit-def: $vgpr15
	ds_read_u8 v12, v1 offset:1
                                        ; implicit-def: $vgpr1
; %bb.108:
	s_or_saveexec_b32 s6, s6
	v_mov_b32_e32 v14, v10
	s_xor_b32 exec_lo, exec_lo, s6
	s_cbranch_execz .LBB138_110
; %bb.109:
	v_add_nc_u32_e32 v1, v1, v11
	v_add_nc_u32_e32 v11, 1, v11
	v_mov_b32_e32 v13, v15
	s_waitcnt lgkmcnt(0)
	v_mov_b32_e32 v12, v9
	ds_read_u8 v14, v1 offset:1
.LBB138_110:
	s_or_b32 exec_lo, exec_lo, s6
	v_add_co_u32 v0, s6, s10, v0
	v_add_co_ci_u32_e64 v1, null, s11, 0, s6
	v_add_co_u32 v0, s6, v0, v4
	v_add_co_ci_u32_e64 v1, null, 0, v1, s6
	s_and_saveexec_b32 s6, vcc_lo
	s_cbranch_execnz .LBB138_115
; %bb.111:
	s_or_b32 exec_lo, exec_lo, s6
	s_and_saveexec_b32 s3, s0
	s_cbranch_execnz .LBB138_116
.LBB138_112:
	s_or_b32 exec_lo, exec_lo, s3
	s_and_saveexec_b32 s0, s1
	s_cbranch_execnz .LBB138_117
.LBB138_113:
	s_or_b32 exec_lo, exec_lo, s0
	s_and_saveexec_b32 s0, s2
	s_cbranch_execnz .LBB138_118
.LBB138_114:
	s_endpgm
.LBB138_115:
	v_cndmask_b32_e64 v2, v2, v3, s3
	global_store_byte v[0:1], v2, off
	s_or_b32 exec_lo, exec_lo, s6
	s_and_saveexec_b32 s3, s0
	s_cbranch_execz .LBB138_112
.LBB138_116:
	v_cndmask_b32_e64 v2, v6, v8, s4
	global_store_byte v[0:1], v2, off offset:1
	s_or_b32 exec_lo, exec_lo, s3
	s_and_saveexec_b32 s0, s1
	s_cbranch_execz .LBB138_113
.LBB138_117:
	v_cndmask_b32_e64 v2, v9, v10, s5
	global_store_byte v[0:1], v2, off offset:2
	s_or_b32 exec_lo, exec_lo, s0
	s_and_saveexec_b32 s0, s2
	s_cbranch_execz .LBB138_114
.LBB138_118:
	v_cmp_ge_i32_e32 vcc_lo, v13, v7
	s_waitcnt lgkmcnt(0)
	v_cmp_lt_u16_sdwa s1, v14, v12 src0_sel:BYTE_0 src1_sel:BYTE_0
	v_cmp_lt_i32_e64 s0, v11, v5
	s_or_b32 s1, vcc_lo, s1
	s_and_b32 vcc_lo, s0, s1
	v_cndmask_b32_e32 v2, v12, v14, vcc_lo
	global_store_byte v[0:1], v2, off offset:3
	s_endpgm
	.section	.rodata,"a",@progbits
	.p2align	6, 0x0
	.amdhsa_kernel _Z19sort_keys_segmentedILj256ELj64ELj4EhN10test_utils4lessEEvPKT2_PS2_PKjT3_
		.amdhsa_group_segment_fixed_size 1028
		.amdhsa_private_segment_fixed_size 0
		.amdhsa_kernarg_size 28
		.amdhsa_user_sgpr_count 6
		.amdhsa_user_sgpr_private_segment_buffer 1
		.amdhsa_user_sgpr_dispatch_ptr 0
		.amdhsa_user_sgpr_queue_ptr 0
		.amdhsa_user_sgpr_kernarg_segment_ptr 1
		.amdhsa_user_sgpr_dispatch_id 0
		.amdhsa_user_sgpr_flat_scratch_init 0
		.amdhsa_user_sgpr_private_segment_size 0
		.amdhsa_wavefront_size32 1
		.amdhsa_uses_dynamic_stack 0
		.amdhsa_system_sgpr_private_segment_wavefront_offset 0
		.amdhsa_system_sgpr_workgroup_id_x 1
		.amdhsa_system_sgpr_workgroup_id_y 0
		.amdhsa_system_sgpr_workgroup_id_z 0
		.amdhsa_system_sgpr_workgroup_info 0
		.amdhsa_system_vgpr_workitem_id 0
		.amdhsa_next_free_vgpr 23
		.amdhsa_next_free_sgpr 12
		.amdhsa_reserve_vcc 1
		.amdhsa_reserve_flat_scratch 0
		.amdhsa_float_round_mode_32 0
		.amdhsa_float_round_mode_16_64 0
		.amdhsa_float_denorm_mode_32 3
		.amdhsa_float_denorm_mode_16_64 3
		.amdhsa_dx10_clamp 1
		.amdhsa_ieee_mode 1
		.amdhsa_fp16_overflow 0
		.amdhsa_workgroup_processor_mode 1
		.amdhsa_memory_ordered 1
		.amdhsa_forward_progress 1
		.amdhsa_shared_vgpr_count 0
		.amdhsa_exception_fp_ieee_invalid_op 0
		.amdhsa_exception_fp_denorm_src 0
		.amdhsa_exception_fp_ieee_div_zero 0
		.amdhsa_exception_fp_ieee_overflow 0
		.amdhsa_exception_fp_ieee_underflow 0
		.amdhsa_exception_fp_ieee_inexact 0
		.amdhsa_exception_int_div_zero 0
	.end_amdhsa_kernel
	.section	.text._Z19sort_keys_segmentedILj256ELj64ELj4EhN10test_utils4lessEEvPKT2_PS2_PKjT3_,"axG",@progbits,_Z19sort_keys_segmentedILj256ELj64ELj4EhN10test_utils4lessEEvPKT2_PS2_PKjT3_,comdat
.Lfunc_end138:
	.size	_Z19sort_keys_segmentedILj256ELj64ELj4EhN10test_utils4lessEEvPKT2_PS2_PKjT3_, .Lfunc_end138-_Z19sort_keys_segmentedILj256ELj64ELj4EhN10test_utils4lessEEvPKT2_PS2_PKjT3_
                                        ; -- End function
	.set _Z19sort_keys_segmentedILj256ELj64ELj4EhN10test_utils4lessEEvPKT2_PS2_PKjT3_.num_vgpr, 23
	.set _Z19sort_keys_segmentedILj256ELj64ELj4EhN10test_utils4lessEEvPKT2_PS2_PKjT3_.num_agpr, 0
	.set _Z19sort_keys_segmentedILj256ELj64ELj4EhN10test_utils4lessEEvPKT2_PS2_PKjT3_.numbered_sgpr, 12
	.set _Z19sort_keys_segmentedILj256ELj64ELj4EhN10test_utils4lessEEvPKT2_PS2_PKjT3_.num_named_barrier, 0
	.set _Z19sort_keys_segmentedILj256ELj64ELj4EhN10test_utils4lessEEvPKT2_PS2_PKjT3_.private_seg_size, 0
	.set _Z19sort_keys_segmentedILj256ELj64ELj4EhN10test_utils4lessEEvPKT2_PS2_PKjT3_.uses_vcc, 1
	.set _Z19sort_keys_segmentedILj256ELj64ELj4EhN10test_utils4lessEEvPKT2_PS2_PKjT3_.uses_flat_scratch, 0
	.set _Z19sort_keys_segmentedILj256ELj64ELj4EhN10test_utils4lessEEvPKT2_PS2_PKjT3_.has_dyn_sized_stack, 0
	.set _Z19sort_keys_segmentedILj256ELj64ELj4EhN10test_utils4lessEEvPKT2_PS2_PKjT3_.has_recursion, 0
	.set _Z19sort_keys_segmentedILj256ELj64ELj4EhN10test_utils4lessEEvPKT2_PS2_PKjT3_.has_indirect_call, 0
	.section	.AMDGPU.csdata,"",@progbits
; Kernel info:
; codeLenInByte = 5180
; TotalNumSgprs: 14
; NumVgprs: 23
; ScratchSize: 0
; MemoryBound: 0
; FloatMode: 240
; IeeeMode: 1
; LDSByteSize: 1028 bytes/workgroup (compile time only)
; SGPRBlocks: 0
; VGPRBlocks: 2
; NumSGPRsForWavesPerEU: 14
; NumVGPRsForWavesPerEU: 23
; Occupancy: 16
; WaveLimiterHint : 0
; COMPUTE_PGM_RSRC2:SCRATCH_EN: 0
; COMPUTE_PGM_RSRC2:USER_SGPR: 6
; COMPUTE_PGM_RSRC2:TRAP_HANDLER: 0
; COMPUTE_PGM_RSRC2:TGID_X_EN: 1
; COMPUTE_PGM_RSRC2:TGID_Y_EN: 0
; COMPUTE_PGM_RSRC2:TGID_Z_EN: 0
; COMPUTE_PGM_RSRC2:TIDIG_COMP_CNT: 0
	.section	.text._Z20sort_pairs_segmentedILj256ELj64ELj4EhN10test_utils4lessEEvPKT2_PS2_PKjT3_,"axG",@progbits,_Z20sort_pairs_segmentedILj256ELj64ELj4EhN10test_utils4lessEEvPKT2_PS2_PKjT3_,comdat
	.protected	_Z20sort_pairs_segmentedILj256ELj64ELj4EhN10test_utils4lessEEvPKT2_PS2_PKjT3_ ; -- Begin function _Z20sort_pairs_segmentedILj256ELj64ELj4EhN10test_utils4lessEEvPKT2_PS2_PKjT3_
	.globl	_Z20sort_pairs_segmentedILj256ELj64ELj4EhN10test_utils4lessEEvPKT2_PS2_PKjT3_
	.p2align	8
	.type	_Z20sort_pairs_segmentedILj256ELj64ELj4EhN10test_utils4lessEEvPKT2_PS2_PKjT3_,@function
_Z20sort_pairs_segmentedILj256ELj64ELj4EhN10test_utils4lessEEvPKT2_PS2_PKjT3_: ; @_Z20sort_pairs_segmentedILj256ELj64ELj4EhN10test_utils4lessEEvPKT2_PS2_PKjT3_
; %bb.0:
	s_clause 0x1
	s_load_dwordx2 s[0:1], s[4:5], 0x10
	s_load_dwordx4 s[8:11], s[4:5], 0x0
	v_lshrrev_b32_e32 v6, 6, v0
	v_mov_b32_e32 v1, 0
	v_mov_b32_e32 v8, 0
	;; [unrolled: 1-line block ×3, first 2 shown]
	v_lshl_or_b32 v0, s6, 2, v6
	v_lshlrev_b64 v[2:3], 2, v[0:1]
	v_lshlrev_b32_e32 v0, 8, v0
	s_waitcnt lgkmcnt(0)
	v_add_co_u32 v2, vcc_lo, s0, v2
	v_add_co_ci_u32_e64 v3, null, s1, v3, vcc_lo
	global_load_dword v5, v[2:3], off
	v_mbcnt_lo_u32_b32 v2, -1, 0
	v_lshlrev_b32_e32 v4, 2, v2
	v_add_co_u32 v2, s0, s8, v0
	v_add_co_ci_u32_e64 v3, null, s9, 0, s0
	v_add_co_u32 v2, vcc_lo, v2, v4
	v_add_co_ci_u32_e64 v3, null, 0, v3, vcc_lo
	s_waitcnt vmcnt(0)
	v_cmp_lt_u32_e64 s0, v4, v5
	s_and_saveexec_b32 s1, s0
	s_cbranch_execz .LBB139_2
; %bb.1:
	global_load_ubyte v8, v[2:3], off
	v_mov_b32_e32 v7, 0
.LBB139_2:
	s_or_b32 exec_lo, exec_lo, s1
	v_or_b32_e32 v9, 1, v4
	v_mov_b32_e32 v11, v1
	v_cmp_lt_u32_e64 s1, v9, v5
	s_and_saveexec_b32 s2, s1
	s_cbranch_execz .LBB139_4
; %bb.3:
	global_load_ubyte v11, v[2:3], off offset:1
.LBB139_4:
	s_or_b32 exec_lo, exec_lo, s2
	v_or_b32_e32 v10, 2, v4
	v_cmp_lt_u32_e64 s2, v10, v5
	s_and_saveexec_b32 s3, s2
	s_cbranch_execz .LBB139_6
; %bb.5:
	global_load_ubyte v1, v[2:3], off offset:2
.LBB139_6:
	s_or_b32 exec_lo, exec_lo, s3
	v_or_b32_e32 v12, 3, v4
	v_cmp_lt_u32_e64 s3, v12, v5
	s_and_saveexec_b32 s4, s3
	s_cbranch_execz .LBB139_8
; %bb.7:
	global_load_ubyte v7, v[2:3], off offset:3
.LBB139_8:
	s_or_b32 exec_lo, exec_lo, s4
	s_waitcnt vmcnt(0)
	v_add_nc_u16 v2, v8, 1
	v_mov_b32_e32 v3, 0xffff
	v_add_nc_u16 v13, v1, 1
	v_perm_b32 v1, v1, v7, 0xc0c0004
	v_cmp_lt_i32_e32 vcc_lo, v9, v5
	v_lshlrev_b16 v7, 8, v7
	v_and_b32_sdwa v2, v3, v2 dst_sel:DWORD dst_unused:UNUSED_PAD src0_sel:DWORD src1_sel:BYTE_0
	v_lshlrev_b16 v3, 8, v11
	v_lshlrev_b32_e32 v1, 16, v1
	v_cmp_lt_i32_e64 s5, v12, v5
	s_mov_b32 s4, exec_lo
	v_cndmask_b32_e64 v2, 0, v2, s0
	v_or_b32_e32 v3, v3, v2
	v_add_nc_u16 v3, 0x100, v3
	v_and_b32_e32 v3, 0xffff, v3
	v_cndmask_b32_e64 v2, v2, v3, s1
	v_perm_b32 v3, v8, v11, 0xc0c0004
	v_or_b32_e32 v8, 0xffffff00, v8
	v_perm_b32 v11, v13, v2, 0xc0c0304
	v_or_b32_e32 v3, v3, v1
	v_or_b32_sdwa v1, v8, v1 dst_sel:DWORD dst_unused:UNUSED_PAD src0_sel:WORD_0 src1_sel:DWORD
	v_mov_b32_e32 v8, 0xff
	v_lshl_or_b32 v11, v11, 16, v2
	v_cndmask_b32_e32 v1, v1, v3, vcc_lo
	v_cmp_lt_i32_e32 vcc_lo, v10, v5
	v_cndmask_b32_e64 v2, v2, v11, s2
	v_and_b32_sdwa v9, v2, v8 dst_sel:DWORD dst_unused:UNUSED_PAD src0_sel:WORD_1 src1_sel:DWORD
	v_or_b32_sdwa v8, v1, v8 dst_sel:WORD_1 dst_unused:UNUSED_PAD src0_sel:WORD_1 src1_sel:DWORD
	v_or_b32_e32 v7, v7, v9
	v_and_or_b32 v1, 0xffff, v1, v8
                                        ; implicit-def: $vgpr8
	v_add_nc_u16 v7, 0x100, v7
	v_cndmask_b32_e32 v1, v1, v3, vcc_lo
	v_lshlrev_b32_e32 v3, 16, v7
	v_lshrrev_b32_e32 v10, 24, v1
	v_lshrrev_b32_e32 v9, 16, v1
	;; [unrolled: 1-line block ×3, first 2 shown]
	v_and_or_b32 v3, 0xffff, v2, v3
	v_cmpx_ge_i32_e64 v12, v5
; %bb.9:
	v_mov_b32_e32 v8, 0xffffff00
	v_cmp_lt_i32_e32 vcc_lo, v4, v5
	v_mov_b32_e32 v10, 0xff
	s_andn2_b32 s5, s5, exec_lo
	v_or_b32_sdwa v8, v9, v8 dst_sel:WORD_1 dst_unused:UNUSED_PAD src0_sel:DWORD src1_sel:DWORD
	s_and_b32 s6, vcc_lo, exec_lo
	s_or_b32 s5, s5, s6
	v_and_or_b32 v8, 0xffff, v1, v8
; %bb.10:
	s_or_b32 exec_lo, exec_lo, s4
	v_cndmask_b32_e64 v3, v2, v3, s3
	s_and_saveexec_b32 s4, s5
	s_cbranch_execz .LBB139_14
; %bb.11:
	v_perm_b32 v2, v9, v10, 0xc0c0004
	v_perm_b32 v8, v7, v1, 0xc0c0004
	;; [unrolled: 1-line block ×4, first 2 shown]
	v_cmp_lt_u16_sdwa vcc_lo, v7, v1 src0_sel:BYTE_0 src1_sel:BYTE_0
	v_lshlrev_b32_e32 v2, 16, v2
	v_cndmask_b32_e32 v1, v3, v10, vcc_lo
	v_or_b32_e32 v8, v8, v2
	v_or_b32_e32 v2, v9, v2
	v_mov_b32_e32 v10, 0xffffff00
	v_lshrrev_b32_e32 v3, 16, v1
	v_cndmask_b32_e32 v2, v2, v8, vcc_lo
	v_perm_b32 v3, 0, v3, 0xc0c0001
	v_lshrrev_b32_e32 v7, 16, v2
	v_lshrrev_b32_e32 v9, 24, v2
	v_lshlrev_b32_e32 v3, 16, v3
	v_perm_b32 v8, 0, v7, 0xc0c0001
	v_and_b32_e32 v7, 0xff, v7
	v_and_or_b32 v3, 0xffff, v1, v3
	v_lshlrev_b32_e32 v8, 16, v8
	v_cmp_lt_u16_e32 vcc_lo, v9, v7
	v_and_or_b32 v8, 0xffff, v2, v8
	v_cndmask_b32_e32 v1, v1, v3, vcc_lo
	v_min_u16 v3, v9, v7
	v_cndmask_b32_e32 v2, v2, v8, vcc_lo
	v_lshlrev_b16 v7, 8, v3
	v_and_b32_sdwa v8, v2, v10 dst_sel:DWORD dst_unused:UNUSED_PAD src0_sel:WORD_1 src1_sel:DWORD
	v_lshrrev_b32_e32 v9, 8, v2
	v_or_b32_sdwa v7, v2, v7 dst_sel:DWORD dst_unused:UNUSED_PAD src0_sel:BYTE_0 src1_sel:DWORD
	v_perm_b32 v10, v1, v1, 0x7050604
	v_or_b32_sdwa v8, v2, v8 dst_sel:WORD_1 dst_unused:UNUSED_PAD src0_sel:BYTE_1 src1_sel:DWORD
	v_and_b32_e32 v9, 0xff, v9
	v_or_b32_sdwa v7, v7, v8 dst_sel:DWORD dst_unused:UNUSED_PAD src0_sel:WORD_0 src1_sel:DWORD
	v_cmp_lt_u16_e32 vcc_lo, v3, v9
	v_min_u16 v3, v3, v9
	v_cndmask_b32_e32 v2, v2, v7, vcc_lo
	v_cndmask_b32_e32 v1, v1, v10, vcc_lo
	v_lshlrev_b16 v7, 8, v2
	v_perm_b32 v8, 0, v1, 0xc0c0001
	v_cmp_lt_u16_sdwa vcc_lo, v3, v2 src0_sel:DWORD src1_sel:BYTE_0
	v_or_b32_e32 v7, v3, v7
	v_and_or_b32 v8, 0xffff0000, v1, v8
	v_and_b32_e32 v7, 0xffff, v7
	v_cndmask_b32_e32 v1, v1, v8, vcc_lo
	v_and_or_b32 v7, 0xffff0000, v2, v7
	v_lshrrev_b32_e32 v3, 16, v1
	v_cndmask_b32_e32 v2, v2, v7, vcc_lo
	v_perm_b32 v3, 0, v3, 0xc0c0001
	v_lshrrev_b32_e32 v7, 16, v2
	v_lshrrev_b32_e32 v9, 24, v2
	v_lshlrev_b32_e32 v3, 16, v3
	v_perm_b32 v8, 0, v7, 0xc0c0001
	v_and_b32_e32 v7, 0xff, v7
	v_and_or_b32 v3, 0xffff, v1, v3
	v_lshlrev_b32_e32 v8, 16, v8
	v_cmp_lt_u16_e32 vcc_lo, v9, v7
	v_and_or_b32 v8, 0xffff, v2, v8
	v_cndmask_b32_e32 v3, v1, v3, vcc_lo
	v_min_u16 v1, v9, v7
	v_cndmask_b32_e32 v8, v2, v8, vcc_lo
	v_lshrrev_b32_e32 v2, 8, v8
	v_cmp_lt_u16_sdwa s6, v1, v2 src0_sel:DWORD src1_sel:BYTE_0
	s_and_saveexec_b32 s5, s6
; %bb.12:
	v_perm_b32 v8, v8, v1, 0x7050004
	v_perm_b32 v3, v3, v3, 0x7050604
; %bb.13:
	s_or_b32 exec_lo, exec_lo, s5
.LBB139_14:
	s_or_b32 exec_lo, exec_lo, s4
	v_and_b32_e32 v1, 0x78, v4
	v_and_b32_e32 v10, 4, v4
	v_mad_u32_u24 v13, 0x101, v6, v4
	s_mov_b32 s5, 0
	s_mov_b32 s4, exec_lo
	v_min_i32_e32 v9, v5, v1
	v_min_i32_e32 v10, v5, v10
	; wave barrier
	ds_write_b32 v13, v8
	v_add_nc_u32_e32 v1, 4, v9
	; wave barrier
	v_min_i32_e32 v2, v5, v1
	v_add_nc_u32_e32 v1, 4, v2
	v_sub_nc_u32_e32 v12, v2, v9
	v_min_i32_e32 v7, v5, v1
	v_min_i32_e32 v12, v10, v12
	v_sub_nc_u32_e32 v1, v7, v2
	v_sub_nc_u32_e32 v11, v10, v1
	v_cmp_ge_i32_e32 vcc_lo, v10, v1
	v_mul_u32_u24_e32 v1, 0x101, v6
	v_cndmask_b32_e32 v11, 0, v11, vcc_lo
	v_cmpx_lt_i32_e64 v11, v12
	s_cbranch_execz .LBB139_18
; %bb.15:
	v_add_nc_u32_e32 v6, v1, v9
	v_add3_u32 v8, v1, v2, v10
	.p2align	6
.LBB139_16:                             ; =>This Inner Loop Header: Depth=1
	v_sub_nc_u32_e32 v13, v12, v11
	v_lshrrev_b32_e32 v13, 1, v13
	v_add_nc_u32_e32 v13, v13, v11
	v_add_nc_u32_e32 v14, v6, v13
	v_xad_u32 v15, v13, -1, v8
	v_add_nc_u32_e32 v16, 1, v13
	ds_read_u8 v14, v14
	ds_read_u8 v15, v15
	s_waitcnt lgkmcnt(0)
	v_cmp_lt_u16_e32 vcc_lo, v15, v14
	v_cndmask_b32_e32 v12, v12, v13, vcc_lo
	v_cndmask_b32_e32 v11, v16, v11, vcc_lo
	v_cmp_ge_i32_e32 vcc_lo, v11, v12
	s_or_b32 s5, vcc_lo, s5
	s_andn2_b32 exec_lo, exec_lo, s5
	s_cbranch_execnz .LBB139_16
; %bb.17:
	s_or_b32 exec_lo, exec_lo, s5
.LBB139_18:
	s_or_b32 exec_lo, exec_lo, s4
	v_add_nc_u32_e32 v8, v2, v10
	v_add_nc_u32_e32 v6, v11, v9
                                        ; implicit-def: $vgpr13
	v_sub_nc_u32_e32 v8, v8, v11
	v_add_nc_u32_e32 v10, v1, v6
	v_cmp_le_i32_e32 vcc_lo, v2, v6
	v_add_nc_u32_e32 v9, v1, v8
	v_cmp_gt_i32_e64 s4, v7, v8
	ds_read_u8 v11, v10
	ds_read_u8 v12, v9
	s_waitcnt lgkmcnt(0)
	v_cmp_lt_u16_sdwa s5, v12, v11 src0_sel:BYTE_0 src1_sel:BYTE_0
	s_or_b32 s5, vcc_lo, s5
	s_and_b32 vcc_lo, s4, s5
	s_xor_b32 s4, vcc_lo, -1
	s_and_saveexec_b32 s5, s4
	s_xor_b32 s4, exec_lo, s5
; %bb.19:
	ds_read_u8 v13, v10 offset:1
                                        ; implicit-def: $vgpr9
; %bb.20:
	s_or_saveexec_b32 s4, s4
	v_mov_b32_e32 v14, v12
	s_xor_b32 exec_lo, exec_lo, s4
	s_cbranch_execz .LBB139_22
; %bb.21:
	ds_read_u8 v14, v9 offset:1
	s_waitcnt lgkmcnt(1)
	v_mov_b32_e32 v13, v11
.LBB139_22:
	s_or_b32 exec_lo, exec_lo, s4
	v_add_nc_u32_e32 v9, 1, v6
	v_add_nc_u32_e32 v10, 1, v8
	s_waitcnt lgkmcnt(0)
	v_cmp_lt_u16_sdwa s6, v14, v13 src0_sel:BYTE_0 src1_sel:BYTE_0
                                        ; implicit-def: $vgpr15
	v_cndmask_b32_e32 v9, v9, v6, vcc_lo
	v_cndmask_b32_e32 v10, v8, v10, vcc_lo
	v_cmp_ge_i32_e64 s4, v9, v2
	v_cmp_lt_i32_e64 s5, v10, v7
	s_or_b32 s4, s4, s6
	s_and_b32 s4, s5, s4
	s_xor_b32 s5, s4, -1
	s_and_saveexec_b32 s6, s5
	s_xor_b32 s5, exec_lo, s6
; %bb.23:
	v_add_nc_u32_e32 v15, v1, v9
	ds_read_u8 v15, v15 offset:1
; %bb.24:
	s_or_saveexec_b32 s5, s5
	v_mov_b32_e32 v16, v14
	s_xor_b32 exec_lo, exec_lo, s5
	s_cbranch_execz .LBB139_26
; %bb.25:
	s_waitcnt lgkmcnt(0)
	v_add_nc_u32_e32 v15, v1, v10
	ds_read_u8 v16, v15 offset:1
	v_mov_b32_e32 v15, v13
.LBB139_26:
	s_or_b32 exec_lo, exec_lo, s5
	v_add_nc_u32_e32 v17, 1, v9
	v_add_nc_u32_e32 v18, 1, v10
	s_waitcnt lgkmcnt(0)
	v_cmp_lt_u16_sdwa s7, v16, v15 src0_sel:BYTE_0 src1_sel:BYTE_0
                                        ; implicit-def: $vgpr19
	v_cndmask_b32_e64 v17, v17, v9, s4
	v_cndmask_b32_e64 v18, v10, v18, s4
	v_cmp_ge_i32_e64 s5, v17, v2
	v_cmp_lt_i32_e64 s6, v18, v7
	s_or_b32 s5, s5, s7
	s_and_b32 s5, s6, s5
	s_xor_b32 s6, s5, -1
	s_and_saveexec_b32 s7, s6
	s_xor_b32 s6, exec_lo, s7
; %bb.27:
	v_add_nc_u32_e32 v19, v1, v17
	ds_read_u8 v19, v19 offset:1
; %bb.28:
	s_or_saveexec_b32 s6, s6
	v_mov_b32_e32 v20, v16
	s_xor_b32 exec_lo, exec_lo, s6
	s_cbranch_execz .LBB139_30
; %bb.29:
	s_waitcnt lgkmcnt(0)
	v_add_nc_u32_e32 v19, v1, v18
	ds_read_u8 v20, v19 offset:1
	v_mov_b32_e32 v19, v15
.LBB139_30:
	s_or_b32 exec_lo, exec_lo, s6
	v_add_nc_u32_e32 v21, 1, v17
	v_add_nc_u32_e32 v23, 1, v18
	v_and_b32_e32 v22, 0x70, v4
	v_cndmask_b32_e64 v9, v9, v10, s4
	v_cndmask_b32_e64 v24, v17, v18, s5
	;; [unrolled: 1-line block ×4, first 2 shown]
	v_min_i32_e32 v17, v5, v22
	s_waitcnt lgkmcnt(0)
	v_cmp_lt_u16_sdwa s8, v20, v19 src0_sel:BYTE_0 src1_sel:BYTE_0
	v_cndmask_b32_e32 v8, v6, v8, vcc_lo
	v_cmp_ge_i32_e64 s6, v10, v2
	v_cmp_lt_i32_e64 s7, v18, v7
	v_add_nc_u32_e32 v6, 8, v17
	v_add_nc_u32_e32 v2, v1, v4
	;; [unrolled: 1-line block ×3, first 2 shown]
	s_or_b32 s6, s6, s8
	v_add_nc_u32_e32 v9, v1, v9
	s_and_b32 s6, s7, s6
	v_min_i32_e32 v6, v5, v6
	v_cndmask_b32_e64 v7, v10, v18, s6
	v_and_b32_e32 v10, 12, v4
	; wave barrier
	v_cndmask_b32_e64 v19, v19, v20, s6
	ds_write_b32 v2, v3
	v_add_nc_u32_e32 v3, 8, v6
	v_add_nc_u32_e32 v20, v1, v24
	v_add_nc_u32_e32 v21, v1, v7
	; wave barrier
	v_min_i32_e32 v18, v5, v10
	ds_read_u8 v7, v8
	ds_read_u8 v8, v9
	;; [unrolled: 1-line block ×4, first 2 shown]
	v_min_i32_e32 v3, v5, v3
	v_cndmask_b32_e64 v15, v15, v16, s5
	v_cndmask_b32_e64 v13, v13, v14, s4
	v_sub_nc_u32_e32 v16, v6, v17
	v_cndmask_b32_e32 v20, v11, v12, vcc_lo
	v_sub_nc_u32_e32 v22, v3, v6
	s_mov_b32 s5, 0
	s_mov_b32 s4, exec_lo
	v_min_i32_e32 v12, v18, v16
	v_sub_nc_u32_e32 v14, v18, v22
	v_cmp_ge_i32_e32 vcc_lo, v18, v22
	; wave barrier
	ds_write_b8 v2, v20
	ds_write_b8 v2, v13 offset:1
	ds_write_b8 v2, v15 offset:2
	;; [unrolled: 1-line block ×3, first 2 shown]
	; wave barrier
	v_cndmask_b32_e32 v11, 0, v14, vcc_lo
	v_cmpx_lt_i32_e64 v11, v12
	s_cbranch_execz .LBB139_34
; %bb.31:
	v_add_nc_u32_e32 v13, v1, v17
	v_add3_u32 v14, v1, v6, v18
	.p2align	6
.LBB139_32:                             ; =>This Inner Loop Header: Depth=1
	v_sub_nc_u32_e32 v15, v12, v11
	v_lshrrev_b32_e32 v15, 1, v15
	v_add_nc_u32_e32 v15, v15, v11
	v_add_nc_u32_e32 v16, v13, v15
	v_xad_u32 v19, v15, -1, v14
	v_add_nc_u32_e32 v20, 1, v15
	ds_read_u8 v16, v16
	ds_read_u8 v19, v19
	s_waitcnt lgkmcnt(0)
	v_cmp_lt_u16_e32 vcc_lo, v19, v16
	v_cndmask_b32_e32 v12, v12, v15, vcc_lo
	v_cndmask_b32_e32 v11, v20, v11, vcc_lo
	v_cmp_ge_i32_e32 vcc_lo, v11, v12
	s_or_b32 s5, vcc_lo, s5
	s_andn2_b32 exec_lo, exec_lo, s5
	s_cbranch_execnz .LBB139_32
; %bb.33:
	s_or_b32 exec_lo, exec_lo, s5
.LBB139_34:
	s_or_b32 exec_lo, exec_lo, s4
	v_add_nc_u32_e32 v12, v6, v18
	v_add_nc_u32_e32 v15, v11, v17
                                        ; implicit-def: $vgpr13
	v_sub_nc_u32_e32 v16, v12, v11
	v_add_nc_u32_e32 v14, v1, v15
	v_cmp_le_i32_e32 vcc_lo, v6, v15
	v_add_nc_u32_e32 v17, v1, v16
	v_cmp_gt_i32_e64 s4, v3, v16
	ds_read_u8 v11, v14
	ds_read_u8 v12, v17
	s_waitcnt lgkmcnt(0)
	v_cmp_lt_u16_sdwa s5, v12, v11 src0_sel:BYTE_0 src1_sel:BYTE_0
	s_or_b32 s5, vcc_lo, s5
	s_and_b32 vcc_lo, s4, s5
	s_xor_b32 s4, vcc_lo, -1
	s_and_saveexec_b32 s5, s4
	s_xor_b32 s4, exec_lo, s5
; %bb.35:
	ds_read_u8 v13, v14 offset:1
                                        ; implicit-def: $vgpr17
; %bb.36:
	s_or_saveexec_b32 s4, s4
	v_mov_b32_e32 v14, v12
	s_xor_b32 exec_lo, exec_lo, s4
	s_cbranch_execz .LBB139_38
; %bb.37:
	ds_read_u8 v14, v17 offset:1
	s_waitcnt lgkmcnt(1)
	v_mov_b32_e32 v13, v11
.LBB139_38:
	s_or_b32 exec_lo, exec_lo, s4
	v_add_nc_u32_e32 v17, 1, v15
	v_add_nc_u32_e32 v18, 1, v16
	s_waitcnt lgkmcnt(0)
	v_cmp_lt_u16_sdwa s6, v14, v13 src0_sel:BYTE_0 src1_sel:BYTE_0
	v_cndmask_b32_e32 v19, v17, v15, vcc_lo
	v_cndmask_b32_e32 v20, v16, v18, vcc_lo
                                        ; implicit-def: $vgpr17
	v_cmp_ge_i32_e64 s4, v19, v6
	v_cmp_lt_i32_e64 s5, v20, v3
	s_or_b32 s4, s4, s6
	s_and_b32 s4, s5, s4
	s_xor_b32 s5, s4, -1
	s_and_saveexec_b32 s6, s5
	s_xor_b32 s5, exec_lo, s6
; %bb.39:
	v_add_nc_u32_e32 v17, v1, v19
	ds_read_u8 v17, v17 offset:1
; %bb.40:
	s_or_saveexec_b32 s5, s5
	v_mov_b32_e32 v18, v14
	s_xor_b32 exec_lo, exec_lo, s5
	s_cbranch_execz .LBB139_42
; %bb.41:
	s_waitcnt lgkmcnt(0)
	v_add_nc_u32_e32 v17, v1, v20
	ds_read_u8 v18, v17 offset:1
	v_mov_b32_e32 v17, v13
.LBB139_42:
	s_or_b32 exec_lo, exec_lo, s5
	v_add_nc_u32_e32 v21, 1, v19
	v_add_nc_u32_e32 v22, 1, v20
	s_waitcnt lgkmcnt(0)
	v_cmp_lt_u16_sdwa s7, v18, v17 src0_sel:BYTE_0 src1_sel:BYTE_0
	v_cndmask_b32_e64 v23, v21, v19, s4
	v_cndmask_b32_e64 v21, v20, v22, s4
                                        ; implicit-def: $vgpr22
	v_cmp_ge_i32_e64 s5, v23, v6
	v_cmp_lt_i32_e64 s6, v21, v3
	s_or_b32 s5, s5, s7
	s_and_b32 s5, s6, s5
	s_xor_b32 s6, s5, -1
	s_and_saveexec_b32 s7, s6
	s_xor_b32 s6, exec_lo, s7
; %bb.43:
	v_add_nc_u32_e32 v22, v1, v23
	ds_read_u8 v22, v22 offset:1
; %bb.44:
	s_or_saveexec_b32 s6, s6
	v_mov_b32_e32 v24, v18
	s_xor_b32 exec_lo, exec_lo, s6
	s_cbranch_execz .LBB139_46
; %bb.45:
	s_waitcnt lgkmcnt(0)
	v_add_nc_u32_e32 v22, v1, v21
	ds_read_u8 v24, v22 offset:1
	v_mov_b32_e32 v22, v17
.LBB139_46:
	s_or_b32 exec_lo, exec_lo, s6
	v_add_nc_u32_e32 v25, 1, v23
	v_add_nc_u32_e32 v27, 1, v21
	v_and_b32_e32 v26, 0x60, v4
	v_cndmask_b32_e64 v28, v23, v21, s5
	v_cndmask_b32_e64 v20, v19, v20, s4
	;; [unrolled: 1-line block ×4, first 2 shown]
	v_min_i32_e32 v19, v5, v26
	s_waitcnt lgkmcnt(0)
	v_cmp_lt_u16_sdwa s8, v24, v22 src0_sel:BYTE_0 src1_sel:BYTE_0
	v_cndmask_b32_e32 v15, v15, v16, vcc_lo
	v_cmp_ge_i32_e64 s6, v23, v6
	v_cmp_lt_i32_e64 s7, v21, v3
	v_add_nc_u32_e32 v6, 16, v19
	; wave barrier
	s_or_b32 s6, s6, s8
	ds_write_b8 v2, v7
	ds_write_b8 v2, v8 offset:1
	ds_write_b8 v2, v9 offset:2
	;; [unrolled: 1-line block ×3, first 2 shown]
	s_and_b32 s6, s7, s6
	v_min_i32_e32 v3, v5, v6
	v_cndmask_b32_e64 v21, v23, v21, s6
	v_add_nc_u32_e32 v7, v1, v15
	v_and_b32_e32 v8, 28, v4
	v_add_nc_u32_e32 v9, v1, v20
	v_add_nc_u32_e32 v6, 16, v3
	v_add_nc_u32_e32 v10, v1, v28
	v_add_nc_u32_e32 v20, v1, v21
	; wave barrier
	v_min_i32_e32 v15, v5, v8
	ds_read_u8 v7, v7
	ds_read_u8 v8, v9
	;; [unrolled: 1-line block ×4, first 2 shown]
	v_min_i32_e32 v6, v5, v6
	v_cndmask_b32_e64 v17, v17, v18, s5
	v_cndmask_b32_e64 v13, v13, v14, s4
	v_sub_nc_u32_e32 v18, v3, v19
	v_cndmask_b32_e32 v20, v11, v12, vcc_lo
	v_sub_nc_u32_e32 v21, v6, v3
	v_cndmask_b32_e64 v16, v22, v24, s6
	s_mov_b32 s5, 0
	v_min_i32_e32 v11, v15, v18
	s_mov_b32 s4, exec_lo
	v_sub_nc_u32_e32 v14, v15, v21
	v_cmp_ge_i32_e32 vcc_lo, v15, v21
	; wave barrier
	ds_write_b8 v2, v20
	ds_write_b8 v2, v13 offset:1
	ds_write_b8 v2, v17 offset:2
	;; [unrolled: 1-line block ×3, first 2 shown]
	v_cndmask_b32_e32 v12, 0, v14, vcc_lo
	; wave barrier
	v_cmpx_lt_i32_e64 v12, v11
	s_cbranch_execz .LBB139_50
; %bb.47:
	v_add_nc_u32_e32 v13, v1, v19
	v_add3_u32 v14, v1, v3, v15
	.p2align	6
.LBB139_48:                             ; =>This Inner Loop Header: Depth=1
	v_sub_nc_u32_e32 v16, v11, v12
	v_lshrrev_b32_e32 v16, 1, v16
	v_add_nc_u32_e32 v16, v16, v12
	v_add_nc_u32_e32 v17, v13, v16
	v_xad_u32 v18, v16, -1, v14
	v_add_nc_u32_e32 v20, 1, v16
	ds_read_u8 v17, v17
	ds_read_u8 v18, v18
	s_waitcnt lgkmcnt(0)
	v_cmp_lt_u16_e32 vcc_lo, v18, v17
	v_cndmask_b32_e32 v11, v11, v16, vcc_lo
	v_cndmask_b32_e32 v12, v20, v12, vcc_lo
	v_cmp_ge_i32_e32 vcc_lo, v12, v11
	s_or_b32 s5, vcc_lo, s5
	s_andn2_b32 exec_lo, exec_lo, s5
	s_cbranch_execnz .LBB139_48
; %bb.49:
	s_or_b32 exec_lo, exec_lo, s5
.LBB139_50:
	s_or_b32 exec_lo, exec_lo, s4
	v_add_nc_u32_e32 v13, v3, v15
	v_add_nc_u32_e32 v11, v12, v19
                                        ; implicit-def: $vgpr14
	v_sub_nc_u32_e32 v16, v13, v12
	v_add_nc_u32_e32 v15, v1, v11
	v_cmp_le_i32_e32 vcc_lo, v3, v11
	v_add_nc_u32_e32 v17, v1, v16
	v_cmp_gt_i32_e64 s4, v6, v16
	ds_read_u8 v12, v15
	ds_read_u8 v13, v17
	s_waitcnt lgkmcnt(0)
	v_cmp_lt_u16_sdwa s5, v13, v12 src0_sel:BYTE_0 src1_sel:BYTE_0
	s_or_b32 s5, vcc_lo, s5
	s_and_b32 vcc_lo, s4, s5
	s_xor_b32 s4, vcc_lo, -1
	s_and_saveexec_b32 s5, s4
	s_xor_b32 s4, exec_lo, s5
; %bb.51:
	ds_read_u8 v14, v15 offset:1
                                        ; implicit-def: $vgpr17
; %bb.52:
	s_or_saveexec_b32 s4, s4
	v_mov_b32_e32 v15, v13
	s_xor_b32 exec_lo, exec_lo, s4
	s_cbranch_execz .LBB139_54
; %bb.53:
	ds_read_u8 v15, v17 offset:1
	s_waitcnt lgkmcnt(1)
	v_mov_b32_e32 v14, v12
.LBB139_54:
	s_or_b32 exec_lo, exec_lo, s4
	v_add_nc_u32_e32 v17, 1, v11
	v_add_nc_u32_e32 v18, 1, v16
	s_waitcnt lgkmcnt(0)
	v_cmp_lt_u16_sdwa s6, v15, v14 src0_sel:BYTE_0 src1_sel:BYTE_0
	v_cndmask_b32_e32 v19, v17, v11, vcc_lo
	v_cndmask_b32_e32 v20, v16, v18, vcc_lo
                                        ; implicit-def: $vgpr17
	v_cmp_ge_i32_e64 s4, v19, v3
	v_cmp_lt_i32_e64 s5, v20, v6
	s_or_b32 s4, s4, s6
	s_and_b32 s4, s5, s4
	s_xor_b32 s5, s4, -1
	s_and_saveexec_b32 s6, s5
	s_xor_b32 s5, exec_lo, s6
; %bb.55:
	v_add_nc_u32_e32 v17, v1, v19
	ds_read_u8 v17, v17 offset:1
; %bb.56:
	s_or_saveexec_b32 s5, s5
	v_mov_b32_e32 v18, v15
	s_xor_b32 exec_lo, exec_lo, s5
	s_cbranch_execz .LBB139_58
; %bb.57:
	s_waitcnt lgkmcnt(0)
	v_add_nc_u32_e32 v17, v1, v20
	ds_read_u8 v18, v17 offset:1
	v_mov_b32_e32 v17, v14
.LBB139_58:
	s_or_b32 exec_lo, exec_lo, s5
	v_add_nc_u32_e32 v21, 1, v19
	v_add_nc_u32_e32 v22, 1, v20
	s_waitcnt lgkmcnt(0)
	v_cmp_lt_u16_sdwa s7, v18, v17 src0_sel:BYTE_0 src1_sel:BYTE_0
	v_cndmask_b32_e64 v23, v21, v19, s4
	v_cndmask_b32_e64 v21, v20, v22, s4
                                        ; implicit-def: $vgpr22
	v_cmp_ge_i32_e64 s5, v23, v3
	v_cmp_lt_i32_e64 s6, v21, v6
	s_or_b32 s5, s5, s7
	s_and_b32 s5, s6, s5
	s_xor_b32 s6, s5, -1
	s_and_saveexec_b32 s7, s6
	s_xor_b32 s6, exec_lo, s7
; %bb.59:
	v_add_nc_u32_e32 v22, v1, v23
	ds_read_u8 v22, v22 offset:1
; %bb.60:
	s_or_saveexec_b32 s6, s6
	v_mov_b32_e32 v24, v18
	s_xor_b32 exec_lo, exec_lo, s6
	s_cbranch_execz .LBB139_62
; %bb.61:
	s_waitcnt lgkmcnt(0)
	v_add_nc_u32_e32 v22, v1, v21
	ds_read_u8 v24, v22 offset:1
	v_mov_b32_e32 v22, v17
.LBB139_62:
	s_or_b32 exec_lo, exec_lo, s6
	v_add_nc_u32_e32 v25, 1, v23
	v_add_nc_u32_e32 v27, 1, v21
	v_and_b32_e32 v26, 64, v4
	v_cndmask_b32_e64 v28, v23, v21, s5
	v_cndmask_b32_e64 v20, v19, v20, s4
	;; [unrolled: 1-line block ×4, first 2 shown]
	v_min_i32_e32 v19, v5, v26
	s_waitcnt lgkmcnt(0)
	v_cmp_lt_u16_sdwa s8, v24, v22 src0_sel:BYTE_0 src1_sel:BYTE_0
	v_cndmask_b32_e32 v11, v11, v16, vcc_lo
	v_cmp_ge_i32_e64 s6, v23, v3
	v_cmp_lt_i32_e64 s7, v21, v6
	v_add_nc_u32_e32 v3, 32, v19
	; wave barrier
	s_or_b32 s6, s6, s8
	ds_write_b8 v2, v7
	ds_write_b8 v2, v8 offset:1
	ds_write_b8 v2, v9 offset:2
	;; [unrolled: 1-line block ×3, first 2 shown]
	s_and_b32 s6, s7, s6
	v_min_i32_e32 v6, v5, v3
	v_cndmask_b32_e64 v3, v23, v21, s6
	v_add_nc_u32_e32 v8, v1, v11
	v_and_b32_e32 v9, 60, v4
	v_add_nc_u32_e32 v10, v1, v20
	v_add_nc_u32_e32 v7, 32, v6
	v_add_nc_u32_e32 v20, v1, v28
	v_add_nc_u32_e32 v21, v1, v3
	; wave barrier
	v_min_i32_e32 v3, v5, v9
	ds_read_u8 v11, v8
	ds_read_u8 v8, v10
	;; [unrolled: 1-line block ×4, first 2 shown]
	v_min_i32_e32 v7, v5, v7
	v_cndmask_b32_e64 v16, v22, v24, s6
	v_cndmask_b32_e64 v17, v17, v18, s5
	;; [unrolled: 1-line block ×3, first 2 shown]
	v_sub_nc_u32_e32 v18, v6, v19
	v_sub_nc_u32_e32 v22, v7, v6
	v_cndmask_b32_e32 v20, v12, v13, vcc_lo
	s_mov_b32 s5, 0
	s_mov_b32 s4, exec_lo
	v_min_i32_e32 v13, v3, v18
	v_sub_nc_u32_e32 v15, v3, v22
	v_cmp_ge_i32_e32 vcc_lo, v3, v22
	; wave barrier
	ds_write_b8 v2, v20
	ds_write_b8 v2, v14 offset:1
	ds_write_b8 v2, v17 offset:2
	;; [unrolled: 1-line block ×3, first 2 shown]
	v_cndmask_b32_e32 v12, 0, v15, vcc_lo
	; wave barrier
	v_cmpx_lt_i32_e64 v12, v13
	s_cbranch_execz .LBB139_66
; %bb.63:
	v_add_nc_u32_e32 v14, v1, v19
	v_add3_u32 v15, v1, v6, v3
	.p2align	6
.LBB139_64:                             ; =>This Inner Loop Header: Depth=1
	v_sub_nc_u32_e32 v16, v13, v12
	v_lshrrev_b32_e32 v16, 1, v16
	v_add_nc_u32_e32 v16, v16, v12
	v_add_nc_u32_e32 v17, v14, v16
	v_xad_u32 v18, v16, -1, v15
	v_add_nc_u32_e32 v20, 1, v16
	ds_read_u8 v17, v17
	ds_read_u8 v18, v18
	s_waitcnt lgkmcnt(0)
	v_cmp_lt_u16_e32 vcc_lo, v18, v17
	v_cndmask_b32_e32 v13, v13, v16, vcc_lo
	v_cndmask_b32_e32 v12, v20, v12, vcc_lo
	v_cmp_ge_i32_e32 vcc_lo, v12, v13
	s_or_b32 s5, vcc_lo, s5
	s_andn2_b32 exec_lo, exec_lo, s5
	s_cbranch_execnz .LBB139_64
; %bb.65:
	s_or_b32 exec_lo, exec_lo, s5
.LBB139_66:
	s_or_b32 exec_lo, exec_lo, s4
	v_add_nc_u32_e32 v13, v6, v3
	v_add_nc_u32_e32 v3, v12, v19
                                        ; implicit-def: $vgpr15
	v_sub_nc_u32_e32 v12, v13, v12
	v_add_nc_u32_e32 v16, v1, v3
	v_cmp_le_i32_e32 vcc_lo, v6, v3
	v_add_nc_u32_e32 v17, v1, v12
	v_cmp_gt_i32_e64 s4, v7, v12
	ds_read_u8 v13, v16
	ds_read_u8 v14, v17
	s_waitcnt lgkmcnt(0)
	v_cmp_lt_u16_sdwa s5, v14, v13 src0_sel:BYTE_0 src1_sel:BYTE_0
	s_or_b32 s5, vcc_lo, s5
	s_and_b32 vcc_lo, s4, s5
	s_xor_b32 s4, vcc_lo, -1
	s_and_saveexec_b32 s5, s4
	s_xor_b32 s4, exec_lo, s5
; %bb.67:
	ds_read_u8 v15, v16 offset:1
                                        ; implicit-def: $vgpr17
; %bb.68:
	s_or_saveexec_b32 s4, s4
	v_mov_b32_e32 v16, v14
	s_xor_b32 exec_lo, exec_lo, s4
	s_cbranch_execz .LBB139_70
; %bb.69:
	ds_read_u8 v16, v17 offset:1
	s_waitcnt lgkmcnt(1)
	v_mov_b32_e32 v15, v13
.LBB139_70:
	s_or_b32 exec_lo, exec_lo, s4
	v_add_nc_u32_e32 v17, 1, v3
	v_add_nc_u32_e32 v18, 1, v12
	s_waitcnt lgkmcnt(0)
	v_cmp_lt_u16_sdwa s6, v16, v15 src0_sel:BYTE_0 src1_sel:BYTE_0
	v_cndmask_b32_e32 v19, v17, v3, vcc_lo
	v_cndmask_b32_e32 v21, v12, v18, vcc_lo
                                        ; implicit-def: $vgpr17
	v_cmp_ge_i32_e64 s4, v19, v6
	v_cmp_lt_i32_e64 s5, v21, v7
	s_or_b32 s4, s4, s6
	s_and_b32 s4, s5, s4
	s_xor_b32 s5, s4, -1
	s_and_saveexec_b32 s6, s5
	s_xor_b32 s5, exec_lo, s6
; %bb.71:
	v_add_nc_u32_e32 v17, v1, v19
	ds_read_u8 v17, v17 offset:1
; %bb.72:
	s_or_saveexec_b32 s5, s5
	v_mov_b32_e32 v18, v16
	s_xor_b32 exec_lo, exec_lo, s5
	s_cbranch_execz .LBB139_74
; %bb.73:
	s_waitcnt lgkmcnt(0)
	v_add_nc_u32_e32 v17, v1, v21
	ds_read_u8 v18, v17 offset:1
	v_mov_b32_e32 v17, v15
.LBB139_74:
	s_or_b32 exec_lo, exec_lo, s5
	v_add_nc_u32_e32 v20, 1, v19
	v_add_nc_u32_e32 v22, 1, v21
	s_waitcnt lgkmcnt(0)
	v_cmp_lt_u16_sdwa s7, v18, v17 src0_sel:BYTE_0 src1_sel:BYTE_0
	v_cndmask_b32_e64 v24, v20, v19, s4
	v_cndmask_b32_e64 v20, v21, v22, s4
                                        ; implicit-def: $vgpr22
	v_cmp_ge_i32_e64 s5, v24, v6
	v_cmp_lt_i32_e64 s6, v20, v7
	s_or_b32 s5, s5, s7
	s_and_b32 s5, s6, s5
	s_xor_b32 s6, s5, -1
	s_and_saveexec_b32 s7, s6
	s_xor_b32 s6, exec_lo, s7
; %bb.75:
	v_add_nc_u32_e32 v22, v1, v24
	ds_read_u8 v22, v22 offset:1
; %bb.76:
	s_or_saveexec_b32 s6, s6
	v_mov_b32_e32 v23, v18
	s_xor_b32 exec_lo, exec_lo, s6
	s_cbranch_execz .LBB139_78
; %bb.77:
	s_waitcnt lgkmcnt(0)
	v_add_nc_u32_e32 v22, v1, v20
	ds_read_u8 v23, v22 offset:1
	v_mov_b32_e32 v22, v17
.LBB139_78:
	s_or_b32 exec_lo, exec_lo, s6
	v_add_nc_u32_e32 v25, 1, v24
	v_add_nc_u32_e32 v26, 1, v20
	v_cndmask_b32_e64 v19, v19, v21, s4
	v_cndmask_b32_e32 v12, v3, v12, vcc_lo
	v_min_i32_e32 v3, 0, v5
	v_cndmask_b32_e64 v21, v25, v24, s5
	v_cndmask_b32_e64 v27, v24, v20, s5
	;; [unrolled: 1-line block ×3, first 2 shown]
	s_waitcnt lgkmcnt(0)
	v_cmp_lt_u16_sdwa s8, v23, v22 src0_sel:BYTE_0 src1_sel:BYTE_0
	v_cmp_ge_i32_e64 s6, v21, v6
	v_add_nc_u32_e32 v6, 64, v3
	v_cmp_lt_i32_e64 s7, v20, v7
	; wave barrier
	ds_write_b8 v2, v11
	s_or_b32 s6, s6, s8
	v_min_i32_e32 v7, v5, v6
	s_and_b32 s6, s7, s6
	ds_write_b8 v2, v8 offset:1
	ds_write_b8 v2, v9 offset:2
	;; [unrolled: 1-line block ×3, first 2 shown]
	v_cndmask_b32_e64 v6, v21, v20, s6
	v_add_nc_u32_e32 v9, v1, v12
	v_add_nc_u32_e32 v8, 64, v7
	v_and_b32_e32 v11, 0x7c, v4
	v_add_nc_u32_e32 v20, v1, v6
	; wave barrier
	v_min_i32_e32 v10, v5, v8
	v_add_nc_u32_e32 v8, v1, v19
	v_add_nc_u32_e32 v19, v1, v27
	v_min_i32_e32 v6, v5, v11
	ds_read_u8 v12, v9
	ds_read_u8 v11, v8
	;; [unrolled: 1-line block ×4, first 2 shown]
	v_sub_nc_u32_e32 v21, v10, v7
	v_cndmask_b32_e64 v17, v17, v18, s5
	v_cndmask_b32_e64 v15, v15, v16, s4
	v_sub_nc_u32_e32 v18, v7, v3
	v_cndmask_b32_e32 v19, v13, v14, vcc_lo
	v_sub_nc_u32_e32 v16, v6, v21
	v_cmp_ge_i32_e32 vcc_lo, v6, v21
	v_cndmask_b32_e64 v22, v22, v23, s6
	v_min_i32_e32 v14, v6, v18
	s_mov_b32 s5, 0
	s_mov_b32 s4, exec_lo
	v_cndmask_b32_e32 v13, 0, v16, vcc_lo
	; wave barrier
	ds_write_b8 v2, v19
	ds_write_b8 v2, v15 offset:1
	ds_write_b8 v2, v17 offset:2
	;; [unrolled: 1-line block ×3, first 2 shown]
	; wave barrier
	v_cmpx_lt_i32_e64 v13, v14
	s_cbranch_execz .LBB139_82
; %bb.79:
	v_add_nc_u32_e32 v15, v1, v3
	v_add3_u32 v16, v1, v7, v6
	.p2align	6
.LBB139_80:                             ; =>This Inner Loop Header: Depth=1
	v_sub_nc_u32_e32 v17, v14, v13
	v_lshrrev_b32_e32 v17, 1, v17
	v_add_nc_u32_e32 v17, v17, v13
	v_add_nc_u32_e32 v18, v15, v17
	v_xad_u32 v19, v17, -1, v16
	v_add_nc_u32_e32 v20, 1, v17
	ds_read_u8 v18, v18
	ds_read_u8 v19, v19
	s_waitcnt lgkmcnt(0)
	v_cmp_lt_u16_e32 vcc_lo, v19, v18
	v_cndmask_b32_e32 v14, v14, v17, vcc_lo
	v_cndmask_b32_e32 v13, v20, v13, vcc_lo
	v_cmp_ge_i32_e32 vcc_lo, v13, v14
	s_or_b32 s5, vcc_lo, s5
	s_andn2_b32 exec_lo, exec_lo, s5
	s_cbranch_execnz .LBB139_80
; %bb.81:
	s_or_b32 exec_lo, exec_lo, s5
.LBB139_82:
	s_or_b32 exec_lo, exec_lo, s4
	v_add_nc_u32_e32 v14, v7, v6
	v_add_nc_u32_e32 v18, v13, v3
                                        ; implicit-def: $vgpr15
	v_sub_nc_u32_e32 v19, v14, v13
	v_add_nc_u32_e32 v16, v1, v18
	v_cmp_le_i32_e32 vcc_lo, v7, v18
	v_add_nc_u32_e32 v17, v1, v19
	v_cmp_gt_i32_e64 s4, v10, v19
	ds_read_u8 v13, v16
	ds_read_u8 v14, v17
	s_waitcnt lgkmcnt(0)
	v_cmp_lt_u16_sdwa s5, v14, v13 src0_sel:BYTE_0 src1_sel:BYTE_0
	s_or_b32 s5, vcc_lo, s5
	s_and_b32 vcc_lo, s4, s5
	s_xor_b32 s4, vcc_lo, -1
	s_and_saveexec_b32 s5, s4
	s_xor_b32 s4, exec_lo, s5
; %bb.83:
	ds_read_u8 v15, v16 offset:1
                                        ; implicit-def: $vgpr17
; %bb.84:
	s_or_saveexec_b32 s4, s4
	v_mov_b32_e32 v16, v14
	s_xor_b32 exec_lo, exec_lo, s4
	s_cbranch_execz .LBB139_86
; %bb.85:
	ds_read_u8 v16, v17 offset:1
	s_waitcnt lgkmcnt(1)
	v_mov_b32_e32 v15, v13
.LBB139_86:
	s_or_b32 exec_lo, exec_lo, s4
	v_add_nc_u32_e32 v17, 1, v18
	v_add_nc_u32_e32 v20, 1, v19
	s_waitcnt lgkmcnt(0)
	v_cmp_lt_u16_sdwa s6, v16, v15 src0_sel:BYTE_0 src1_sel:BYTE_0
	v_cndmask_b32_e32 v21, v17, v18, vcc_lo
	v_cndmask_b32_e32 v22, v19, v20, vcc_lo
                                        ; implicit-def: $vgpr17
	v_cmp_ge_i32_e64 s4, v21, v7
	v_cmp_lt_i32_e64 s5, v22, v10
	s_or_b32 s4, s4, s6
	s_and_b32 s4, s5, s4
	s_xor_b32 s5, s4, -1
	s_and_saveexec_b32 s6, s5
	s_xor_b32 s5, exec_lo, s6
; %bb.87:
	v_add_nc_u32_e32 v17, v1, v21
	ds_read_u8 v17, v17 offset:1
; %bb.88:
	s_or_saveexec_b32 s5, s5
	v_mov_b32_e32 v20, v16
	s_xor_b32 exec_lo, exec_lo, s5
	s_cbranch_execz .LBB139_90
; %bb.89:
	s_waitcnt lgkmcnt(0)
	v_add_nc_u32_e32 v17, v1, v22
	ds_read_u8 v20, v17 offset:1
	v_mov_b32_e32 v17, v15
.LBB139_90:
	s_or_b32 exec_lo, exec_lo, s5
	v_add_nc_u32_e32 v23, 1, v21
	v_add_nc_u32_e32 v24, 1, v22
	s_waitcnt lgkmcnt(0)
	v_cmp_lt_u16_sdwa s7, v20, v17 src0_sel:BYTE_0 src1_sel:BYTE_0
	v_cndmask_b32_e64 v26, v23, v21, s4
	v_cndmask_b32_e64 v25, v22, v24, s4
                                        ; implicit-def: $vgpr23
	v_cmp_ge_i32_e64 s5, v26, v7
	v_cmp_lt_i32_e64 s6, v25, v10
	s_or_b32 s5, s5, s7
	s_and_b32 s5, s6, s5
	s_xor_b32 s6, s5, -1
	s_and_saveexec_b32 s7, s6
	s_xor_b32 s6, exec_lo, s7
; %bb.91:
	v_add_nc_u32_e32 v23, v1, v26
	ds_read_u8 v23, v23 offset:1
; %bb.92:
	s_or_saveexec_b32 s6, s6
	v_mov_b32_e32 v24, v20
	s_xor_b32 exec_lo, exec_lo, s6
	s_cbranch_execz .LBB139_94
; %bb.93:
	s_waitcnt lgkmcnt(0)
	v_add_nc_u32_e32 v23, v1, v25
	ds_read_u8 v24, v23 offset:1
	v_mov_b32_e32 v23, v17
.LBB139_94:
	s_or_b32 exec_lo, exec_lo, s6
	v_add_nc_u32_e32 v27, 1, v26
	v_add_nc_u32_e32 v28, 1, v25
	v_cndmask_b32_e32 v18, v18, v19, vcc_lo
	v_cndmask_b32_e64 v21, v21, v22, s4
	s_waitcnt lgkmcnt(0)
	v_cmp_lt_u16_sdwa s8, v24, v23 src0_sel:BYTE_0 src1_sel:BYTE_0
	v_cndmask_b32_e64 v19, v27, v26, s5
	v_cndmask_b32_e64 v22, v25, v28, s5
	;; [unrolled: 1-line block ×3, first 2 shown]
	v_add_nc_u32_e32 v25, 0x80, v3
	v_cmp_ge_i32_e64 s6, v19, v7
	v_cmp_lt_i32_e64 s7, v22, v10
	; wave barrier
	v_min_i32_e32 v7, v5, v25
	ds_write_b8 v2, v12
	s_or_b32 s6, s6, s8
	ds_write_b8 v2, v11 offset:1
	s_and_b32 s6, s7, s6
	v_add_nc_u32_e32 v11, 0x80, v7
	v_cndmask_b32_e64 v10, v19, v22, s6
	ds_write_b8 v2, v8 offset:2
	ds_write_b8 v2, v9 offset:3
	v_add_nc_u32_e32 v8, v1, v18
	v_add_nc_u32_e32 v9, v1, v21
	;; [unrolled: 1-line block ×4, first 2 shown]
	; wave barrier
	v_min_i32_e32 v5, v5, v11
	ds_read_u8 v10, v8
	ds_read_u8 v11, v9
	;; [unrolled: 1-line block ×4, first 2 shown]
	v_cndmask_b32_e64 v15, v15, v16, s4
	v_sub_nc_u32_e32 v16, v7, v3
	v_cndmask_b32_e32 v14, v13, v14, vcc_lo
	v_sub_nc_u32_e32 v19, v5, v7
	v_cndmask_b32_e64 v17, v17, v20, s5
	v_cndmask_b32_e64 v23, v23, v24, s6
	v_min_i32_e32 v13, v6, v16
	s_mov_b32 s5, 0
	v_sub_nc_u32_e32 v12, v6, v19
	v_cmp_ge_i32_e32 vcc_lo, v6, v19
	s_mov_b32 s4, exec_lo
	; wave barrier
	ds_write_b8 v2, v14
	ds_write_b8 v2, v15 offset:1
	ds_write_b8 v2, v17 offset:2
	;; [unrolled: 1-line block ×3, first 2 shown]
	v_cndmask_b32_e32 v12, 0, v12, vcc_lo
	; wave barrier
	v_cmpx_lt_i32_e64 v12, v13
	s_cbranch_execz .LBB139_98
; %bb.95:
	v_add_nc_u32_e32 v14, v1, v3
	v_add3_u32 v15, v1, v7, v6
	.p2align	6
.LBB139_96:                             ; =>This Inner Loop Header: Depth=1
	v_sub_nc_u32_e32 v16, v13, v12
	v_lshrrev_b32_e32 v16, 1, v16
	v_add_nc_u32_e32 v16, v16, v12
	v_add_nc_u32_e32 v17, v14, v16
	v_xad_u32 v18, v16, -1, v15
	v_add_nc_u32_e32 v19, 1, v16
	ds_read_u8 v17, v17
	ds_read_u8 v18, v18
	s_waitcnt lgkmcnt(0)
	v_cmp_lt_u16_e32 vcc_lo, v18, v17
	v_cndmask_b32_e32 v13, v13, v16, vcc_lo
	v_cndmask_b32_e32 v12, v19, v12, vcc_lo
	v_cmp_ge_i32_e32 vcc_lo, v12, v13
	s_or_b32 s5, vcc_lo, s5
	s_andn2_b32 exec_lo, exec_lo, s5
	s_cbranch_execnz .LBB139_96
; %bb.97:
	s_or_b32 exec_lo, exec_lo, s5
.LBB139_98:
	s_or_b32 exec_lo, exec_lo, s4
	v_add_nc_u32_e32 v6, v7, v6
	v_add_nc_u32_e32 v14, v12, v3
	v_sub_nc_u32_e32 v15, v6, v12
	v_add_nc_u32_e32 v13, v1, v14
	v_cmp_le_i32_e32 vcc_lo, v7, v14
                                        ; implicit-def: $vgpr12
	v_add_nc_u32_e32 v16, v1, v15
	v_cmp_gt_i32_e64 s4, v5, v15
	ds_read_u8 v3, v13
	ds_read_u8 v6, v16
	s_waitcnt lgkmcnt(0)
	v_cmp_lt_u16_sdwa s5, v6, v3 src0_sel:BYTE_0 src1_sel:BYTE_0
	s_or_b32 s5, vcc_lo, s5
	s_and_b32 s4, s4, s5
	s_xor_b32 s5, s4, -1
	s_and_saveexec_b32 s6, s5
	s_xor_b32 s5, exec_lo, s6
; %bb.99:
	ds_read_u8 v12, v13 offset:1
                                        ; implicit-def: $vgpr16
; %bb.100:
	s_or_saveexec_b32 s5, s5
	v_mov_b32_e32 v13, v6
	s_xor_b32 exec_lo, exec_lo, s5
	s_cbranch_execz .LBB139_102
; %bb.101:
	ds_read_u8 v13, v16 offset:1
	s_waitcnt lgkmcnt(1)
	v_mov_b32_e32 v12, v3
.LBB139_102:
	s_or_b32 exec_lo, exec_lo, s5
	v_add_nc_u32_e32 v16, 1, v14
	v_add_nc_u32_e32 v17, 1, v15
	s_waitcnt lgkmcnt(0)
	v_cmp_lt_u16_sdwa s6, v13, v12 src0_sel:BYTE_0 src1_sel:BYTE_0
                                        ; implicit-def: $vgpr18
	v_cndmask_b32_e64 v16, v16, v14, s4
	v_cndmask_b32_e64 v17, v15, v17, s4
	v_cmp_ge_i32_e32 vcc_lo, v16, v7
	v_cmp_lt_i32_e64 s5, v17, v5
	s_or_b32 s6, vcc_lo, s6
	s_and_b32 vcc_lo, s5, s6
	s_xor_b32 s5, vcc_lo, -1
	s_and_saveexec_b32 s6, s5
	s_xor_b32 s5, exec_lo, s6
; %bb.103:
	v_add_nc_u32_e32 v18, v1, v16
	ds_read_u8 v18, v18 offset:1
; %bb.104:
	s_or_saveexec_b32 s5, s5
	v_mov_b32_e32 v19, v13
	s_xor_b32 exec_lo, exec_lo, s5
	s_cbranch_execz .LBB139_106
; %bb.105:
	s_waitcnt lgkmcnt(0)
	v_add_nc_u32_e32 v18, v1, v17
	ds_read_u8 v19, v18 offset:1
	v_mov_b32_e32 v18, v12
.LBB139_106:
	s_or_b32 exec_lo, exec_lo, s5
	v_add_nc_u32_e32 v20, 1, v16
	v_add_nc_u32_e32 v21, 1, v17
	s_waitcnt lgkmcnt(0)
	v_cmp_lt_u16_sdwa s7, v19, v18 src0_sel:BYTE_0 src1_sel:BYTE_0
                                        ; implicit-def: $vgpr22
	v_cndmask_b32_e32 v25, v20, v16, vcc_lo
	v_cndmask_b32_e32 v20, v17, v21, vcc_lo
                                        ; implicit-def: $vgpr21
	v_cmp_ge_i32_e64 s5, v25, v7
	v_cmp_lt_i32_e64 s6, v20, v5
	s_or_b32 s5, s5, s7
	s_and_b32 s5, s6, s5
	s_xor_b32 s6, s5, -1
	s_and_saveexec_b32 s7, s6
	s_xor_b32 s6, exec_lo, s7
; %bb.107:
	v_add_nc_u32_e32 v21, v1, v25
	ds_read_u8 v22, v21 offset:1
	v_add_nc_u32_e32 v21, 1, v25
; %bb.108:
	s_or_saveexec_b32 s6, s6
	v_mov_b32_e32 v23, v25
	v_mov_b32_e32 v24, v19
	s_xor_b32 exec_lo, exec_lo, s6
	s_cbranch_execz .LBB139_110
; %bb.109:
	v_add_nc_u32_e32 v21, v1, v20
	s_waitcnt lgkmcnt(0)
	v_add_nc_u32_e32 v22, 1, v20
	v_mov_b32_e32 v23, v20
	ds_read_u8 v24, v21 offset:1
	v_mov_b32_e32 v21, v25
	v_mov_b32_e32 v20, v22
	;; [unrolled: 1-line block ×3, first 2 shown]
.LBB139_110:
	s_or_b32 exec_lo, exec_lo, s6
	v_cndmask_b32_e64 v14, v14, v15, s4
	v_cmp_ge_i32_e64 s6, v21, v7
	; wave barrier
	ds_write_b8 v2, v10
	ds_write_b8 v2, v11 offset:1
	v_add_nc_u32_e32 v7, v1, v14
	ds_write_b8 v2, v8 offset:2
	ds_write_b8 v2, v9 offset:3
	; wave barrier
	s_waitcnt lgkmcnt(4)
	v_cmp_lt_u16_sdwa s8, v24, v22 src0_sel:BYTE_0 src1_sel:BYTE_0
	ds_read_u8 v2, v7
	v_cmp_lt_i32_e64 s7, v20, v5
	v_cndmask_b32_e32 v5, v16, v17, vcc_lo
	v_cndmask_b32_e64 v3, v3, v6, s4
	s_or_b32 s6, s6, s8
	v_cndmask_b32_e64 v6, v18, v19, s5
	s_and_b32 s6, s7, s6
	v_add_nc_u32_e32 v5, v1, v5
	v_cndmask_b32_e64 v7, v22, v24, s6
	v_cndmask_b32_e64 v8, v21, v20, s6
	v_add_nc_u32_e32 v9, v1, v23
	v_add_co_u32 v0, s4, s10, v0
	v_lshlrev_b16 v7, 8, v7
	v_add_nc_u32_e32 v1, v1, v8
	v_cndmask_b32_sdwa v8, v12, v13, vcc_lo dst_sel:BYTE_1 dst_unused:UNUSED_PAD src0_sel:DWORD src1_sel:DWORD
	ds_read_u8 v5, v5
	ds_read_u8 v9, v9
	;; [unrolled: 1-line block ×3, first 2 shown]
	v_or_b32_sdwa v6, v6, v7 dst_sel:WORD_1 dst_unused:UNUSED_PAD src0_sel:BYTE_0 src1_sel:DWORD
	v_add_co_u32 v0, vcc_lo, v0, v4
	s_waitcnt lgkmcnt(3)
	v_add_nc_u16 v2, v2, v3
	v_or_b32_sdwa v3, v3, v8 dst_sel:DWORD dst_unused:UNUSED_PAD src0_sel:BYTE_0 src1_sel:DWORD
	v_or_b32_sdwa v2, v2, v8 dst_sel:DWORD dst_unused:UNUSED_PAD src0_sel:BYTE_0 src1_sel:DWORD
	v_or_b32_sdwa v3, v3, v6 dst_sel:DWORD dst_unused:UNUSED_PAD src0_sel:WORD_0 src1_sel:DWORD
	v_or_b32_sdwa v2, v2, v6 dst_sel:DWORD dst_unused:UNUSED_PAD src0_sel:WORD_0 src1_sel:DWORD
	v_cndmask_b32_e64 v2, v3, v2, s0
	v_lshrrev_b32_e32 v3, 8, v2
	s_waitcnt lgkmcnt(2)
	v_add_nc_u16 v3, v3, v5
	v_mov_b32_e32 v5, 0xff
	v_lshlrev_b16 v3, 8, v3
	v_or_b32_sdwa v3, v2, v3 dst_sel:DWORD dst_unused:UNUSED_PAD src0_sel:BYTE_0 src1_sel:DWORD
	v_and_b32_e32 v3, 0xffff, v3
	v_and_or_b32 v3, 0xffff0000, v2, v3
	v_cndmask_b32_e64 v2, v2, v3, s1
	v_lshrrev_b32_e32 v3, 16, v2
	s_waitcnt lgkmcnt(1)
	v_add_nc_u16 v3, v3, v9
	v_perm_b32 v3, v3, v2, 0xc0c0304
	v_lshlrev_b32_e32 v3, 16, v3
	v_and_or_b32 v3, 0xffff, v2, v3
	v_cndmask_b32_e64 v2, v2, v3, s2
	v_lshrrev_b32_e32 v3, 24, v2
	s_waitcnt lgkmcnt(0)
	v_add_nc_u16 v1, v3, v1
	v_and_b32_sdwa v3, v2, v5 dst_sel:DWORD dst_unused:UNUSED_PAD src0_sel:WORD_1 src1_sel:DWORD
	v_lshlrev_b16 v1, 8, v1
	v_or_b32_sdwa v1, v3, v1 dst_sel:WORD_1 dst_unused:UNUSED_PAD src0_sel:DWORD src1_sel:DWORD
	v_add_co_ci_u32_e64 v3, null, s11, 0, s4
	v_and_or_b32 v1, 0xffff, v2, v1
	v_cndmask_b32_e64 v2, v2, v1, s3
	v_add_co_ci_u32_e64 v1, null, 0, v3, vcc_lo
	s_and_saveexec_b32 s4, s0
	s_cbranch_execnz .LBB139_115
; %bb.111:
	s_or_b32 exec_lo, exec_lo, s4
	s_and_saveexec_b32 s0, s1
	s_cbranch_execnz .LBB139_116
.LBB139_112:
	s_or_b32 exec_lo, exec_lo, s0
	s_and_saveexec_b32 s0, s2
	s_cbranch_execnz .LBB139_117
.LBB139_113:
	s_or_b32 exec_lo, exec_lo, s0
	s_and_saveexec_b32 s0, s3
	s_cbranch_execnz .LBB139_118
.LBB139_114:
	s_endpgm
.LBB139_115:
	global_store_byte v[0:1], v2, off
	s_or_b32 exec_lo, exec_lo, s4
	s_and_saveexec_b32 s0, s1
	s_cbranch_execz .LBB139_112
.LBB139_116:
	v_lshrrev_b32_e32 v3, 8, v2
	global_store_byte v[0:1], v3, off offset:1
	s_or_b32 exec_lo, exec_lo, s0
	s_and_saveexec_b32 s0, s2
	s_cbranch_execz .LBB139_113
.LBB139_117:
	global_store_byte_d16_hi v[0:1], v2, off offset:2
	s_or_b32 exec_lo, exec_lo, s0
	s_and_saveexec_b32 s0, s3
	s_cbranch_execz .LBB139_114
.LBB139_118:
	v_lshrrev_b32_e32 v2, 24, v2
	global_store_byte v[0:1], v2, off offset:3
	s_endpgm
	.section	.rodata,"a",@progbits
	.p2align	6, 0x0
	.amdhsa_kernel _Z20sort_pairs_segmentedILj256ELj64ELj4EhN10test_utils4lessEEvPKT2_PS2_PKjT3_
		.amdhsa_group_segment_fixed_size 1028
		.amdhsa_private_segment_fixed_size 0
		.amdhsa_kernarg_size 28
		.amdhsa_user_sgpr_count 6
		.amdhsa_user_sgpr_private_segment_buffer 1
		.amdhsa_user_sgpr_dispatch_ptr 0
		.amdhsa_user_sgpr_queue_ptr 0
		.amdhsa_user_sgpr_kernarg_segment_ptr 1
		.amdhsa_user_sgpr_dispatch_id 0
		.amdhsa_user_sgpr_flat_scratch_init 0
		.amdhsa_user_sgpr_private_segment_size 0
		.amdhsa_wavefront_size32 1
		.amdhsa_uses_dynamic_stack 0
		.amdhsa_system_sgpr_private_segment_wavefront_offset 0
		.amdhsa_system_sgpr_workgroup_id_x 1
		.amdhsa_system_sgpr_workgroup_id_y 0
		.amdhsa_system_sgpr_workgroup_id_z 0
		.amdhsa_system_sgpr_workgroup_info 0
		.amdhsa_system_vgpr_workitem_id 0
		.amdhsa_next_free_vgpr 30
		.amdhsa_next_free_sgpr 12
		.amdhsa_reserve_vcc 1
		.amdhsa_reserve_flat_scratch 0
		.amdhsa_float_round_mode_32 0
		.amdhsa_float_round_mode_16_64 0
		.amdhsa_float_denorm_mode_32 3
		.amdhsa_float_denorm_mode_16_64 3
		.amdhsa_dx10_clamp 1
		.amdhsa_ieee_mode 1
		.amdhsa_fp16_overflow 0
		.amdhsa_workgroup_processor_mode 1
		.amdhsa_memory_ordered 1
		.amdhsa_forward_progress 1
		.amdhsa_shared_vgpr_count 0
		.amdhsa_exception_fp_ieee_invalid_op 0
		.amdhsa_exception_fp_denorm_src 0
		.amdhsa_exception_fp_ieee_div_zero 0
		.amdhsa_exception_fp_ieee_overflow 0
		.amdhsa_exception_fp_ieee_underflow 0
		.amdhsa_exception_fp_ieee_inexact 0
		.amdhsa_exception_int_div_zero 0
	.end_amdhsa_kernel
	.section	.text._Z20sort_pairs_segmentedILj256ELj64ELj4EhN10test_utils4lessEEvPKT2_PS2_PKjT3_,"axG",@progbits,_Z20sort_pairs_segmentedILj256ELj64ELj4EhN10test_utils4lessEEvPKT2_PS2_PKjT3_,comdat
.Lfunc_end139:
	.size	_Z20sort_pairs_segmentedILj256ELj64ELj4EhN10test_utils4lessEEvPKT2_PS2_PKjT3_, .Lfunc_end139-_Z20sort_pairs_segmentedILj256ELj64ELj4EhN10test_utils4lessEEvPKT2_PS2_PKjT3_
                                        ; -- End function
	.set _Z20sort_pairs_segmentedILj256ELj64ELj4EhN10test_utils4lessEEvPKT2_PS2_PKjT3_.num_vgpr, 30
	.set _Z20sort_pairs_segmentedILj256ELj64ELj4EhN10test_utils4lessEEvPKT2_PS2_PKjT3_.num_agpr, 0
	.set _Z20sort_pairs_segmentedILj256ELj64ELj4EhN10test_utils4lessEEvPKT2_PS2_PKjT3_.numbered_sgpr, 12
	.set _Z20sort_pairs_segmentedILj256ELj64ELj4EhN10test_utils4lessEEvPKT2_PS2_PKjT3_.num_named_barrier, 0
	.set _Z20sort_pairs_segmentedILj256ELj64ELj4EhN10test_utils4lessEEvPKT2_PS2_PKjT3_.private_seg_size, 0
	.set _Z20sort_pairs_segmentedILj256ELj64ELj4EhN10test_utils4lessEEvPKT2_PS2_PKjT3_.uses_vcc, 1
	.set _Z20sort_pairs_segmentedILj256ELj64ELj4EhN10test_utils4lessEEvPKT2_PS2_PKjT3_.uses_flat_scratch, 0
	.set _Z20sort_pairs_segmentedILj256ELj64ELj4EhN10test_utils4lessEEvPKT2_PS2_PKjT3_.has_dyn_sized_stack, 0
	.set _Z20sort_pairs_segmentedILj256ELj64ELj4EhN10test_utils4lessEEvPKT2_PS2_PKjT3_.has_recursion, 0
	.set _Z20sort_pairs_segmentedILj256ELj64ELj4EhN10test_utils4lessEEvPKT2_PS2_PKjT3_.has_indirect_call, 0
	.section	.AMDGPU.csdata,"",@progbits
; Kernel info:
; codeLenInByte = 6164
; TotalNumSgprs: 14
; NumVgprs: 30
; ScratchSize: 0
; MemoryBound: 0
; FloatMode: 240
; IeeeMode: 1
; LDSByteSize: 1028 bytes/workgroup (compile time only)
; SGPRBlocks: 0
; VGPRBlocks: 3
; NumSGPRsForWavesPerEU: 14
; NumVGPRsForWavesPerEU: 30
; Occupancy: 16
; WaveLimiterHint : 0
; COMPUTE_PGM_RSRC2:SCRATCH_EN: 0
; COMPUTE_PGM_RSRC2:USER_SGPR: 6
; COMPUTE_PGM_RSRC2:TRAP_HANDLER: 0
; COMPUTE_PGM_RSRC2:TGID_X_EN: 1
; COMPUTE_PGM_RSRC2:TGID_Y_EN: 0
; COMPUTE_PGM_RSRC2:TGID_Z_EN: 0
; COMPUTE_PGM_RSRC2:TIDIG_COMP_CNT: 0
	.section	.text._Z9sort_keysILj256ELj64ELj8EhN10test_utils4lessEEvPKT2_PS2_T3_,"axG",@progbits,_Z9sort_keysILj256ELj64ELj8EhN10test_utils4lessEEvPKT2_PS2_T3_,comdat
	.protected	_Z9sort_keysILj256ELj64ELj8EhN10test_utils4lessEEvPKT2_PS2_T3_ ; -- Begin function _Z9sort_keysILj256ELj64ELj8EhN10test_utils4lessEEvPKT2_PS2_T3_
	.globl	_Z9sort_keysILj256ELj64ELj8EhN10test_utils4lessEEvPKT2_PS2_T3_
	.p2align	8
	.type	_Z9sort_keysILj256ELj64ELj8EhN10test_utils4lessEEvPKT2_PS2_T3_,@function
_Z9sort_keysILj256ELj64ELj8EhN10test_utils4lessEEvPKT2_PS2_T3_: ; @_Z9sort_keysILj256ELj64ELj8EhN10test_utils4lessEEvPKT2_PS2_T3_
; %bb.0:
	s_load_dwordx4 s[8:11], s[4:5], 0x0
	s_lshl_b32 s7, s6, 11
	v_lshlrev_b32_e32 v1, 3, v0
	v_mov_b32_e32 v8, 0xffffff00
	v_lshrrev_b32_e32 v0, 6, v0
	s_waitcnt lgkmcnt(0)
	s_add_u32 s0, s8, s7
	s_addc_u32 s1, s9, 0
	global_load_dwordx2 v[2:3], v1, s[0:1]
	; wave barrier
	s_waitcnt vmcnt(0)
	v_lshrrev_b32_e32 v4, 8, v2
	v_perm_b32 v5, 0, v2, 0xc0c0001
	v_and_b32_e32 v6, 0xff, v2
	v_lshrrev_b32_e32 v9, 8, v3
	v_and_b32_e32 v11, 0xff, v3
	v_and_b32_e32 v4, 0xff, v4
	v_and_or_b32 v5, 0xffff0000, v2, v5
	v_perm_b32 v12, v3, v3, 0x7060405
	v_and_b32_e32 v9, 0xff, v9
	v_cmp_lt_u16_e32 vcc_lo, v4, v6
	v_cndmask_b32_e32 v2, v2, v5, vcc_lo
	v_lshrrev_b32_e32 v5, 16, v2
	v_lshrrev_b32_e32 v10, 24, v2
	v_perm_b32 v7, 0, v5, 0xc0c0001
	v_and_b32_e32 v5, 0xff, v5
	v_lshlrev_b32_e32 v7, 16, v7
	v_cmp_lt_u16_e32 vcc_lo, v10, v5
	v_min_u16 v13, v10, v5
	v_max_u16 v5, v10, v5
	v_and_or_b32 v7, 0xffff, v2, v7
	v_lshlrev_b16 v14, 8, v13
	v_cndmask_b32_e32 v2, v2, v7, vcc_lo
	v_cmp_lt_u16_e32 vcc_lo, v9, v11
	v_mov_b32_e32 v7, 0xff
	v_and_b32_sdwa v15, v2, v8 dst_sel:DWORD dst_unused:UNUSED_PAD src0_sel:WORD_1 src1_sel:DWORD
	v_cndmask_b32_e32 v3, v3, v12, vcc_lo
	v_max_u16 v12, v4, v6
	v_or_b32_sdwa v14, v2, v14 dst_sel:DWORD dst_unused:UNUSED_PAD src0_sel:BYTE_0 src1_sel:DWORD
	v_min_u16 v4, v4, v6
	v_lshrrev_b32_e32 v16, 24, v3
	v_and_b32_sdwa v17, v3, v7 dst_sel:DWORD dst_unused:UNUSED_PAD src0_sel:WORD_1 src1_sel:DWORD
	v_perm_b32 v18, v3, v3, 0x6070504
	v_or_b32_sdwa v15, v12, v15 dst_sel:WORD_1 dst_unused:UNUSED_PAD src0_sel:DWORD src1_sel:DWORD
	v_min_u16 v20, v13, v12
	v_cmp_lt_u16_e32 vcc_lo, v16, v17
	v_or_b32_sdwa v14, v14, v15 dst_sel:DWORD dst_unused:UNUSED_PAD src0_sel:WORD_0 src1_sel:DWORD
	v_min_u16 v15, v9, v11
	v_max_u16 v9, v9, v11
	v_cndmask_b32_e32 v3, v3, v18, vcc_lo
	v_cmp_lt_u16_e32 vcc_lo, v13, v12
	v_lshlrev_b16 v11, 8, v4
	v_lshlrev_b16 v6, 8, v15
	v_min_u16 v18, v16, v17
	v_and_b32_e32 v10, 0xffffff00, v3
	v_cndmask_b32_e32 v2, v2, v14, vcc_lo
	v_cmp_lt_u16_e32 vcc_lo, v15, v5
	v_or_b32_e32 v11, v20, v11
	v_max_u16 v12, v13, v12
	v_or_b32_e32 v10, v5, v10
	v_and_b32_sdwa v14, v2, v7 dst_sel:DWORD dst_unused:UNUSED_PAD src0_sel:WORD_1 src1_sel:DWORD
	v_max_u16 v21, v15, v5
	v_min_u16 v5, v15, v5
	v_max_u16 v19, v18, v9
	v_and_b32_e32 v10, 0xffff, v10
	v_or_b32_sdwa v6, v14, v6 dst_sel:WORD_1 dst_unused:UNUSED_PAD src0_sel:DWORD src1_sel:DWORD
	v_lshlrev_b16 v14, 8, v18
	v_lshlrev_b16 v22, 8, v21
	v_cmp_lt_u16_e64 s0, v18, v9
	v_and_or_b32 v10, 0xffff0000, v3, v10
	v_and_or_b32 v6, 0xffff, v2, v6
	v_cndmask_b32_e32 v3, v3, v10, vcc_lo
	v_cndmask_b32_e32 v2, v2, v6, vcc_lo
	v_and_b32_e32 v10, 0xffff, v11
	v_lshlrev_b16 v6, 8, v12
	v_min_u16 v11, v18, v9
	v_and_b32_sdwa v15, v3, v8 dst_sel:DWORD dst_unused:UNUSED_PAD src0_sel:WORD_1 src1_sel:DWORD
	v_or_b32_sdwa v14, v3, v14 dst_sel:DWORD dst_unused:UNUSED_PAD src0_sel:BYTE_0 src1_sel:DWORD
	v_and_or_b32 v10, 0xffff0000, v2, v10
	v_cmp_lt_u16_e32 vcc_lo, v13, v4
	v_or_b32_sdwa v6, v5, v6 dst_sel:WORD_1 dst_unused:UNUSED_PAD src0_sel:DWORD src1_sel:DWORD
	v_or_b32_sdwa v15, v9, v15 dst_sel:WORD_1 dst_unused:UNUSED_PAD src0_sel:DWORD src1_sel:DWORD
	v_or_b32_e32 v22, v11, v22
	v_cndmask_b32_e32 v2, v2, v10, vcc_lo
	v_max_u16 v10, v16, v17
	v_or_b32_sdwa v13, v14, v15 dst_sel:DWORD dst_unused:UNUSED_PAD src0_sel:WORD_0 src1_sel:DWORD
	v_lshlrev_b16 v14, 8, v19
	v_and_b32_e32 v15, 0xffff, v22
	v_and_or_b32 v6, 0xffff, v2, v6
	v_cndmask_b32_e32 v16, v20, v4, vcc_lo
	v_cndmask_b32_e64 v3, v3, v13, s0
	v_cmp_lt_u16_e64 s0, v5, v12
	v_min_u16 v13, v5, v12
	v_max_u16 v5, v5, v12
	v_cndmask_b32_e32 v4, v4, v20, vcc_lo
	v_cndmask_b32_e64 v2, v2, v6, s0
	v_or_b32_sdwa v6, v10, v14 dst_sel:WORD_1 dst_unused:UNUSED_PAD src0_sel:DWORD src1_sel:DWORD
	v_and_or_b32 v14, 0xffff0000, v3, v15
	v_cmp_lt_u16_e64 s0, v11, v21
	v_lshlrev_b16 v15, 8, v13
	v_and_b32_sdwa v17, v2, v8 dst_sel:DWORD dst_unused:UNUSED_PAD src0_sel:WORD_1 src1_sel:DWORD
	v_cmp_lt_u16_e64 s1, v13, v16
	v_min_u16 v18, v13, v16
	v_cndmask_b32_e64 v3, v3, v14, s0
	v_cmp_gt_u16_e64 s0, v9, v10
	v_or_b32_sdwa v14, v2, v15 dst_sel:DWORD dst_unused:UNUSED_PAD src0_sel:BYTE_0 src1_sel:DWORD
	v_or_b32_sdwa v15, v16, v17 dst_sel:WORD_1 dst_unused:UNUSED_PAD src0_sel:DWORD src1_sel:DWORD
	v_lshlrev_b16 v20, 8, v4
	v_and_or_b32 v6, 0xffff, v3, v6
	v_or_b32_sdwa v14, v14, v15 dst_sel:DWORD dst_unused:UNUSED_PAD src0_sel:WORD_0 src1_sel:DWORD
	v_cndmask_b32_e64 v3, v3, v6, s0
	v_min_u16 v6, v11, v21
	v_max_u16 v11, v11, v21
	v_cndmask_b32_e64 v2, v2, v14, s1
	s_mov_b32 s1, exec_lo
	v_and_b32_e32 v9, 0xffffff00, v3
	v_lshlrev_b16 v12, 8, v6
	v_max_u16 v15, v6, v5
	v_and_b32_sdwa v14, v2, v7 dst_sel:DWORD dst_unused:UNUSED_PAD src0_sel:WORD_1 src1_sel:DWORD
	v_min_u16 v17, v6, v5
	v_or_b32_e32 v9, v5, v9
	v_cmp_lt_u16_e32 vcc_lo, v6, v5
	v_max_u16 v6, v13, v16
	v_or_b32_sdwa v12, v14, v12 dst_sel:WORD_1 dst_unused:UNUSED_PAD src0_sel:DWORD src1_sel:DWORD
	v_cndmask_b32_e64 v13, v19, v10, s0
	v_and_b32_e32 v9, 0xffff, v9
	v_lshlrev_b16 v14, 8, v15
	v_and_or_b32 v12, 0xffff, v2, v12
	v_lshlrev_b16 v16, 8, v13
	v_and_or_b32 v5, 0xffff0000, v3, v9
	v_or_b32_e32 v9, v18, v20
	v_min_u16 v21, v13, v11
	v_cndmask_b32_e32 v2, v2, v12, vcc_lo
	v_min_u16 v12, v17, v6
	v_cndmask_b32_e32 v3, v3, v5, vcc_lo
	v_and_b32_e32 v9, 0xffff, v9
	v_lshlrev_b16 v5, 8, v6
	v_cmp_lt_u16_e32 vcc_lo, v18, v4
	v_or_b32_e32 v14, v21, v14
	v_and_b32_sdwa v20, v3, v8 dst_sel:DWORD dst_unused:UNUSED_PAD src0_sel:WORD_1 src1_sel:DWORD
	v_and_or_b32 v9, 0xffff0000, v2, v9
	v_or_b32_sdwa v16, v3, v16 dst_sel:DWORD dst_unused:UNUSED_PAD src0_sel:BYTE_0 src1_sel:DWORD
	v_or_b32_sdwa v5, v17, v5 dst_sel:WORD_1 dst_unused:UNUSED_PAD src0_sel:DWORD src1_sel:DWORD
	v_and_b32_e32 v14, 0xffff, v14
	v_or_b32_sdwa v20, v11, v20 dst_sel:WORD_1 dst_unused:UNUSED_PAD src0_sel:DWORD src1_sel:DWORD
	v_cndmask_b32_e32 v2, v2, v9, vcc_lo
	v_cndmask_b32_e64 v9, v10, v19, s0
	v_cmp_lt_u16_e32 vcc_lo, v13, v11
	v_or_b32_sdwa v10, v16, v20 dst_sel:DWORD dst_unused:UNUSED_PAD src0_sel:WORD_0 src1_sel:DWORD
	v_max_u16 v16, v13, v11
	v_and_or_b32 v5, 0xffff, v2, v5
	v_lshlrev_b16 v13, 8, v12
	v_cndmask_b32_e32 v3, v3, v10, vcc_lo
	v_cmp_lt_u16_e32 vcc_lo, v17, v6
	v_lshlrev_b16 v10, 8, v16
	v_max_u16 v6, v17, v6
	v_min_u16 v19, v9, v16
	v_and_or_b32 v11, 0xffff0000, v3, v14
	v_cndmask_b32_e32 v2, v2, v5, vcc_lo
	v_cmp_lt_u16_e32 vcc_lo, v21, v15
	v_or_b32_sdwa v10, v9, v10 dst_sel:WORD_1 dst_unused:UNUSED_PAD src0_sel:DWORD src1_sel:DWORD
	v_max_u16 v5, v18, v4
	v_min_u16 v4, v18, v4
	v_and_b32_sdwa v14, v2, v8 dst_sel:DWORD dst_unused:UNUSED_PAD src0_sel:WORD_1 src1_sel:DWORD
	v_cndmask_b32_e32 v3, v3, v11, vcc_lo
	v_cmp_lt_u16_e32 vcc_lo, v9, v16
	v_or_b32_sdwa v11, v2, v13 dst_sel:DWORD dst_unused:UNUSED_PAD src0_sel:BYTE_0 src1_sel:DWORD
	v_max_u16 v9, v9, v16
	v_or_b32_sdwa v13, v5, v14 dst_sel:WORD_1 dst_unused:UNUSED_PAD src0_sel:DWORD src1_sel:DWORD
	v_and_or_b32 v10, 0xffff, v3, v10
	v_lshlrev_b16 v14, 8, v4
	v_or_b32_sdwa v11, v11, v13 dst_sel:DWORD dst_unused:UNUSED_PAD src0_sel:WORD_0 src1_sel:DWORD
	v_cndmask_b32_e32 v3, v3, v10, vcc_lo
	v_cmp_lt_u16_e32 vcc_lo, v12, v5
	v_min_u16 v10, v21, v15
	v_max_u16 v15, v21, v15
	v_and_b32_e32 v13, 0xffffff00, v3
	v_cndmask_b32_e32 v2, v2, v11, vcc_lo
	v_lshlrev_b16 v17, 8, v10
	v_min_u16 v11, v12, v5
	v_cmp_lt_u16_e32 vcc_lo, v10, v6
	v_or_b32_e32 v13, v6, v13
	v_and_b32_sdwa v18, v2, v7 dst_sel:DWORD dst_unused:UNUSED_PAD src0_sel:WORD_1 src1_sel:DWORD
	v_max_u16 v5, v12, v5
	v_or_b32_e32 v14, v11, v14
	v_max_u16 v20, v10, v6
	v_and_b32_e32 v13, 0xffff, v13
	v_or_b32_sdwa v17, v18, v17 dst_sel:WORD_1 dst_unused:UNUSED_PAD src0_sel:DWORD src1_sel:DWORD
	v_min_u16 v6, v10, v6
	v_and_b32_e32 v14, 0xffff, v14
	v_lshlrev_b16 v10, 8, v19
	v_and_or_b32 v13, 0xffff0000, v3, v13
	v_and_or_b32 v17, 0xffff, v2, v17
	v_lshlrev_b16 v18, 8, v5
	v_lshlrev_b16 v22, 8, v20
	v_cmp_lt_u16_e64 s0, v19, v15
	v_cndmask_b32_e32 v3, v3, v13, vcc_lo
	v_cndmask_b32_e32 v2, v2, v17, vcc_lo
	v_min_u16 v17, v19, v15
	v_cmp_lt_u16_e32 vcc_lo, v12, v4
	v_or_b32_sdwa v18, v6, v18 dst_sel:WORD_1 dst_unused:UNUSED_PAD src0_sel:DWORD src1_sel:DWORD
	v_and_b32_sdwa v21, v3, v8 dst_sel:DWORD dst_unused:UNUSED_PAD src0_sel:WORD_1 src1_sel:DWORD
	v_and_or_b32 v14, 0xffff0000, v2, v14
	v_or_b32_sdwa v10, v3, v10 dst_sel:DWORD dst_unused:UNUSED_PAD src0_sel:BYTE_0 src1_sel:DWORD
	v_or_b32_e32 v22, v17, v22
	v_max_u16 v13, v19, v15
	v_or_b32_sdwa v21, v15, v21 dst_sel:WORD_1 dst_unused:UNUSED_PAD src0_sel:DWORD src1_sel:DWORD
	v_cndmask_b32_e32 v2, v2, v14, vcc_lo
	v_cndmask_b32_e32 v4, v11, v4, vcc_lo
	v_and_b32_e32 v14, 0xffff, v22
	v_lshlrev_b16 v12, 8, v13
	v_or_b32_sdwa v10, v10, v21 dst_sel:DWORD dst_unused:UNUSED_PAD src0_sel:WORD_0 src1_sel:DWORD
	v_and_or_b32 v16, 0xffff, v2, v18
	v_cmp_lt_u16_e32 vcc_lo, v17, v20
	v_or_b32_sdwa v12, v9, v12 dst_sel:WORD_1 dst_unused:UNUSED_PAD src0_sel:DWORD src1_sel:DWORD
	v_cndmask_b32_e64 v3, v3, v10, s0
	v_cmp_lt_u16_e64 s0, v6, v5
	v_min_u16 v10, v6, v5
	v_max_u16 v5, v6, v5
	v_and_or_b32 v14, 0xffff0000, v3, v14
	v_cndmask_b32_e64 v2, v2, v16, s0
	v_lshlrev_b16 v16, 8, v10
	v_cmp_lt_u16_e64 s0, v10, v4
	v_mbcnt_lo_u32_b32 v10, -1, 0
	v_cndmask_b32_e32 v3, v3, v14, vcc_lo
	v_and_b32_sdwa v11, v2, v8 dst_sel:DWORD dst_unused:UNUSED_PAD src0_sel:WORD_1 src1_sel:DWORD
	v_or_b32_sdwa v14, v2, v16 dst_sel:DWORD dst_unused:UNUSED_PAD src0_sel:BYTE_0 src1_sel:DWORD
	v_cmp_gt_u16_e32 vcc_lo, v15, v9
	v_and_or_b32 v12, 0xffff, v3, v12
	v_or_b32_sdwa v11, v4, v11 dst_sel:WORD_1 dst_unused:UNUSED_PAD src0_sel:DWORD src1_sel:DWORD
	v_cndmask_b32_e32 v3, v3, v12, vcc_lo
	v_or_b32_sdwa v11, v14, v11 dst_sel:DWORD dst_unused:UNUSED_PAD src0_sel:WORD_0 src1_sel:DWORD
	v_min_u16 v12, v17, v20
	v_cndmask_b32_e64 v4, v2, v11, s0
	v_and_b32_e32 v2, 0xffffff00, v3
	v_lshlrev_b16 v6, 8, v12
	v_cmp_lt_u16_e64 s0, v12, v5
	v_max_u16 v12, v17, v20
	v_and_b32_sdwa v7, v4, v7 dst_sel:DWORD dst_unused:UNUSED_PAD src0_sel:WORD_1 src1_sel:DWORD
	v_or_b32_e32 v2, v5, v2
	v_or_b32_sdwa v6, v7, v6 dst_sel:WORD_1 dst_unused:UNUSED_PAD src0_sel:DWORD src1_sel:DWORD
	v_and_b32_e32 v7, 0xffff, v2
	v_lshlrev_b32_e32 v2, 3, v10
	v_cndmask_b32_e32 v10, v13, v9, vcc_lo
	v_and_or_b32 v6, 0xffff, v4, v6
	v_and_or_b32 v7, 0xffff0000, v3, v7
	v_and_b32_e32 v5, 0xf0, v2
	v_mad_u32_u24 v16, 0x201, v0, v2
	v_mul_u32_u24_e32 v0, 0x201, v0
	v_cndmask_b32_e64 v9, v4, v6, s0
	v_cndmask_b32_e64 v11, v3, v7, s0
	v_or_b32_e32 v4, 8, v5
	v_add_nc_u32_e32 v3, 16, v5
	v_lshlrev_b16 v7, 8, v10
	v_and_b32_e32 v6, 8, v2
	v_and_b32_sdwa v8, v11, v8 dst_sel:DWORD dst_unused:UNUSED_PAD src0_sel:WORD_1 src1_sel:DWORD
	v_sub_nc_u32_e32 v14, v4, v5
	v_sub_nc_u32_e32 v13, v3, v4
	v_or_b32_sdwa v7, v11, v7 dst_sel:DWORD dst_unused:UNUSED_PAD src0_sel:BYTE_0 src1_sel:DWORD
	s_mov_b32 s0, 0
	v_or_b32_sdwa v8, v12, v8 dst_sel:WORD_1 dst_unused:UNUSED_PAD src0_sel:DWORD src1_sel:DWORD
	v_sub_nc_u32_e32 v15, v6, v13
	v_cmp_ge_i32_e32 vcc_lo, v6, v13
	v_or_b32_sdwa v17, v7, v8 dst_sel:DWORD dst_unused:UNUSED_PAD src0_sel:WORD_0 src1_sel:DWORD
	v_min_i32_e32 v8, v6, v14
	v_cndmask_b32_e32 v7, 0, v15, vcc_lo
	v_cmp_lt_u16_e32 vcc_lo, v10, v12
	v_cndmask_b32_e32 v10, v11, v17, vcc_lo
	ds_write_b64 v16, v[9:10]
	; wave barrier
	v_cmpx_lt_i32_e64 v7, v8
	s_cbranch_execz .LBB140_4
; %bb.1:
	v_add_nc_u32_e32 v9, v0, v5
	v_add3_u32 v10, v0, v4, v6
	.p2align	6
.LBB140_2:                              ; =>This Inner Loop Header: Depth=1
	v_sub_nc_u32_e32 v11, v8, v7
	v_lshrrev_b32_e32 v11, 1, v11
	v_add_nc_u32_e32 v11, v11, v7
	v_add_nc_u32_e32 v12, v9, v11
	v_xad_u32 v13, v11, -1, v10
	v_add_nc_u32_e32 v14, 1, v11
	ds_read_u8 v12, v12
	ds_read_u8 v13, v13
	s_waitcnt lgkmcnt(0)
	v_cmp_lt_u16_e32 vcc_lo, v13, v12
	v_cndmask_b32_e32 v8, v8, v11, vcc_lo
	v_cndmask_b32_e32 v7, v14, v7, vcc_lo
	v_cmp_ge_i32_e32 vcc_lo, v7, v8
	s_or_b32 s0, vcc_lo, s0
	s_andn2_b32 exec_lo, exec_lo, s0
	s_cbranch_execnz .LBB140_2
; %bb.3:
	s_or_b32 exec_lo, exec_lo, s0
.LBB140_4:
	s_or_b32 exec_lo, exec_lo, s1
	v_add_nc_u32_e32 v6, v4, v6
	v_add_nc_u32_e32 v9, v7, v5
	v_sub_nc_u32_e32 v10, v6, v7
	v_add_nc_u32_e32 v8, v0, v9
	v_cmp_le_i32_e32 vcc_lo, v4, v9
                                        ; implicit-def: $vgpr7
	v_add_nc_u32_e32 v11, v0, v10
	v_cmp_gt_i32_e64 s0, v3, v10
	ds_read_u8 v5, v8
	ds_read_u8 v6, v11
	s_waitcnt lgkmcnt(0)
	v_cmp_lt_u16_sdwa s1, v6, v5 src0_sel:BYTE_0 src1_sel:BYTE_0
	s_or_b32 s1, vcc_lo, s1
	s_and_b32 s0, s0, s1
	s_xor_b32 s1, s0, -1
	s_and_saveexec_b32 s2, s1
	s_xor_b32 s1, exec_lo, s2
; %bb.5:
	ds_read_u8 v7, v8 offset:1
                                        ; implicit-def: $vgpr11
; %bb.6:
	s_or_saveexec_b32 s1, s1
	v_mov_b32_e32 v8, v6
	s_xor_b32 exec_lo, exec_lo, s1
	s_cbranch_execz .LBB140_8
; %bb.7:
	ds_read_u8 v8, v11 offset:1
	s_waitcnt lgkmcnt(1)
	v_mov_b32_e32 v7, v5
.LBB140_8:
	s_or_b32 exec_lo, exec_lo, s1
	v_add_nc_u32_e32 v11, 1, v9
	v_add_nc_u32_e32 v13, 1, v10
	s_waitcnt lgkmcnt(0)
	v_cmp_lt_u16_sdwa s2, v8, v7 src0_sel:BYTE_0 src1_sel:BYTE_0
	v_cndmask_b32_e64 v12, v11, v9, s0
	v_cndmask_b32_e64 v11, v10, v13, s0
                                        ; implicit-def: $vgpr9
	v_cmp_ge_i32_e32 vcc_lo, v12, v4
	v_cmp_lt_i32_e64 s1, v11, v3
	s_or_b32 s2, vcc_lo, s2
	s_and_b32 s1, s1, s2
	s_xor_b32 s2, s1, -1
	s_and_saveexec_b32 s3, s2
	s_xor_b32 s2, exec_lo, s3
; %bb.9:
	v_add_nc_u32_e32 v9, v0, v12
	ds_read_u8 v9, v9 offset:1
; %bb.10:
	s_or_saveexec_b32 s2, s2
	v_mov_b32_e32 v10, v8
	s_xor_b32 exec_lo, exec_lo, s2
	s_cbranch_execz .LBB140_12
; %bb.11:
	s_waitcnt lgkmcnt(0)
	v_add_nc_u32_e32 v9, v0, v11
	ds_read_u8 v10, v9 offset:1
	v_mov_b32_e32 v9, v7
.LBB140_12:
	s_or_b32 exec_lo, exec_lo, s2
	v_add_nc_u32_e32 v13, 1, v12
	v_add_nc_u32_e32 v15, 1, v11
	s_waitcnt lgkmcnt(0)
	v_cmp_lt_u16_sdwa s3, v10, v9 src0_sel:BYTE_0 src1_sel:BYTE_0
	v_cndmask_b32_e64 v14, v13, v12, s1
	v_cndmask_b32_e64 v13, v11, v15, s1
                                        ; implicit-def: $vgpr11
	v_cmp_ge_i32_e32 vcc_lo, v14, v4
	v_cmp_lt_i32_e64 s2, v13, v3
	s_or_b32 s3, vcc_lo, s3
	s_and_b32 s2, s2, s3
	s_xor_b32 s3, s2, -1
	s_and_saveexec_b32 s4, s3
	s_xor_b32 s3, exec_lo, s4
; %bb.13:
	v_add_nc_u32_e32 v11, v0, v14
	ds_read_u8 v11, v11 offset:1
; %bb.14:
	s_or_saveexec_b32 s3, s3
	v_mov_b32_e32 v12, v10
	s_xor_b32 exec_lo, exec_lo, s3
	s_cbranch_execz .LBB140_16
; %bb.15:
	s_waitcnt lgkmcnt(0)
	v_add_nc_u32_e32 v11, v0, v13
	ds_read_u8 v12, v11 offset:1
	v_mov_b32_e32 v11, v9
.LBB140_16:
	s_or_b32 exec_lo, exec_lo, s3
	v_add_nc_u32_e32 v15, 1, v14
	v_add_nc_u32_e32 v17, 1, v13
	s_waitcnt lgkmcnt(0)
	v_cmp_lt_u16_sdwa s4, v12, v11 src0_sel:BYTE_0 src1_sel:BYTE_0
	v_cndmask_b32_e64 v16, v15, v14, s2
	v_cndmask_b32_e64 v15, v13, v17, s2
                                        ; implicit-def: $vgpr13
	v_cmp_ge_i32_e32 vcc_lo, v16, v4
	v_cmp_lt_i32_e64 s3, v15, v3
	s_or_b32 s4, vcc_lo, s4
	s_and_b32 s3, s3, s4
	s_xor_b32 s4, s3, -1
	s_and_saveexec_b32 s5, s4
	s_xor_b32 s4, exec_lo, s5
; %bb.17:
	v_add_nc_u32_e32 v13, v0, v16
	ds_read_u8 v13, v13 offset:1
; %bb.18:
	s_or_saveexec_b32 s4, s4
	v_mov_b32_e32 v14, v12
	s_xor_b32 exec_lo, exec_lo, s4
	s_cbranch_execz .LBB140_20
; %bb.19:
	s_waitcnt lgkmcnt(0)
	v_add_nc_u32_e32 v13, v0, v15
	ds_read_u8 v14, v13 offset:1
	v_mov_b32_e32 v13, v11
.LBB140_20:
	s_or_b32 exec_lo, exec_lo, s4
	v_add_nc_u32_e32 v17, 1, v16
	v_add_nc_u32_e32 v19, 1, v15
	s_waitcnt lgkmcnt(0)
	v_cmp_lt_u16_sdwa s5, v14, v13 src0_sel:BYTE_0 src1_sel:BYTE_0
	v_cndmask_b32_e64 v18, v17, v16, s3
	v_cndmask_b32_e64 v17, v15, v19, s3
                                        ; implicit-def: $vgpr15
	v_cmp_ge_i32_e32 vcc_lo, v18, v4
	v_cmp_lt_i32_e64 s4, v17, v3
	s_or_b32 s5, vcc_lo, s5
	s_and_b32 s4, s4, s5
	s_xor_b32 s5, s4, -1
	s_and_saveexec_b32 s6, s5
	s_xor_b32 s5, exec_lo, s6
; %bb.21:
	v_add_nc_u32_e32 v15, v0, v18
	ds_read_u8 v15, v15 offset:1
; %bb.22:
	s_or_saveexec_b32 s5, s5
	v_mov_b32_e32 v16, v14
	s_xor_b32 exec_lo, exec_lo, s5
	s_cbranch_execz .LBB140_24
; %bb.23:
	s_waitcnt lgkmcnt(0)
	v_add_nc_u32_e32 v15, v0, v17
	ds_read_u8 v16, v15 offset:1
	v_mov_b32_e32 v15, v13
.LBB140_24:
	s_or_b32 exec_lo, exec_lo, s5
	v_add_nc_u32_e32 v19, 1, v18
	v_add_nc_u32_e32 v20, 1, v17
	s_waitcnt lgkmcnt(0)
	v_cmp_lt_u16_sdwa s6, v16, v15 src0_sel:BYTE_0 src1_sel:BYTE_0
	v_cndmask_b32_e64 v19, v19, v18, s4
	v_cndmask_b32_e64 v17, v17, v20, s4
                                        ; implicit-def: $vgpr18
	v_cmp_ge_i32_e32 vcc_lo, v19, v4
	v_cmp_lt_i32_e64 s5, v17, v3
	s_or_b32 s6, vcc_lo, s6
	s_and_b32 vcc_lo, s5, s6
	s_xor_b32 s5, vcc_lo, -1
	s_and_saveexec_b32 s6, s5
	s_xor_b32 s5, exec_lo, s6
; %bb.25:
	v_add_nc_u32_e32 v18, v0, v19
	ds_read_u8 v18, v18 offset:1
; %bb.26:
	s_or_saveexec_b32 s5, s5
	v_mov_b32_e32 v20, v16
	s_xor_b32 exec_lo, exec_lo, s5
	s_cbranch_execz .LBB140_28
; %bb.27:
	s_waitcnt lgkmcnt(0)
	v_add_nc_u32_e32 v18, v0, v17
	ds_read_u8 v20, v18 offset:1
	v_mov_b32_e32 v18, v15
.LBB140_28:
	s_or_b32 exec_lo, exec_lo, s5
	v_add_nc_u32_e32 v21, 1, v19
	v_add_nc_u32_e32 v22, 1, v17
	s_waitcnt lgkmcnt(0)
	v_cmp_lt_u16_sdwa s8, v20, v18 src0_sel:BYTE_0 src1_sel:BYTE_0
	v_cndmask_b32_e32 v21, v21, v19, vcc_lo
	v_cndmask_b32_e32 v22, v17, v22, vcc_lo
                                        ; implicit-def: $vgpr17
	v_cmp_ge_i32_e64 s5, v21, v4
	v_cmp_lt_i32_e64 s6, v22, v3
	s_or_b32 s5, s5, s8
	s_and_b32 s5, s6, s5
	s_xor_b32 s6, s5, -1
	s_and_saveexec_b32 s8, s6
	s_xor_b32 s6, exec_lo, s8
; %bb.29:
	v_add_nc_u32_e32 v17, v0, v21
	ds_read_u8 v17, v17 offset:1
; %bb.30:
	s_or_saveexec_b32 s6, s6
	v_mov_b32_e32 v19, v20
	s_xor_b32 exec_lo, exec_lo, s6
	s_cbranch_execz .LBB140_32
; %bb.31:
	s_waitcnt lgkmcnt(0)
	v_add_nc_u32_e32 v17, v0, v22
	ds_read_u8 v19, v17 offset:1
	v_mov_b32_e32 v17, v18
.LBB140_32:
	s_or_b32 exec_lo, exec_lo, s6
	v_add_nc_u32_e32 v24, 1, v21
	v_add_nc_u32_e32 v23, 1, v22
	v_cndmask_b32_e64 v18, v18, v20, s5
	v_cndmask_b32_sdwa v15, v15, v16, vcc_lo dst_sel:BYTE_1 dst_unused:UNUSED_PAD src0_sel:DWORD src1_sel:DWORD
	s_mov_b32 vcc_lo, s3
	v_cndmask_b32_e64 v21, v24, v21, s5
	v_cndmask_b32_e64 v20, v22, v23, s5
	v_cndmask_b32_sdwa v11, v11, v12, vcc_lo dst_sel:BYTE_1 dst_unused:UNUSED_PAD src0_sel:DWORD src1_sel:DWORD
	v_cndmask_b32_e64 v9, v9, v10, s2
	s_waitcnt lgkmcnt(0)
	v_cmp_lt_u16_sdwa s2, v19, v17 src0_sel:BYTE_0 src1_sel:BYTE_0
	v_cmp_ge_i32_e32 vcc_lo, v21, v4
	v_cndmask_b32_e64 v4, v7, v8, s1
	v_cndmask_b32_e64 v8, v5, v6, s0
	v_cmp_lt_i32_e64 s0, v20, v3
	v_and_b32_e32 v7, 0xe0, v2
	s_or_b32 s1, vcc_lo, s2
	v_lshlrev_b16 v10, 8, v4
	v_cndmask_b32_e64 v13, v13, v14, s4
	s_and_b32 vcc_lo, s0, s1
	v_or_b32_e32 v5, 16, v7
	v_add_nc_u32_e32 v4, 32, v7
	v_cndmask_b32_e32 v12, v17, v19, vcc_lo
	v_and_b32_e32 v6, 24, v2
	v_or_b32_sdwa v8, v8, v10 dst_sel:DWORD dst_unused:UNUSED_PAD src0_sel:BYTE_0 src1_sel:DWORD
	v_or_b32_sdwa v9, v9, v11 dst_sel:WORD_1 dst_unused:UNUSED_PAD src0_sel:BYTE_0 src1_sel:DWORD
	v_sub_nc_u32_e32 v14, v4, v5
	v_lshlrev_b16 v10, 8, v12
	v_or_b32_sdwa v11, v13, v15 dst_sel:DWORD dst_unused:UNUSED_PAD src0_sel:BYTE_0 src1_sel:DWORD
	v_sub_nc_u32_e32 v13, v5, v7
	v_add_nc_u32_e32 v3, v0, v2
	v_sub_nc_u32_e32 v12, v6, v14
	v_or_b32_sdwa v15, v18, v10 dst_sel:WORD_1 dst_unused:UNUSED_PAD src0_sel:BYTE_0 src1_sel:DWORD
	v_cmp_ge_i32_e32 vcc_lo, v6, v14
	v_or_b32_sdwa v10, v8, v9 dst_sel:DWORD dst_unused:UNUSED_PAD src0_sel:WORD_0 src1_sel:DWORD
	v_min_i32_e32 v9, v6, v13
	s_mov_b32 s1, 0
	v_or_b32_sdwa v11, v11, v15 dst_sel:DWORD dst_unused:UNUSED_PAD src0_sel:WORD_0 src1_sel:DWORD
	v_cndmask_b32_e32 v8, 0, v12, vcc_lo
	s_mov_b32 s0, exec_lo
	; wave barrier
	ds_write_b64 v3, v[10:11]
	; wave barrier
	v_cmpx_lt_i32_e64 v8, v9
	s_cbranch_execz .LBB140_36
; %bb.33:
	v_add_nc_u32_e32 v10, v0, v7
	v_add3_u32 v11, v0, v5, v6
	.p2align	6
.LBB140_34:                             ; =>This Inner Loop Header: Depth=1
	v_sub_nc_u32_e32 v12, v9, v8
	v_lshrrev_b32_e32 v12, 1, v12
	v_add_nc_u32_e32 v12, v12, v8
	v_add_nc_u32_e32 v13, v10, v12
	v_xad_u32 v14, v12, -1, v11
	v_add_nc_u32_e32 v15, 1, v12
	ds_read_u8 v13, v13
	ds_read_u8 v14, v14
	s_waitcnt lgkmcnt(0)
	v_cmp_lt_u16_e32 vcc_lo, v14, v13
	v_cndmask_b32_e32 v9, v9, v12, vcc_lo
	v_cndmask_b32_e32 v8, v15, v8, vcc_lo
	v_cmp_ge_i32_e32 vcc_lo, v8, v9
	s_or_b32 s1, vcc_lo, s1
	s_andn2_b32 exec_lo, exec_lo, s1
	s_cbranch_execnz .LBB140_34
; %bb.35:
	s_or_b32 exec_lo, exec_lo, s1
.LBB140_36:
	s_or_b32 exec_lo, exec_lo, s0
	v_add_nc_u32_e32 v6, v5, v6
	v_add_nc_u32_e32 v9, v8, v7
	v_sub_nc_u32_e32 v11, v6, v8
	v_add_nc_u32_e32 v10, v0, v9
	v_cmp_le_i32_e32 vcc_lo, v5, v9
                                        ; implicit-def: $vgpr8
	v_add_nc_u32_e32 v12, v0, v11
	v_cmp_gt_i32_e64 s0, v4, v11
	ds_read_u8 v6, v10
	ds_read_u8 v7, v12
	s_waitcnt lgkmcnt(0)
	v_cmp_lt_u16_sdwa s1, v7, v6 src0_sel:BYTE_0 src1_sel:BYTE_0
	s_or_b32 s1, vcc_lo, s1
	s_and_b32 s0, s0, s1
	s_xor_b32 s1, s0, -1
	s_and_saveexec_b32 s2, s1
	s_xor_b32 s1, exec_lo, s2
; %bb.37:
	ds_read_u8 v8, v10 offset:1
                                        ; implicit-def: $vgpr12
; %bb.38:
	s_or_saveexec_b32 s1, s1
	v_mov_b32_e32 v10, v7
	s_xor_b32 exec_lo, exec_lo, s1
	s_cbranch_execz .LBB140_40
; %bb.39:
	ds_read_u8 v10, v12 offset:1
	s_waitcnt lgkmcnt(1)
	v_mov_b32_e32 v8, v6
.LBB140_40:
	s_or_b32 exec_lo, exec_lo, s1
	v_add_nc_u32_e32 v12, 1, v9
	v_add_nc_u32_e32 v14, 1, v11
	s_waitcnt lgkmcnt(0)
	v_cmp_lt_u16_sdwa s2, v10, v8 src0_sel:BYTE_0 src1_sel:BYTE_0
	v_cndmask_b32_e64 v13, v12, v9, s0
	v_cndmask_b32_e64 v12, v11, v14, s0
                                        ; implicit-def: $vgpr9
	v_cmp_ge_i32_e32 vcc_lo, v13, v5
	v_cmp_lt_i32_e64 s1, v12, v4
	s_or_b32 s2, vcc_lo, s2
	s_and_b32 s1, s1, s2
	s_xor_b32 s2, s1, -1
	s_and_saveexec_b32 s3, s2
	s_xor_b32 s2, exec_lo, s3
; %bb.41:
	v_add_nc_u32_e32 v9, v0, v13
	ds_read_u8 v9, v9 offset:1
; %bb.42:
	s_or_saveexec_b32 s2, s2
	v_mov_b32_e32 v11, v10
	s_xor_b32 exec_lo, exec_lo, s2
	s_cbranch_execz .LBB140_44
; %bb.43:
	s_waitcnt lgkmcnt(0)
	v_add_nc_u32_e32 v9, v0, v12
	ds_read_u8 v11, v9 offset:1
	v_mov_b32_e32 v9, v8
.LBB140_44:
	s_or_b32 exec_lo, exec_lo, s2
	v_add_nc_u32_e32 v14, 1, v13
	v_add_nc_u32_e32 v16, 1, v12
	s_waitcnt lgkmcnt(0)
	v_cmp_lt_u16_sdwa s3, v11, v9 src0_sel:BYTE_0 src1_sel:BYTE_0
	v_cndmask_b32_e64 v15, v14, v13, s1
	v_cndmask_b32_e64 v14, v12, v16, s1
                                        ; implicit-def: $vgpr12
	v_cmp_ge_i32_e32 vcc_lo, v15, v5
	v_cmp_lt_i32_e64 s2, v14, v4
	s_or_b32 s3, vcc_lo, s3
	s_and_b32 s2, s2, s3
	s_xor_b32 s3, s2, -1
	s_and_saveexec_b32 s4, s3
	s_xor_b32 s3, exec_lo, s4
; %bb.45:
	v_add_nc_u32_e32 v12, v0, v15
	ds_read_u8 v12, v12 offset:1
; %bb.46:
	s_or_saveexec_b32 s3, s3
	v_mov_b32_e32 v13, v11
	s_xor_b32 exec_lo, exec_lo, s3
	s_cbranch_execz .LBB140_48
; %bb.47:
	s_waitcnt lgkmcnt(0)
	v_add_nc_u32_e32 v12, v0, v14
	ds_read_u8 v13, v12 offset:1
	v_mov_b32_e32 v12, v9
.LBB140_48:
	s_or_b32 exec_lo, exec_lo, s3
	v_add_nc_u32_e32 v16, 1, v15
	v_add_nc_u32_e32 v18, 1, v14
	s_waitcnt lgkmcnt(0)
	v_cmp_lt_u16_sdwa s4, v13, v12 src0_sel:BYTE_0 src1_sel:BYTE_0
	v_cndmask_b32_e64 v17, v16, v15, s2
	v_cndmask_b32_e64 v16, v14, v18, s2
                                        ; implicit-def: $vgpr14
	v_cmp_ge_i32_e32 vcc_lo, v17, v5
	v_cmp_lt_i32_e64 s3, v16, v4
	s_or_b32 s4, vcc_lo, s4
	s_and_b32 s3, s3, s4
	s_xor_b32 s4, s3, -1
	s_and_saveexec_b32 s5, s4
	s_xor_b32 s4, exec_lo, s5
; %bb.49:
	v_add_nc_u32_e32 v14, v0, v17
	ds_read_u8 v14, v14 offset:1
; %bb.50:
	s_or_saveexec_b32 s4, s4
	v_mov_b32_e32 v15, v13
	s_xor_b32 exec_lo, exec_lo, s4
	s_cbranch_execz .LBB140_52
; %bb.51:
	s_waitcnt lgkmcnt(0)
	v_add_nc_u32_e32 v14, v0, v16
	ds_read_u8 v15, v14 offset:1
	v_mov_b32_e32 v14, v12
.LBB140_52:
	s_or_b32 exec_lo, exec_lo, s4
	v_add_nc_u32_e32 v18, 1, v17
	v_add_nc_u32_e32 v20, 1, v16
	s_waitcnt lgkmcnt(0)
	v_cmp_lt_u16_sdwa s5, v15, v14 src0_sel:BYTE_0 src1_sel:BYTE_0
	v_cndmask_b32_e64 v19, v18, v17, s3
	v_cndmask_b32_e64 v18, v16, v20, s3
                                        ; implicit-def: $vgpr16
	v_cmp_ge_i32_e32 vcc_lo, v19, v5
	v_cmp_lt_i32_e64 s4, v18, v4
	s_or_b32 s5, vcc_lo, s5
	s_and_b32 s4, s4, s5
	s_xor_b32 s5, s4, -1
	s_and_saveexec_b32 s6, s5
	s_xor_b32 s5, exec_lo, s6
; %bb.53:
	v_add_nc_u32_e32 v16, v0, v19
	ds_read_u8 v16, v16 offset:1
; %bb.54:
	s_or_saveexec_b32 s5, s5
	v_mov_b32_e32 v17, v15
	s_xor_b32 exec_lo, exec_lo, s5
	s_cbranch_execz .LBB140_56
; %bb.55:
	s_waitcnt lgkmcnt(0)
	v_add_nc_u32_e32 v16, v0, v18
	ds_read_u8 v17, v16 offset:1
	v_mov_b32_e32 v16, v14
.LBB140_56:
	s_or_b32 exec_lo, exec_lo, s5
	v_add_nc_u32_e32 v20, 1, v19
	v_add_nc_u32_e32 v21, 1, v18
	s_waitcnt lgkmcnt(0)
	v_cmp_lt_u16_sdwa s6, v17, v16 src0_sel:BYTE_0 src1_sel:BYTE_0
	v_cndmask_b32_e64 v20, v20, v19, s4
	v_cndmask_b32_e64 v18, v18, v21, s4
                                        ; implicit-def: $vgpr19
	v_cmp_ge_i32_e32 vcc_lo, v20, v5
	v_cmp_lt_i32_e64 s5, v18, v4
	s_or_b32 s6, vcc_lo, s6
	s_and_b32 vcc_lo, s5, s6
	s_xor_b32 s5, vcc_lo, -1
	s_and_saveexec_b32 s6, s5
	s_xor_b32 s5, exec_lo, s6
; %bb.57:
	v_add_nc_u32_e32 v19, v0, v20
	ds_read_u8 v19, v19 offset:1
; %bb.58:
	s_or_saveexec_b32 s5, s5
	v_mov_b32_e32 v21, v17
	s_xor_b32 exec_lo, exec_lo, s5
	s_cbranch_execz .LBB140_60
; %bb.59:
	s_waitcnt lgkmcnt(0)
	v_add_nc_u32_e32 v19, v0, v18
	ds_read_u8 v21, v19 offset:1
	v_mov_b32_e32 v19, v16
.LBB140_60:
	s_or_b32 exec_lo, exec_lo, s5
	v_add_nc_u32_e32 v22, 1, v20
	v_add_nc_u32_e32 v24, 1, v18
	s_waitcnt lgkmcnt(0)
	v_cmp_lt_u16_sdwa s8, v21, v19 src0_sel:BYTE_0 src1_sel:BYTE_0
	v_cndmask_b32_e32 v23, v22, v20, vcc_lo
	v_cndmask_b32_e32 v22, v18, v24, vcc_lo
                                        ; implicit-def: $vgpr18
	v_cmp_ge_i32_e64 s5, v23, v5
	v_cmp_lt_i32_e64 s6, v22, v4
	s_or_b32 s5, s5, s8
	s_and_b32 s5, s6, s5
	s_xor_b32 s6, s5, -1
	s_and_saveexec_b32 s8, s6
	s_xor_b32 s6, exec_lo, s8
; %bb.61:
	v_add_nc_u32_e32 v18, v0, v23
	ds_read_u8 v18, v18 offset:1
; %bb.62:
	s_or_saveexec_b32 s6, s6
	v_mov_b32_e32 v20, v21
	s_xor_b32 exec_lo, exec_lo, s6
	s_cbranch_execz .LBB140_64
; %bb.63:
	s_waitcnt lgkmcnt(0)
	v_add_nc_u32_e32 v18, v0, v22
	ds_read_u8 v20, v18 offset:1
	v_mov_b32_e32 v18, v19
.LBB140_64:
	s_or_b32 exec_lo, exec_lo, s6
	v_add_nc_u32_e32 v24, 1, v23
	v_cndmask_b32_e64 v19, v19, v21, s5
	v_add_nc_u32_e32 v21, 1, v22
	v_cndmask_b32_sdwa v16, v16, v17, vcc_lo dst_sel:BYTE_1 dst_unused:UNUSED_PAD src0_sel:DWORD src1_sel:DWORD
	s_mov_b32 vcc_lo, s3
	v_cndmask_b32_e64 v17, v24, v23, s5
	v_cndmask_b32_sdwa v12, v12, v13, vcc_lo dst_sel:BYTE_1 dst_unused:UNUSED_PAD src0_sel:DWORD src1_sel:DWORD
	v_cndmask_b32_e64 v13, v22, v21, s5
	s_waitcnt lgkmcnt(0)
	v_cmp_lt_u16_sdwa s3, v20, v18 src0_sel:BYTE_0 src1_sel:BYTE_0
	v_cndmask_b32_e64 v7, v6, v7, s0
	v_cmp_ge_i32_e32 vcc_lo, v17, v5
	v_cndmask_b32_e64 v5, v8, v10, s1
	v_cmp_lt_i32_e64 s0, v13, v4
	v_and_b32_e32 v8, 0xc0, v2
	v_cndmask_b32_e64 v14, v14, v15, s4
	s_or_b32 s1, vcc_lo, s3
	v_lshlrev_b16 v10, 8, v5
	s_and_b32 vcc_lo, s0, s1
	v_or_b32_e32 v5, 32, v8
	v_add_nc_u32_e32 v4, 64, v8
	v_cndmask_b32_e32 v13, v18, v20, vcc_lo
	v_cndmask_b32_e64 v9, v9, v11, s2
	v_and_b32_e32 v6, 56, v2
	v_or_b32_sdwa v7, v7, v10 dst_sel:DWORD dst_unused:UNUSED_PAD src0_sel:BYTE_0 src1_sel:DWORD
	v_sub_nc_u32_e32 v11, v4, v5
	v_lshlrev_b16 v10, 8, v13
	v_or_b32_sdwa v9, v9, v12 dst_sel:WORD_1 dst_unused:UNUSED_PAD src0_sel:BYTE_0 src1_sel:DWORD
	v_or_b32_sdwa v12, v14, v16 dst_sel:DWORD dst_unused:UNUSED_PAD src0_sel:BYTE_0 src1_sel:DWORD
	v_sub_nc_u32_e32 v14, v5, v8
	v_sub_nc_u32_e32 v13, v6, v11
	v_or_b32_sdwa v15, v19, v10 dst_sel:WORD_1 dst_unused:UNUSED_PAD src0_sel:BYTE_0 src1_sel:DWORD
	v_cmp_ge_i32_e32 vcc_lo, v6, v11
	v_or_b32_sdwa v10, v7, v9 dst_sel:DWORD dst_unused:UNUSED_PAD src0_sel:WORD_0 src1_sel:DWORD
	v_min_i32_e32 v9, v6, v14
	s_mov_b32 s1, 0
	v_or_b32_sdwa v11, v12, v15 dst_sel:DWORD dst_unused:UNUSED_PAD src0_sel:WORD_0 src1_sel:DWORD
	v_cndmask_b32_e32 v7, 0, v13, vcc_lo
	s_mov_b32 s0, exec_lo
	; wave barrier
	ds_write_b64 v3, v[10:11]
	; wave barrier
	v_cmpx_lt_i32_e64 v7, v9
	s_cbranch_execz .LBB140_68
; %bb.65:
	v_add_nc_u32_e32 v10, v0, v8
	v_add3_u32 v11, v0, v5, v6
	.p2align	6
.LBB140_66:                             ; =>This Inner Loop Header: Depth=1
	v_sub_nc_u32_e32 v12, v9, v7
	v_lshrrev_b32_e32 v12, 1, v12
	v_add_nc_u32_e32 v12, v12, v7
	v_add_nc_u32_e32 v13, v10, v12
	v_xad_u32 v14, v12, -1, v11
	v_add_nc_u32_e32 v15, 1, v12
	ds_read_u8 v13, v13
	ds_read_u8 v14, v14
	s_waitcnt lgkmcnt(0)
	v_cmp_lt_u16_e32 vcc_lo, v14, v13
	v_cndmask_b32_e32 v9, v9, v12, vcc_lo
	v_cndmask_b32_e32 v7, v15, v7, vcc_lo
	v_cmp_ge_i32_e32 vcc_lo, v7, v9
	s_or_b32 s1, vcc_lo, s1
	s_andn2_b32 exec_lo, exec_lo, s1
	s_cbranch_execnz .LBB140_66
; %bb.67:
	s_or_b32 exec_lo, exec_lo, s1
.LBB140_68:
	s_or_b32 exec_lo, exec_lo, s0
	v_add_nc_u32_e32 v6, v5, v6
	v_add_nc_u32_e32 v9, v7, v8
                                        ; implicit-def: $vgpr8
	v_sub_nc_u32_e32 v11, v6, v7
	v_add_nc_u32_e32 v10, v0, v9
	v_cmp_le_i32_e32 vcc_lo, v5, v9
	v_add_nc_u32_e32 v12, v0, v11
	v_cmp_gt_i32_e64 s0, v4, v11
	ds_read_u8 v6, v10
	ds_read_u8 v7, v12
	s_waitcnt lgkmcnt(0)
	v_cmp_lt_u16_sdwa s1, v7, v6 src0_sel:BYTE_0 src1_sel:BYTE_0
	s_or_b32 s1, vcc_lo, s1
	s_and_b32 s0, s0, s1
	s_xor_b32 s1, s0, -1
	s_and_saveexec_b32 s2, s1
	s_xor_b32 s1, exec_lo, s2
; %bb.69:
	ds_read_u8 v8, v10 offset:1
                                        ; implicit-def: $vgpr12
; %bb.70:
	s_or_saveexec_b32 s1, s1
	v_mov_b32_e32 v10, v7
	s_xor_b32 exec_lo, exec_lo, s1
	s_cbranch_execz .LBB140_72
; %bb.71:
	ds_read_u8 v10, v12 offset:1
	s_waitcnt lgkmcnt(1)
	v_mov_b32_e32 v8, v6
.LBB140_72:
	s_or_b32 exec_lo, exec_lo, s1
	v_add_nc_u32_e32 v12, 1, v9
	v_add_nc_u32_e32 v14, 1, v11
	s_waitcnt lgkmcnt(0)
	v_cmp_lt_u16_sdwa s2, v10, v8 src0_sel:BYTE_0 src1_sel:BYTE_0
	v_cndmask_b32_e64 v13, v12, v9, s0
	v_cndmask_b32_e64 v12, v11, v14, s0
                                        ; implicit-def: $vgpr9
	v_cmp_ge_i32_e32 vcc_lo, v13, v5
	v_cmp_lt_i32_e64 s1, v12, v4
	s_or_b32 s2, vcc_lo, s2
	s_and_b32 s1, s1, s2
	s_xor_b32 s2, s1, -1
	s_and_saveexec_b32 s3, s2
	s_xor_b32 s2, exec_lo, s3
; %bb.73:
	v_add_nc_u32_e32 v9, v0, v13
	ds_read_u8 v9, v9 offset:1
; %bb.74:
	s_or_saveexec_b32 s2, s2
	v_mov_b32_e32 v11, v10
	s_xor_b32 exec_lo, exec_lo, s2
	s_cbranch_execz .LBB140_76
; %bb.75:
	s_waitcnt lgkmcnt(0)
	v_add_nc_u32_e32 v9, v0, v12
	ds_read_u8 v11, v9 offset:1
	v_mov_b32_e32 v9, v8
.LBB140_76:
	s_or_b32 exec_lo, exec_lo, s2
	v_add_nc_u32_e32 v14, 1, v13
	v_add_nc_u32_e32 v16, 1, v12
	s_waitcnt lgkmcnt(0)
	v_cmp_lt_u16_sdwa s3, v11, v9 src0_sel:BYTE_0 src1_sel:BYTE_0
	v_cndmask_b32_e64 v15, v14, v13, s1
	v_cndmask_b32_e64 v14, v12, v16, s1
                                        ; implicit-def: $vgpr12
	v_cmp_ge_i32_e32 vcc_lo, v15, v5
	v_cmp_lt_i32_e64 s2, v14, v4
	s_or_b32 s3, vcc_lo, s3
	s_and_b32 s2, s2, s3
	s_xor_b32 s3, s2, -1
	s_and_saveexec_b32 s4, s3
	s_xor_b32 s3, exec_lo, s4
; %bb.77:
	v_add_nc_u32_e32 v12, v0, v15
	ds_read_u8 v12, v12 offset:1
; %bb.78:
	s_or_saveexec_b32 s3, s3
	v_mov_b32_e32 v13, v11
	s_xor_b32 exec_lo, exec_lo, s3
	s_cbranch_execz .LBB140_80
; %bb.79:
	s_waitcnt lgkmcnt(0)
	v_add_nc_u32_e32 v12, v0, v14
	ds_read_u8 v13, v12 offset:1
	v_mov_b32_e32 v12, v9
.LBB140_80:
	s_or_b32 exec_lo, exec_lo, s3
	v_add_nc_u32_e32 v16, 1, v15
	v_add_nc_u32_e32 v18, 1, v14
	s_waitcnt lgkmcnt(0)
	v_cmp_lt_u16_sdwa s4, v13, v12 src0_sel:BYTE_0 src1_sel:BYTE_0
	v_cndmask_b32_e64 v17, v16, v15, s2
	v_cndmask_b32_e64 v16, v14, v18, s2
                                        ; implicit-def: $vgpr14
	v_cmp_ge_i32_e32 vcc_lo, v17, v5
	v_cmp_lt_i32_e64 s3, v16, v4
	s_or_b32 s4, vcc_lo, s4
	s_and_b32 s3, s3, s4
	s_xor_b32 s4, s3, -1
	s_and_saveexec_b32 s5, s4
	s_xor_b32 s4, exec_lo, s5
; %bb.81:
	v_add_nc_u32_e32 v14, v0, v17
	ds_read_u8 v14, v14 offset:1
; %bb.82:
	s_or_saveexec_b32 s4, s4
	v_mov_b32_e32 v15, v13
	s_xor_b32 exec_lo, exec_lo, s4
	s_cbranch_execz .LBB140_84
; %bb.83:
	s_waitcnt lgkmcnt(0)
	v_add_nc_u32_e32 v14, v0, v16
	ds_read_u8 v15, v14 offset:1
	v_mov_b32_e32 v14, v12
.LBB140_84:
	s_or_b32 exec_lo, exec_lo, s4
	v_add_nc_u32_e32 v18, 1, v17
	v_add_nc_u32_e32 v20, 1, v16
	s_waitcnt lgkmcnt(0)
	v_cmp_lt_u16_sdwa s5, v15, v14 src0_sel:BYTE_0 src1_sel:BYTE_0
	v_cndmask_b32_e64 v19, v18, v17, s3
	v_cndmask_b32_e64 v18, v16, v20, s3
                                        ; implicit-def: $vgpr16
	v_cmp_ge_i32_e32 vcc_lo, v19, v5
	v_cmp_lt_i32_e64 s4, v18, v4
	s_or_b32 s5, vcc_lo, s5
	s_and_b32 s4, s4, s5
	s_xor_b32 s5, s4, -1
	s_and_saveexec_b32 s6, s5
	s_xor_b32 s5, exec_lo, s6
; %bb.85:
	v_add_nc_u32_e32 v16, v0, v19
	ds_read_u8 v16, v16 offset:1
; %bb.86:
	s_or_saveexec_b32 s5, s5
	v_mov_b32_e32 v17, v15
	s_xor_b32 exec_lo, exec_lo, s5
	s_cbranch_execz .LBB140_88
; %bb.87:
	s_waitcnt lgkmcnt(0)
	v_add_nc_u32_e32 v16, v0, v18
	ds_read_u8 v17, v16 offset:1
	v_mov_b32_e32 v16, v14
.LBB140_88:
	s_or_b32 exec_lo, exec_lo, s5
	v_add_nc_u32_e32 v20, 1, v19
	v_add_nc_u32_e32 v21, 1, v18
	s_waitcnt lgkmcnt(0)
	v_cmp_lt_u16_sdwa s6, v17, v16 src0_sel:BYTE_0 src1_sel:BYTE_0
	v_cndmask_b32_e64 v20, v20, v19, s4
	v_cndmask_b32_e64 v18, v18, v21, s4
                                        ; implicit-def: $vgpr19
	v_cmp_ge_i32_e32 vcc_lo, v20, v5
	v_cmp_lt_i32_e64 s5, v18, v4
	s_or_b32 s6, vcc_lo, s6
	s_and_b32 vcc_lo, s5, s6
	s_xor_b32 s5, vcc_lo, -1
	s_and_saveexec_b32 s6, s5
	s_xor_b32 s5, exec_lo, s6
; %bb.89:
	v_add_nc_u32_e32 v19, v0, v20
	ds_read_u8 v19, v19 offset:1
; %bb.90:
	s_or_saveexec_b32 s5, s5
	v_mov_b32_e32 v21, v17
	s_xor_b32 exec_lo, exec_lo, s5
	s_cbranch_execz .LBB140_92
; %bb.91:
	s_waitcnt lgkmcnt(0)
	v_add_nc_u32_e32 v19, v0, v18
	ds_read_u8 v21, v19 offset:1
	v_mov_b32_e32 v19, v16
.LBB140_92:
	s_or_b32 exec_lo, exec_lo, s5
	v_add_nc_u32_e32 v22, 1, v20
	v_add_nc_u32_e32 v24, 1, v18
	s_waitcnt lgkmcnt(0)
	v_cmp_lt_u16_sdwa s8, v21, v19 src0_sel:BYTE_0 src1_sel:BYTE_0
	v_cndmask_b32_e32 v23, v22, v20, vcc_lo
	v_cndmask_b32_e32 v22, v18, v24, vcc_lo
                                        ; implicit-def: $vgpr18
	v_cmp_ge_i32_e64 s5, v23, v5
	v_cmp_lt_i32_e64 s6, v22, v4
	s_or_b32 s5, s5, s8
	s_and_b32 s5, s6, s5
	s_xor_b32 s6, s5, -1
	s_and_saveexec_b32 s8, s6
	s_xor_b32 s6, exec_lo, s8
; %bb.93:
	v_add_nc_u32_e32 v18, v0, v23
	ds_read_u8 v18, v18 offset:1
; %bb.94:
	s_or_saveexec_b32 s6, s6
	v_mov_b32_e32 v20, v21
	s_xor_b32 exec_lo, exec_lo, s6
	s_cbranch_execz .LBB140_96
; %bb.95:
	s_waitcnt lgkmcnt(0)
	v_add_nc_u32_e32 v18, v0, v22
	ds_read_u8 v20, v18 offset:1
	v_mov_b32_e32 v18, v19
.LBB140_96:
	s_or_b32 exec_lo, exec_lo, s6
	v_add_nc_u32_e32 v24, 1, v23
	v_cndmask_b32_e64 v19, v19, v21, s5
	v_add_nc_u32_e32 v21, 1, v22
	v_cndmask_b32_sdwa v16, v16, v17, vcc_lo dst_sel:BYTE_1 dst_unused:UNUSED_PAD src0_sel:DWORD src1_sel:DWORD
	s_mov_b32 vcc_lo, s3
	v_cndmask_b32_e64 v17, v24, v23, s5
	v_cndmask_b32_sdwa v12, v12, v13, vcc_lo dst_sel:BYTE_1 dst_unused:UNUSED_PAD src0_sel:DWORD src1_sel:DWORD
	v_cndmask_b32_e64 v13, v22, v21, s5
	s_waitcnt lgkmcnt(0)
	v_cmp_lt_u16_sdwa s3, v20, v18 src0_sel:BYTE_0 src1_sel:BYTE_0
	v_cndmask_b32_e64 v7, v6, v7, s0
	v_cmp_ge_i32_e32 vcc_lo, v17, v5
	v_cndmask_b32_e64 v5, v8, v10, s1
	v_cmp_lt_i32_e64 s0, v13, v4
	v_and_b32_e32 v8, 0x80, v2
	v_cndmask_b32_e64 v14, v14, v15, s4
	s_or_b32 s1, vcc_lo, s3
	v_lshlrev_b16 v10, 8, v5
	s_and_b32 vcc_lo, s0, s1
	v_or_b32_e32 v5, 64, v8
	v_add_nc_u32_e32 v4, 0x80, v8
	v_cndmask_b32_e32 v13, v18, v20, vcc_lo
	v_cndmask_b32_e64 v9, v9, v11, s2
	v_and_b32_e32 v6, 0x78, v2
	v_or_b32_sdwa v7, v7, v10 dst_sel:DWORD dst_unused:UNUSED_PAD src0_sel:BYTE_0 src1_sel:DWORD
	v_sub_nc_u32_e32 v11, v4, v5
	v_lshlrev_b16 v10, 8, v13
	v_or_b32_sdwa v9, v9, v12 dst_sel:WORD_1 dst_unused:UNUSED_PAD src0_sel:BYTE_0 src1_sel:DWORD
	v_or_b32_sdwa v12, v14, v16 dst_sel:DWORD dst_unused:UNUSED_PAD src0_sel:BYTE_0 src1_sel:DWORD
	v_sub_nc_u32_e32 v14, v5, v8
	v_sub_nc_u32_e32 v13, v6, v11
	v_or_b32_sdwa v15, v19, v10 dst_sel:WORD_1 dst_unused:UNUSED_PAD src0_sel:BYTE_0 src1_sel:DWORD
	v_cmp_ge_i32_e32 vcc_lo, v6, v11
	v_or_b32_sdwa v10, v7, v9 dst_sel:DWORD dst_unused:UNUSED_PAD src0_sel:WORD_0 src1_sel:DWORD
	v_min_i32_e32 v9, v6, v14
	s_mov_b32 s1, 0
	v_or_b32_sdwa v11, v12, v15 dst_sel:DWORD dst_unused:UNUSED_PAD src0_sel:WORD_0 src1_sel:DWORD
	v_cndmask_b32_e32 v7, 0, v13, vcc_lo
	s_mov_b32 s0, exec_lo
	; wave barrier
	ds_write_b64 v3, v[10:11]
	; wave barrier
	v_cmpx_lt_i32_e64 v7, v9
	s_cbranch_execz .LBB140_100
; %bb.97:
	v_add_nc_u32_e32 v10, v0, v8
	v_add3_u32 v11, v0, v5, v6
	.p2align	6
.LBB140_98:                             ; =>This Inner Loop Header: Depth=1
	v_sub_nc_u32_e32 v12, v9, v7
	v_lshrrev_b32_e32 v12, 1, v12
	v_add_nc_u32_e32 v12, v12, v7
	v_add_nc_u32_e32 v13, v10, v12
	v_xad_u32 v14, v12, -1, v11
	v_add_nc_u32_e32 v15, 1, v12
	ds_read_u8 v13, v13
	ds_read_u8 v14, v14
	s_waitcnt lgkmcnt(0)
	v_cmp_lt_u16_e32 vcc_lo, v14, v13
	v_cndmask_b32_e32 v9, v9, v12, vcc_lo
	v_cndmask_b32_e32 v7, v15, v7, vcc_lo
	v_cmp_ge_i32_e32 vcc_lo, v7, v9
	s_or_b32 s1, vcc_lo, s1
	s_andn2_b32 exec_lo, exec_lo, s1
	s_cbranch_execnz .LBB140_98
; %bb.99:
	s_or_b32 exec_lo, exec_lo, s1
.LBB140_100:
	s_or_b32 exec_lo, exec_lo, s0
	v_add_nc_u32_e32 v6, v5, v6
	v_add_nc_u32_e32 v10, v7, v8
                                        ; implicit-def: $vgpr8
	v_sub_nc_u32_e32 v11, v6, v7
	v_add_nc_u32_e32 v9, v0, v10
	v_cmp_le_i32_e32 vcc_lo, v5, v10
	v_add_nc_u32_e32 v12, v0, v11
	v_cmp_gt_i32_e64 s0, v4, v11
	ds_read_u8 v6, v9
	ds_read_u8 v7, v12
	s_waitcnt lgkmcnt(0)
	v_cmp_lt_u16_sdwa s1, v7, v6 src0_sel:BYTE_0 src1_sel:BYTE_0
	s_or_b32 s1, vcc_lo, s1
	s_and_b32 s0, s0, s1
	s_xor_b32 s1, s0, -1
	s_and_saveexec_b32 s2, s1
	s_xor_b32 s1, exec_lo, s2
; %bb.101:
	ds_read_u8 v8, v9 offset:1
                                        ; implicit-def: $vgpr12
; %bb.102:
	s_or_saveexec_b32 s1, s1
	v_mov_b32_e32 v9, v7
	s_xor_b32 exec_lo, exec_lo, s1
	s_cbranch_execz .LBB140_104
; %bb.103:
	ds_read_u8 v9, v12 offset:1
	s_waitcnt lgkmcnt(1)
	v_mov_b32_e32 v8, v6
.LBB140_104:
	s_or_b32 exec_lo, exec_lo, s1
	v_add_nc_u32_e32 v12, 1, v10
	v_add_nc_u32_e32 v14, 1, v11
	s_waitcnt lgkmcnt(0)
	v_cmp_lt_u16_sdwa s2, v9, v8 src0_sel:BYTE_0 src1_sel:BYTE_0
	v_cndmask_b32_e64 v13, v12, v10, s0
	v_cndmask_b32_e64 v11, v11, v14, s0
                                        ; implicit-def: $vgpr10
	v_cmp_ge_i32_e32 vcc_lo, v13, v5
	v_cmp_lt_i32_e64 s1, v11, v4
	s_or_b32 s2, vcc_lo, s2
	s_and_b32 s1, s1, s2
	s_xor_b32 s2, s1, -1
	s_and_saveexec_b32 s3, s2
	s_xor_b32 s2, exec_lo, s3
; %bb.105:
	v_add_nc_u32_e32 v10, v0, v13
	ds_read_u8 v10, v10 offset:1
; %bb.106:
	s_or_saveexec_b32 s2, s2
	v_mov_b32_e32 v12, v9
	s_xor_b32 exec_lo, exec_lo, s2
	s_cbranch_execz .LBB140_108
; %bb.107:
	s_waitcnt lgkmcnt(0)
	v_add_nc_u32_e32 v10, v0, v11
	ds_read_u8 v12, v10 offset:1
	v_mov_b32_e32 v10, v8
.LBB140_108:
	s_or_b32 exec_lo, exec_lo, s2
	v_add_nc_u32_e32 v14, 1, v13
	v_add_nc_u32_e32 v16, 1, v11
	s_waitcnt lgkmcnt(0)
	v_cmp_lt_u16_sdwa s3, v12, v10 src0_sel:BYTE_0 src1_sel:BYTE_0
	v_cndmask_b32_e64 v15, v14, v13, s1
	v_cndmask_b32_e64 v14, v11, v16, s1
                                        ; implicit-def: $vgpr11
	v_cmp_ge_i32_e32 vcc_lo, v15, v5
	v_cmp_lt_i32_e64 s2, v14, v4
	s_or_b32 s3, vcc_lo, s3
	s_and_b32 s2, s2, s3
	s_xor_b32 s3, s2, -1
	s_and_saveexec_b32 s4, s3
	s_xor_b32 s3, exec_lo, s4
; %bb.109:
	v_add_nc_u32_e32 v11, v0, v15
	ds_read_u8 v11, v11 offset:1
; %bb.110:
	s_or_saveexec_b32 s3, s3
	v_mov_b32_e32 v13, v12
	s_xor_b32 exec_lo, exec_lo, s3
	s_cbranch_execz .LBB140_112
; %bb.111:
	s_waitcnt lgkmcnt(0)
	v_add_nc_u32_e32 v11, v0, v14
	ds_read_u8 v13, v11 offset:1
	v_mov_b32_e32 v11, v10
.LBB140_112:
	s_or_b32 exec_lo, exec_lo, s3
	v_add_nc_u32_e32 v16, 1, v15
	v_add_nc_u32_e32 v18, 1, v14
	s_waitcnt lgkmcnt(0)
	v_cmp_lt_u16_sdwa s4, v13, v11 src0_sel:BYTE_0 src1_sel:BYTE_0
	v_cndmask_b32_e64 v17, v16, v15, s2
	v_cndmask_b32_e64 v15, v14, v18, s2
                                        ; implicit-def: $vgpr14
	v_cmp_ge_i32_e32 vcc_lo, v17, v5
	v_cmp_lt_i32_e64 s3, v15, v4
	s_or_b32 s4, vcc_lo, s4
	s_and_b32 s3, s3, s4
	s_xor_b32 s4, s3, -1
	s_and_saveexec_b32 s5, s4
	s_xor_b32 s4, exec_lo, s5
; %bb.113:
	v_add_nc_u32_e32 v14, v0, v17
	ds_read_u8 v14, v14 offset:1
; %bb.114:
	s_or_saveexec_b32 s4, s4
	v_mov_b32_e32 v16, v13
	s_xor_b32 exec_lo, exec_lo, s4
	s_cbranch_execz .LBB140_116
; %bb.115:
	s_waitcnt lgkmcnt(0)
	v_add_nc_u32_e32 v14, v0, v15
	ds_read_u8 v16, v14 offset:1
	v_mov_b32_e32 v14, v11
.LBB140_116:
	s_or_b32 exec_lo, exec_lo, s4
	v_add_nc_u32_e32 v18, 1, v17
	v_add_nc_u32_e32 v20, 1, v15
	s_waitcnt lgkmcnt(0)
	v_cmp_lt_u16_sdwa s5, v16, v14 src0_sel:BYTE_0 src1_sel:BYTE_0
	v_cndmask_b32_e64 v19, v18, v17, s3
	v_cndmask_b32_e64 v18, v15, v20, s3
                                        ; implicit-def: $vgpr15
	v_cmp_ge_i32_e32 vcc_lo, v19, v5
	v_cmp_lt_i32_e64 s4, v18, v4
	s_or_b32 s5, vcc_lo, s5
	s_and_b32 s4, s4, s5
	s_xor_b32 s5, s4, -1
	s_and_saveexec_b32 s6, s5
	s_xor_b32 s5, exec_lo, s6
; %bb.117:
	v_add_nc_u32_e32 v15, v0, v19
	ds_read_u8 v15, v15 offset:1
; %bb.118:
	s_or_saveexec_b32 s5, s5
	v_mov_b32_e32 v17, v16
	s_xor_b32 exec_lo, exec_lo, s5
	s_cbranch_execz .LBB140_120
; %bb.119:
	s_waitcnt lgkmcnt(0)
	v_add_nc_u32_e32 v15, v0, v18
	ds_read_u8 v17, v15 offset:1
	v_mov_b32_e32 v15, v14
.LBB140_120:
	s_or_b32 exec_lo, exec_lo, s5
	v_add_nc_u32_e32 v20, 1, v19
	v_add_nc_u32_e32 v21, 1, v18
	s_waitcnt lgkmcnt(0)
	v_cmp_lt_u16_sdwa s6, v17, v15 src0_sel:BYTE_0 src1_sel:BYTE_0
	v_cndmask_b32_e64 v20, v20, v19, s4
	v_cndmask_b32_e64 v18, v18, v21, s4
                                        ; implicit-def: $vgpr19
	v_cmp_ge_i32_e32 vcc_lo, v20, v5
	v_cmp_lt_i32_e64 s5, v18, v4
	s_or_b32 s6, vcc_lo, s6
	s_and_b32 vcc_lo, s5, s6
	s_xor_b32 s5, vcc_lo, -1
	s_and_saveexec_b32 s6, s5
	s_xor_b32 s5, exec_lo, s6
; %bb.121:
	v_add_nc_u32_e32 v19, v0, v20
	ds_read_u8 v19, v19 offset:1
; %bb.122:
	s_or_saveexec_b32 s5, s5
	v_mov_b32_e32 v21, v17
	s_xor_b32 exec_lo, exec_lo, s5
	s_cbranch_execz .LBB140_124
; %bb.123:
	s_waitcnt lgkmcnt(0)
	v_add_nc_u32_e32 v19, v0, v18
	ds_read_u8 v21, v19 offset:1
	v_mov_b32_e32 v19, v15
.LBB140_124:
	s_or_b32 exec_lo, exec_lo, s5
	v_add_nc_u32_e32 v22, 1, v20
	v_add_nc_u32_e32 v24, 1, v18
	s_waitcnt lgkmcnt(0)
	v_cmp_lt_u16_sdwa s8, v21, v19 src0_sel:BYTE_0 src1_sel:BYTE_0
	v_cndmask_b32_e32 v23, v22, v20, vcc_lo
	v_cndmask_b32_e32 v22, v18, v24, vcc_lo
                                        ; implicit-def: $vgpr18
	v_cmp_ge_i32_e64 s5, v23, v5
	v_cmp_lt_i32_e64 s6, v22, v4
	s_or_b32 s5, s5, s8
	s_and_b32 s5, s6, s5
	s_xor_b32 s6, s5, -1
	s_and_saveexec_b32 s8, s6
	s_xor_b32 s6, exec_lo, s8
; %bb.125:
	v_add_nc_u32_e32 v18, v0, v23
	ds_read_u8 v18, v18 offset:1
; %bb.126:
	s_or_saveexec_b32 s6, s6
	v_mov_b32_e32 v20, v21
	s_xor_b32 exec_lo, exec_lo, s6
	s_cbranch_execz .LBB140_128
; %bb.127:
	s_waitcnt lgkmcnt(0)
	v_add_nc_u32_e32 v18, v0, v22
	ds_read_u8 v20, v18 offset:1
	v_mov_b32_e32 v18, v19
.LBB140_128:
	s_or_b32 exec_lo, exec_lo, s6
	v_add_nc_u32_e32 v24, 1, v23
	v_add_nc_u32_e32 v25, 1, v22
	v_cndmask_b32_e64 v19, v19, v21, s5
	v_cndmask_b32_e64 v14, v14, v16, s4
	;; [unrolled: 1-line block ×5, first 2 shown]
	s_waitcnt lgkmcnt(0)
	v_cmp_lt_u16_sdwa s4, v20, v18 src0_sel:BYTE_0 src1_sel:BYTE_0
	v_and_b32_e32 v2, 0xf8, v2
	v_cmp_ge_i32_e64 s2, v21, v5
	v_cndmask_b32_e64 v5, v8, v9, s1
	v_cmp_lt_i32_e64 s1, v16, v4
	v_cndmask_b32_e64 v4, v6, v7, s0
	v_cndmask_b32_sdwa v6, v15, v17, vcc_lo dst_sel:BYTE_1 dst_unused:UNUSED_PAD src0_sel:DWORD src1_sel:DWORD
	s_or_b32 s0, s2, s4
	v_lshlrev_b16 v5, 8, v5
	s_and_b32 vcc_lo, s1, s0
	v_add_nc_u32_e32 v9, 0xffffff80, v2
	v_cndmask_b32_e32 v7, v18, v20, vcc_lo
	s_mov_b32 vcc_lo, s3
	v_or_b32_sdwa v6, v14, v6 dst_sel:DWORD dst_unused:UNUSED_PAD src0_sel:BYTE_0 src1_sel:DWORD
	v_cndmask_b32_sdwa v8, v11, v13, vcc_lo dst_sel:BYTE_1 dst_unused:UNUSED_PAD src0_sel:DWORD src1_sel:DWORD
	v_or_b32_sdwa v5, v4, v5 dst_sel:DWORD dst_unused:UNUSED_PAD src0_sel:BYTE_0 src1_sel:DWORD
	v_lshlrev_b16 v7, 8, v7
	v_cmp_lt_i32_e32 vcc_lo, 0x7f, v2
	v_min_i32_e32 v4, 0x80, v2
	v_or_b32_sdwa v10, v10, v8 dst_sel:WORD_1 dst_unused:UNUSED_PAD src0_sel:BYTE_0 src1_sel:DWORD
	s_mov_b32 s0, exec_lo
	v_or_b32_sdwa v7, v19, v7 dst_sel:WORD_1 dst_unused:UNUSED_PAD src0_sel:BYTE_0 src1_sel:DWORD
	v_cndmask_b32_e32 v8, 0, v9, vcc_lo
	; wave barrier
	v_or_b32_sdwa v5, v5, v10 dst_sel:DWORD dst_unused:UNUSED_PAD src0_sel:WORD_0 src1_sel:DWORD
	v_or_b32_sdwa v6, v6, v7 dst_sel:DWORD dst_unused:UNUSED_PAD src0_sel:WORD_0 src1_sel:DWORD
	ds_write_b64 v3, v[5:6]
	; wave barrier
	v_cmpx_lt_i32_e64 v8, v4
	s_cbranch_execz .LBB140_132
; %bb.129:
	v_add3_u32 v5, 0x80, v0, v2
	s_mov_b32 s1, 0
	.p2align	6
.LBB140_130:                            ; =>This Inner Loop Header: Depth=1
	v_sub_nc_u32_e32 v6, v4, v8
	v_lshrrev_b32_e32 v6, 1, v6
	v_add_nc_u32_e32 v6, v6, v8
	v_add_nc_u32_e32 v7, v0, v6
	v_xad_u32 v9, v6, -1, v5
	v_add_nc_u32_e32 v10, 1, v6
	ds_read_u8 v7, v7
	ds_read_u8 v9, v9
	s_waitcnt lgkmcnt(0)
	v_cmp_lt_u16_e32 vcc_lo, v9, v7
	v_cndmask_b32_e32 v4, v4, v6, vcc_lo
	v_cndmask_b32_e32 v8, v10, v8, vcc_lo
	v_cmp_ge_i32_e32 vcc_lo, v8, v4
	s_or_b32 s1, vcc_lo, s1
	s_andn2_b32 exec_lo, exec_lo, s1
	s_cbranch_execnz .LBB140_130
; %bb.131:
	s_or_b32 exec_lo, exec_lo, s1
.LBB140_132:
	s_or_b32 exec_lo, exec_lo, s0
	v_add_nc_u32_e32 v4, 0x80, v2
	v_add_nc_u32_e32 v7, v0, v8
	v_cmp_le_i32_e32 vcc_lo, 0x80, v8
                                        ; implicit-def: $vgpr6
	v_sub_nc_u32_e32 v9, v4, v8
	v_add_nc_u32_e32 v10, v0, v9
	v_cmp_gt_i32_e64 s0, 0x100, v9
	ds_read_u8 v4, v7
	ds_read_u8 v5, v10
	s_waitcnt lgkmcnt(0)
	v_cmp_lt_u16_sdwa s1, v5, v4 src0_sel:BYTE_0 src1_sel:BYTE_0
	s_or_b32 s1, vcc_lo, s1
	s_and_b32 s0, s0, s1
	s_xor_b32 s1, s0, -1
	s_and_saveexec_b32 s2, s1
	s_xor_b32 s1, exec_lo, s2
; %bb.133:
	ds_read_u8 v6, v7 offset:1
                                        ; implicit-def: $vgpr10
; %bb.134:
	s_or_saveexec_b32 s1, s1
	v_mov_b32_e32 v7, v5
	s_xor_b32 exec_lo, exec_lo, s1
	s_cbranch_execz .LBB140_136
; %bb.135:
	ds_read_u8 v7, v10 offset:1
	s_waitcnt lgkmcnt(1)
	v_mov_b32_e32 v6, v4
.LBB140_136:
	s_or_b32 exec_lo, exec_lo, s1
	v_add_nc_u32_e32 v10, 1, v8
	v_add_nc_u32_e32 v12, 1, v9
	s_waitcnt lgkmcnt(0)
	v_cmp_lt_u16_sdwa s2, v7, v6 src0_sel:BYTE_0 src1_sel:BYTE_0
	v_cndmask_b32_e64 v11, v10, v8, s0
	v_cndmask_b32_e64 v10, v9, v12, s0
                                        ; implicit-def: $vgpr8
	v_cmp_le_i32_e32 vcc_lo, 0x80, v11
	v_cmp_gt_i32_e64 s1, 0x100, v10
	s_or_b32 s2, vcc_lo, s2
	s_and_b32 s1, s1, s2
	s_xor_b32 s2, s1, -1
	s_and_saveexec_b32 s3, s2
	s_xor_b32 s2, exec_lo, s3
; %bb.137:
	v_add_nc_u32_e32 v8, v0, v11
	ds_read_u8 v8, v8 offset:1
; %bb.138:
	s_or_saveexec_b32 s2, s2
	v_mov_b32_e32 v9, v7
	s_xor_b32 exec_lo, exec_lo, s2
	s_cbranch_execz .LBB140_140
; %bb.139:
	s_waitcnt lgkmcnt(0)
	v_add_nc_u32_e32 v8, v0, v10
	ds_read_u8 v9, v8 offset:1
	v_mov_b32_e32 v8, v6
.LBB140_140:
	s_or_b32 exec_lo, exec_lo, s2
	v_add_nc_u32_e32 v12, 1, v11
	v_add_nc_u32_e32 v14, 1, v10
	s_waitcnt lgkmcnt(0)
	v_cmp_lt_u16_sdwa s3, v9, v8 src0_sel:BYTE_0 src1_sel:BYTE_0
	v_cndmask_b32_e64 v13, v12, v11, s1
	v_cndmask_b32_e64 v12, v10, v14, s1
                                        ; implicit-def: $vgpr10
	v_cmp_le_i32_e32 vcc_lo, 0x80, v13
	v_cmp_gt_i32_e64 s2, 0x100, v12
	s_or_b32 s3, vcc_lo, s3
	s_and_b32 s2, s2, s3
	s_xor_b32 s3, s2, -1
	s_and_saveexec_b32 s4, s3
	s_xor_b32 s3, exec_lo, s4
; %bb.141:
	v_add_nc_u32_e32 v10, v0, v13
	ds_read_u8 v10, v10 offset:1
; %bb.142:
	s_or_saveexec_b32 s3, s3
	v_mov_b32_e32 v11, v9
	s_xor_b32 exec_lo, exec_lo, s3
	s_cbranch_execz .LBB140_144
; %bb.143:
	s_waitcnt lgkmcnt(0)
	v_add_nc_u32_e32 v10, v0, v12
	ds_read_u8 v11, v10 offset:1
	v_mov_b32_e32 v10, v8
.LBB140_144:
	s_or_b32 exec_lo, exec_lo, s3
	v_add_nc_u32_e32 v14, 1, v13
	v_add_nc_u32_e32 v16, 1, v12
	s_waitcnt lgkmcnt(0)
	v_cmp_lt_u16_sdwa s4, v11, v10 src0_sel:BYTE_0 src1_sel:BYTE_0
	v_cndmask_b32_e64 v15, v14, v13, s2
	v_cndmask_b32_e64 v14, v12, v16, s2
                                        ; implicit-def: $vgpr12
	v_cmp_le_i32_e32 vcc_lo, 0x80, v15
	v_cmp_gt_i32_e64 s3, 0x100, v14
	s_or_b32 s4, vcc_lo, s4
	s_and_b32 s3, s3, s4
	s_xor_b32 s4, s3, -1
	s_and_saveexec_b32 s5, s4
	s_xor_b32 s4, exec_lo, s5
; %bb.145:
	v_add_nc_u32_e32 v12, v0, v15
	ds_read_u8 v12, v12 offset:1
; %bb.146:
	s_or_saveexec_b32 s4, s4
	v_mov_b32_e32 v13, v11
	s_xor_b32 exec_lo, exec_lo, s4
	s_cbranch_execz .LBB140_148
; %bb.147:
	s_waitcnt lgkmcnt(0)
	v_add_nc_u32_e32 v12, v0, v14
	ds_read_u8 v13, v12 offset:1
	v_mov_b32_e32 v12, v10
.LBB140_148:
	s_or_b32 exec_lo, exec_lo, s4
	v_add_nc_u32_e32 v16, 1, v15
	v_add_nc_u32_e32 v18, 1, v14
	s_waitcnt lgkmcnt(0)
	v_cmp_lt_u16_sdwa s5, v13, v12 src0_sel:BYTE_0 src1_sel:BYTE_0
	v_cndmask_b32_e64 v17, v16, v15, s3
	v_cndmask_b32_e64 v16, v14, v18, s3
                                        ; implicit-def: $vgpr14
	v_cmp_le_i32_e32 vcc_lo, 0x80, v17
	v_cmp_gt_i32_e64 s4, 0x100, v16
	s_or_b32 s5, vcc_lo, s5
	s_and_b32 s4, s4, s5
	s_xor_b32 s5, s4, -1
	s_and_saveexec_b32 s6, s5
	s_xor_b32 s5, exec_lo, s6
; %bb.149:
	v_add_nc_u32_e32 v14, v0, v17
	ds_read_u8 v14, v14 offset:1
; %bb.150:
	s_or_saveexec_b32 s5, s5
	v_mov_b32_e32 v15, v13
	s_xor_b32 exec_lo, exec_lo, s5
	s_cbranch_execz .LBB140_152
; %bb.151:
	s_waitcnt lgkmcnt(0)
	v_add_nc_u32_e32 v14, v0, v16
	ds_read_u8 v15, v14 offset:1
	v_mov_b32_e32 v14, v12
.LBB140_152:
	s_or_b32 exec_lo, exec_lo, s5
	v_add_nc_u32_e32 v18, 1, v17
	v_add_nc_u32_e32 v20, 1, v16
	s_waitcnt lgkmcnt(0)
	v_cmp_lt_u16_sdwa s6, v15, v14 src0_sel:BYTE_0 src1_sel:BYTE_0
	v_cndmask_b32_e64 v19, v18, v17, s4
	v_cndmask_b32_e64 v18, v16, v20, s4
                                        ; implicit-def: $vgpr16
	v_cmp_le_i32_e32 vcc_lo, 0x80, v19
	v_cmp_gt_i32_e64 s5, 0x100, v18
	s_or_b32 s6, vcc_lo, s6
	s_and_b32 vcc_lo, s5, s6
	s_xor_b32 s5, vcc_lo, -1
	s_and_saveexec_b32 s6, s5
	s_xor_b32 s5, exec_lo, s6
; %bb.153:
	v_add_nc_u32_e32 v16, v0, v19
	ds_read_u8 v16, v16 offset:1
; %bb.154:
	s_or_saveexec_b32 s5, s5
	v_mov_b32_e32 v17, v15
	s_xor_b32 exec_lo, exec_lo, s5
	s_cbranch_execz .LBB140_156
; %bb.155:
	s_waitcnt lgkmcnt(0)
	v_add_nc_u32_e32 v16, v0, v18
	ds_read_u8 v17, v16 offset:1
	v_mov_b32_e32 v16, v14
.LBB140_156:
	s_or_b32 exec_lo, exec_lo, s5
	v_add_nc_u32_e32 v20, 1, v19
	v_add_nc_u32_e32 v21, 1, v18
	s_waitcnt lgkmcnt(0)
	v_cmp_lt_u16_sdwa s8, v17, v16 src0_sel:BYTE_0 src1_sel:BYTE_0
	v_cndmask_b32_e32 v20, v20, v19, vcc_lo
	v_cndmask_b32_e32 v19, v18, v21, vcc_lo
                                        ; implicit-def: $vgpr18
	v_cmp_le_i32_e64 s5, 0x80, v20
	v_cmp_gt_i32_e64 s6, 0x100, v19
	s_or_b32 s5, s5, s8
	s_and_b32 s5, s6, s5
	s_xor_b32 s6, s5, -1
	s_and_saveexec_b32 s8, s6
	s_xor_b32 s6, exec_lo, s8
; %bb.157:
	v_add_nc_u32_e32 v18, v0, v20
	ds_read_u8 v18, v18 offset:1
; %bb.158:
	s_or_saveexec_b32 s6, s6
	v_mov_b32_e32 v21, v17
	s_xor_b32 exec_lo, exec_lo, s6
	s_cbranch_execz .LBB140_160
; %bb.159:
	s_waitcnt lgkmcnt(0)
	v_add_nc_u32_e32 v18, v0, v19
	ds_read_u8 v21, v18 offset:1
	v_mov_b32_e32 v18, v16
.LBB140_160:
	s_or_b32 exec_lo, exec_lo, s6
	v_add_nc_u32_e32 v22, 1, v20
	v_add_nc_u32_e32 v23, 1, v19
	v_cndmask_b32_e64 v16, v16, v17, s5
	v_cndmask_b32_e64 v12, v12, v13, s4
	;; [unrolled: 1-line block ×5, first 2 shown]
	s_waitcnt lgkmcnt(0)
	v_cmp_lt_u16_sdwa s5, v21, v18 src0_sel:BYTE_0 src1_sel:BYTE_0
	v_cndmask_b32_e64 v4, v4, v5, s0
	v_cndmask_b32_sdwa v5, v14, v15, vcc_lo dst_sel:BYTE_1 dst_unused:UNUSED_PAD src0_sel:DWORD src1_sel:DWORD
	v_cmp_le_i32_e64 s4, 0x80, v20
	v_cmp_gt_i32_e64 s2, 0x100, v17
	v_cndmask_b32_e64 v6, v6, v7, s1
	v_or_b32_sdwa v5, v12, v5 dst_sel:DWORD dst_unused:UNUSED_PAD src0_sel:BYTE_0 src1_sel:DWORD
	s_or_b32 s0, s4, s5
	; wave barrier
	s_and_b32 vcc_lo, s2, s0
	v_lshlrev_b16 v6, 8, v6
	v_cndmask_b32_e32 v7, v18, v21, vcc_lo
	s_mov_b32 vcc_lo, s3
	s_mov_b32 s0, exec_lo
	v_cndmask_b32_sdwa v9, v10, v11, vcc_lo dst_sel:BYTE_1 dst_unused:UNUSED_PAD src0_sel:DWORD src1_sel:DWORD
	v_or_b32_e32 v10, 0xffffff00, v2
	v_lshlrev_b16 v7, 8, v7
	v_or_b32_sdwa v4, v4, v6 dst_sel:DWORD dst_unused:UNUSED_PAD src0_sel:BYTE_0 src1_sel:DWORD
	v_cmp_lt_i32_e32 vcc_lo, 0xff, v2
	v_or_b32_sdwa v8, v8, v9 dst_sel:WORD_1 dst_unused:UNUSED_PAD src0_sel:BYTE_0 src1_sel:DWORD
	v_or_b32_sdwa v7, v16, v7 dst_sel:WORD_1 dst_unused:UNUSED_PAD src0_sel:BYTE_0 src1_sel:DWORD
	v_cndmask_b32_e32 v6, 0, v10, vcc_lo
	v_or_b32_sdwa v4, v4, v8 dst_sel:DWORD dst_unused:UNUSED_PAD src0_sel:WORD_0 src1_sel:DWORD
	v_or_b32_sdwa v5, v5, v7 dst_sel:DWORD dst_unused:UNUSED_PAD src0_sel:WORD_0 src1_sel:DWORD
	ds_write_b64 v3, v[4:5]
	; wave barrier
	v_cmpx_lt_i32_e64 v6, v2
	s_cbranch_execz .LBB140_164
; %bb.161:
	v_add3_u32 v3, 0x100, v0, v2
	v_mov_b32_e32 v4, v2
	s_mov_b32 s1, 0
	.p2align	6
.LBB140_162:                            ; =>This Inner Loop Header: Depth=1
	v_sub_nc_u32_e32 v5, v4, v6
	v_lshrrev_b32_e32 v5, 1, v5
	v_add_nc_u32_e32 v5, v5, v6
	v_add_nc_u32_e32 v7, v0, v5
	v_xad_u32 v8, v5, -1, v3
	v_add_nc_u32_e32 v9, 1, v5
	ds_read_u8 v7, v7
	ds_read_u8 v8, v8
	s_waitcnt lgkmcnt(0)
	v_cmp_lt_u16_e32 vcc_lo, v8, v7
	v_cndmask_b32_e32 v4, v4, v5, vcc_lo
	v_cndmask_b32_e32 v6, v9, v6, vcc_lo
	v_cmp_ge_i32_e32 vcc_lo, v6, v4
	s_or_b32 s1, vcc_lo, s1
	s_andn2_b32 exec_lo, exec_lo, s1
	s_cbranch_execnz .LBB140_162
; %bb.163:
	s_or_b32 exec_lo, exec_lo, s1
.LBB140_164:
	s_or_b32 exec_lo, exec_lo, s0
	v_add_nc_u32_e32 v2, 0x100, v2
	v_add_nc_u32_e32 v5, v0, v6
	v_cmp_le_i32_e32 vcc_lo, 0x100, v6
                                        ; implicit-def: $vgpr4
	v_sub_nc_u32_e32 v7, v2, v6
	v_add_nc_u32_e32 v8, v0, v7
	v_cmp_gt_i32_e64 s0, 0x200, v7
	ds_read_u8 v2, v5
	ds_read_u8 v3, v8
	s_waitcnt lgkmcnt(0)
	v_cmp_lt_u16_sdwa s1, v3, v2 src0_sel:BYTE_0 src1_sel:BYTE_0
	s_or_b32 s1, vcc_lo, s1
	s_and_b32 s0, s0, s1
	s_xor_b32 s1, s0, -1
	s_and_saveexec_b32 s2, s1
	s_xor_b32 s1, exec_lo, s2
; %bb.165:
	ds_read_u8 v4, v5 offset:1
                                        ; implicit-def: $vgpr8
; %bb.166:
	s_or_saveexec_b32 s1, s1
	v_mov_b32_e32 v5, v3
	s_xor_b32 exec_lo, exec_lo, s1
	s_cbranch_execz .LBB140_168
; %bb.167:
	ds_read_u8 v5, v8 offset:1
	s_waitcnt lgkmcnt(1)
	v_mov_b32_e32 v4, v2
.LBB140_168:
	s_or_b32 exec_lo, exec_lo, s1
	v_add_nc_u32_e32 v8, 1, v6
	v_add_nc_u32_e32 v10, 1, v7
	s_waitcnt lgkmcnt(0)
	v_cmp_lt_u16_sdwa s2, v5, v4 src0_sel:BYTE_0 src1_sel:BYTE_0
	v_cndmask_b32_e64 v9, v8, v6, s0
	v_cndmask_b32_e64 v8, v7, v10, s0
                                        ; implicit-def: $vgpr6
	v_cmp_le_i32_e32 vcc_lo, 0x100, v9
	v_cmp_gt_i32_e64 s1, 0x200, v8
	s_or_b32 s2, vcc_lo, s2
	s_and_b32 s1, s1, s2
	s_xor_b32 s2, s1, -1
	s_and_saveexec_b32 s3, s2
	s_xor_b32 s2, exec_lo, s3
; %bb.169:
	v_add_nc_u32_e32 v6, v0, v9
	ds_read_u8 v6, v6 offset:1
; %bb.170:
	s_or_saveexec_b32 s2, s2
	v_mov_b32_e32 v7, v5
	s_xor_b32 exec_lo, exec_lo, s2
	s_cbranch_execz .LBB140_172
; %bb.171:
	s_waitcnt lgkmcnt(0)
	v_add_nc_u32_e32 v6, v0, v8
	ds_read_u8 v7, v6 offset:1
	v_mov_b32_e32 v6, v4
.LBB140_172:
	s_or_b32 exec_lo, exec_lo, s2
	v_add_nc_u32_e32 v10, 1, v9
	v_add_nc_u32_e32 v12, 1, v8
	s_waitcnt lgkmcnt(0)
	v_cmp_lt_u16_sdwa s3, v7, v6 src0_sel:BYTE_0 src1_sel:BYTE_0
	v_cndmask_b32_e64 v11, v10, v9, s1
	v_cndmask_b32_e64 v10, v8, v12, s1
                                        ; implicit-def: $vgpr8
	v_cmp_le_i32_e32 vcc_lo, 0x100, v11
	v_cmp_gt_i32_e64 s2, 0x200, v10
	s_or_b32 s3, vcc_lo, s3
	s_and_b32 s2, s2, s3
	s_xor_b32 s3, s2, -1
	s_and_saveexec_b32 s4, s3
	s_xor_b32 s3, exec_lo, s4
; %bb.173:
	v_add_nc_u32_e32 v8, v0, v11
	ds_read_u8 v8, v8 offset:1
; %bb.174:
	s_or_saveexec_b32 s3, s3
	v_mov_b32_e32 v9, v7
	s_xor_b32 exec_lo, exec_lo, s3
	s_cbranch_execz .LBB140_176
; %bb.175:
	s_waitcnt lgkmcnt(0)
	v_add_nc_u32_e32 v8, v0, v10
	ds_read_u8 v9, v8 offset:1
	v_mov_b32_e32 v8, v6
.LBB140_176:
	s_or_b32 exec_lo, exec_lo, s3
	v_add_nc_u32_e32 v12, 1, v11
	v_add_nc_u32_e32 v14, 1, v10
	s_waitcnt lgkmcnt(0)
	v_cmp_lt_u16_sdwa s4, v9, v8 src0_sel:BYTE_0 src1_sel:BYTE_0
	v_cndmask_b32_e64 v13, v12, v11, s2
	v_cndmask_b32_e64 v12, v10, v14, s2
                                        ; implicit-def: $vgpr10
	v_cmp_le_i32_e32 vcc_lo, 0x100, v13
	v_cmp_gt_i32_e64 s3, 0x200, v12
	s_or_b32 s4, vcc_lo, s4
	s_and_b32 s3, s3, s4
	s_xor_b32 s4, s3, -1
	s_and_saveexec_b32 s5, s4
	s_xor_b32 s4, exec_lo, s5
; %bb.177:
	v_add_nc_u32_e32 v10, v0, v13
	ds_read_u8 v10, v10 offset:1
; %bb.178:
	s_or_saveexec_b32 s4, s4
	v_mov_b32_e32 v11, v9
	s_xor_b32 exec_lo, exec_lo, s4
	s_cbranch_execz .LBB140_180
; %bb.179:
	s_waitcnt lgkmcnt(0)
	v_add_nc_u32_e32 v10, v0, v12
	ds_read_u8 v11, v10 offset:1
	v_mov_b32_e32 v10, v8
.LBB140_180:
	s_or_b32 exec_lo, exec_lo, s4
	v_add_nc_u32_e32 v14, 1, v13
	v_add_nc_u32_e32 v16, 1, v12
	s_waitcnt lgkmcnt(0)
	v_cmp_lt_u16_sdwa s5, v11, v10 src0_sel:BYTE_0 src1_sel:BYTE_0
	v_cndmask_b32_e64 v15, v14, v13, s3
	v_cndmask_b32_e64 v14, v12, v16, s3
                                        ; implicit-def: $vgpr12
	v_cmp_le_i32_e32 vcc_lo, 0x100, v15
	v_cmp_gt_i32_e64 s4, 0x200, v14
	s_or_b32 s5, vcc_lo, s5
	s_and_b32 s4, s4, s5
	s_xor_b32 s5, s4, -1
	s_and_saveexec_b32 s6, s5
	s_xor_b32 s5, exec_lo, s6
; %bb.181:
	v_add_nc_u32_e32 v12, v0, v15
	ds_read_u8 v12, v12 offset:1
; %bb.182:
	s_or_saveexec_b32 s5, s5
	v_mov_b32_e32 v13, v11
	s_xor_b32 exec_lo, exec_lo, s5
	s_cbranch_execz .LBB140_184
; %bb.183:
	s_waitcnt lgkmcnt(0)
	v_add_nc_u32_e32 v12, v0, v14
	ds_read_u8 v13, v12 offset:1
	v_mov_b32_e32 v12, v10
.LBB140_184:
	s_or_b32 exec_lo, exec_lo, s5
	v_add_nc_u32_e32 v16, 1, v15
	v_add_nc_u32_e32 v18, 1, v14
	s_waitcnt lgkmcnt(0)
	v_cmp_lt_u16_sdwa s6, v13, v12 src0_sel:BYTE_0 src1_sel:BYTE_0
	v_cndmask_b32_e64 v17, v16, v15, s4
	v_cndmask_b32_e64 v16, v14, v18, s4
                                        ; implicit-def: $vgpr15
	v_cmp_le_i32_e32 vcc_lo, 0x100, v17
	v_cmp_gt_i32_e64 s5, 0x200, v16
	s_or_b32 s6, vcc_lo, s6
	s_and_b32 vcc_lo, s5, s6
	s_xor_b32 s5, vcc_lo, -1
	s_and_saveexec_b32 s6, s5
	s_xor_b32 s5, exec_lo, s6
; %bb.185:
	v_add_nc_u32_e32 v14, v0, v17
	ds_read_u8 v15, v14 offset:1
; %bb.186:
	s_or_saveexec_b32 s5, s5
	v_mov_b32_e32 v14, v13
	s_xor_b32 exec_lo, exec_lo, s5
	s_cbranch_execz .LBB140_188
; %bb.187:
	v_add_nc_u32_e32 v14, v0, v16
	s_waitcnt lgkmcnt(0)
	v_mov_b32_e32 v15, v12
	ds_read_u8 v14, v14 offset:1
.LBB140_188:
	s_or_b32 exec_lo, exec_lo, s5
	v_add_nc_u32_e32 v18, 1, v17
	v_add_nc_u32_e32 v19, 1, v16
	s_waitcnt lgkmcnt(0)
	v_cmp_ge_u16_sdwa s8, v14, v15 src0_sel:BYTE_0 src1_sel:BYTE_0
	v_cndmask_b32_e32 v20, v18, v17, vcc_lo
	v_cndmask_b32_e32 v16, v16, v19, vcc_lo
                                        ; implicit-def: $vgpr18
                                        ; implicit-def: $vgpr19
	v_cmp_gt_i32_e64 s5, 0x100, v20
	v_cmp_le_i32_e64 s6, 0x200, v16
	s_and_b32 s5, s5, s8
	s_or_b32 s5, s6, s5
	s_and_saveexec_b32 s6, s5
	s_xor_b32 s5, exec_lo, s6
; %bb.189:
	v_add_nc_u32_e32 v0, v0, v20
	v_add_nc_u32_e32 v19, 1, v20
                                        ; implicit-def: $vgpr20
	ds_read_u8 v18, v0 offset:1
                                        ; implicit-def: $vgpr0
; %bb.190:
	s_or_saveexec_b32 s5, s5
	v_mov_b32_e32 v17, v15
	s_xor_b32 exec_lo, exec_lo, s5
	s_cbranch_execz .LBB140_192
; %bb.191:
	v_add_nc_u32_e32 v0, v0, v16
	v_add_nc_u32_e32 v16, 1, v16
	v_mov_b32_e32 v17, v14
	v_mov_b32_e32 v19, v20
	s_waitcnt lgkmcnt(0)
	v_mov_b32_e32 v18, v15
	ds_read_u8 v0, v0 offset:1
	s_waitcnt lgkmcnt(0)
	v_mov_b32_e32 v14, v0
.LBB140_192:
	s_or_b32 exec_lo, exec_lo, s5
	v_cmp_le_i32_e64 s5, 0x100, v19
	s_waitcnt lgkmcnt(0)
	v_cmp_lt_u16_sdwa s6, v14, v18 src0_sel:BYTE_0 src1_sel:BYTE_0
	v_cndmask_b32_e64 v10, v10, v11, s4
	v_cmp_gt_i32_e64 s4, 0x200, v16
	v_cndmask_b32_sdwa v0, v12, v13, vcc_lo dst_sel:BYTE_1 dst_unused:UNUSED_PAD src0_sel:DWORD src1_sel:DWORD
	s_mov_b32 vcc_lo, s3
	s_or_b32 s5, s5, s6
	v_cndmask_b32_sdwa v8, v8, v9, vcc_lo dst_sel:BYTE_1 dst_unused:UNUSED_PAD src0_sel:DWORD src1_sel:DWORD
	s_and_b32 vcc_lo, s4, s5
	v_cndmask_b32_e64 v2, v2, v3, s0
	v_cndmask_b32_e32 v9, v18, v14, vcc_lo
	s_mov_b32 vcc_lo, s1
	v_cndmask_b32_e64 v3, v6, v7, s2
	v_cndmask_b32_sdwa v4, v4, v5, vcc_lo dst_sel:BYTE_1 dst_unused:UNUSED_PAD src0_sel:DWORD src1_sel:DWORD
	s_add_u32 s0, s10, s7
	v_lshlrev_b16 v5, 8, v9
	s_addc_u32 s1, s11, 0
	v_or_b32_sdwa v3, v3, v8 dst_sel:WORD_1 dst_unused:UNUSED_PAD src0_sel:BYTE_0 src1_sel:DWORD
	v_or_b32_sdwa v2, v2, v4 dst_sel:DWORD dst_unused:UNUSED_PAD src0_sel:BYTE_0 src1_sel:DWORD
	v_or_b32_sdwa v4, v10, v0 dst_sel:DWORD dst_unused:UNUSED_PAD src0_sel:BYTE_0 src1_sel:DWORD
	v_or_b32_sdwa v5, v17, v5 dst_sel:WORD_1 dst_unused:UNUSED_PAD src0_sel:BYTE_0 src1_sel:DWORD
	v_add_co_u32 v0, s0, s0, v1
	v_add_co_ci_u32_e64 v1, null, s1, 0, s0
	v_or_b32_sdwa v2, v2, v3 dst_sel:DWORD dst_unused:UNUSED_PAD src0_sel:WORD_0 src1_sel:DWORD
	v_or_b32_sdwa v3, v4, v5 dst_sel:DWORD dst_unused:UNUSED_PAD src0_sel:WORD_0 src1_sel:DWORD
	global_store_dwordx2 v[0:1], v[2:3], off
	s_endpgm
	.section	.rodata,"a",@progbits
	.p2align	6, 0x0
	.amdhsa_kernel _Z9sort_keysILj256ELj64ELj8EhN10test_utils4lessEEvPKT2_PS2_T3_
		.amdhsa_group_segment_fixed_size 2052
		.amdhsa_private_segment_fixed_size 0
		.amdhsa_kernarg_size 20
		.amdhsa_user_sgpr_count 6
		.amdhsa_user_sgpr_private_segment_buffer 1
		.amdhsa_user_sgpr_dispatch_ptr 0
		.amdhsa_user_sgpr_queue_ptr 0
		.amdhsa_user_sgpr_kernarg_segment_ptr 1
		.amdhsa_user_sgpr_dispatch_id 0
		.amdhsa_user_sgpr_flat_scratch_init 0
		.amdhsa_user_sgpr_private_segment_size 0
		.amdhsa_wavefront_size32 1
		.amdhsa_uses_dynamic_stack 0
		.amdhsa_system_sgpr_private_segment_wavefront_offset 0
		.amdhsa_system_sgpr_workgroup_id_x 1
		.amdhsa_system_sgpr_workgroup_id_y 0
		.amdhsa_system_sgpr_workgroup_id_z 0
		.amdhsa_system_sgpr_workgroup_info 0
		.amdhsa_system_vgpr_workitem_id 0
		.amdhsa_next_free_vgpr 26
		.amdhsa_next_free_sgpr 12
		.amdhsa_reserve_vcc 1
		.amdhsa_reserve_flat_scratch 0
		.amdhsa_float_round_mode_32 0
		.amdhsa_float_round_mode_16_64 0
		.amdhsa_float_denorm_mode_32 3
		.amdhsa_float_denorm_mode_16_64 3
		.amdhsa_dx10_clamp 1
		.amdhsa_ieee_mode 1
		.amdhsa_fp16_overflow 0
		.amdhsa_workgroup_processor_mode 1
		.amdhsa_memory_ordered 1
		.amdhsa_forward_progress 1
		.amdhsa_shared_vgpr_count 0
		.amdhsa_exception_fp_ieee_invalid_op 0
		.amdhsa_exception_fp_denorm_src 0
		.amdhsa_exception_fp_ieee_div_zero 0
		.amdhsa_exception_fp_ieee_overflow 0
		.amdhsa_exception_fp_ieee_underflow 0
		.amdhsa_exception_fp_ieee_inexact 0
		.amdhsa_exception_int_div_zero 0
	.end_amdhsa_kernel
	.section	.text._Z9sort_keysILj256ELj64ELj8EhN10test_utils4lessEEvPKT2_PS2_T3_,"axG",@progbits,_Z9sort_keysILj256ELj64ELj8EhN10test_utils4lessEEvPKT2_PS2_T3_,comdat
.Lfunc_end140:
	.size	_Z9sort_keysILj256ELj64ELj8EhN10test_utils4lessEEvPKT2_PS2_T3_, .Lfunc_end140-_Z9sort_keysILj256ELj64ELj8EhN10test_utils4lessEEvPKT2_PS2_T3_
                                        ; -- End function
	.set _Z9sort_keysILj256ELj64ELj8EhN10test_utils4lessEEvPKT2_PS2_T3_.num_vgpr, 26
	.set _Z9sort_keysILj256ELj64ELj8EhN10test_utils4lessEEvPKT2_PS2_T3_.num_agpr, 0
	.set _Z9sort_keysILj256ELj64ELj8EhN10test_utils4lessEEvPKT2_PS2_T3_.numbered_sgpr, 12
	.set _Z9sort_keysILj256ELj64ELj8EhN10test_utils4lessEEvPKT2_PS2_T3_.num_named_barrier, 0
	.set _Z9sort_keysILj256ELj64ELj8EhN10test_utils4lessEEvPKT2_PS2_T3_.private_seg_size, 0
	.set _Z9sort_keysILj256ELj64ELj8EhN10test_utils4lessEEvPKT2_PS2_T3_.uses_vcc, 1
	.set _Z9sort_keysILj256ELj64ELj8EhN10test_utils4lessEEvPKT2_PS2_T3_.uses_flat_scratch, 0
	.set _Z9sort_keysILj256ELj64ELj8EhN10test_utils4lessEEvPKT2_PS2_T3_.has_dyn_sized_stack, 0
	.set _Z9sort_keysILj256ELj64ELj8EhN10test_utils4lessEEvPKT2_PS2_T3_.has_recursion, 0
	.set _Z9sort_keysILj256ELj64ELj8EhN10test_utils4lessEEvPKT2_PS2_T3_.has_indirect_call, 0
	.section	.AMDGPU.csdata,"",@progbits
; Kernel info:
; codeLenInByte = 9324
; TotalNumSgprs: 14
; NumVgprs: 26
; ScratchSize: 0
; MemoryBound: 0
; FloatMode: 240
; IeeeMode: 1
; LDSByteSize: 2052 bytes/workgroup (compile time only)
; SGPRBlocks: 0
; VGPRBlocks: 3
; NumSGPRsForWavesPerEU: 14
; NumVGPRsForWavesPerEU: 26
; Occupancy: 16
; WaveLimiterHint : 0
; COMPUTE_PGM_RSRC2:SCRATCH_EN: 0
; COMPUTE_PGM_RSRC2:USER_SGPR: 6
; COMPUTE_PGM_RSRC2:TRAP_HANDLER: 0
; COMPUTE_PGM_RSRC2:TGID_X_EN: 1
; COMPUTE_PGM_RSRC2:TGID_Y_EN: 0
; COMPUTE_PGM_RSRC2:TGID_Z_EN: 0
; COMPUTE_PGM_RSRC2:TIDIG_COMP_CNT: 0
	.section	.text._Z10sort_pairsILj256ELj64ELj8EhN10test_utils4lessEEvPKT2_PS2_T3_,"axG",@progbits,_Z10sort_pairsILj256ELj64ELj8EhN10test_utils4lessEEvPKT2_PS2_T3_,comdat
	.protected	_Z10sort_pairsILj256ELj64ELj8EhN10test_utils4lessEEvPKT2_PS2_T3_ ; -- Begin function _Z10sort_pairsILj256ELj64ELj8EhN10test_utils4lessEEvPKT2_PS2_T3_
	.globl	_Z10sort_pairsILj256ELj64ELj8EhN10test_utils4lessEEvPKT2_PS2_T3_
	.p2align	8
	.type	_Z10sort_pairsILj256ELj64ELj8EhN10test_utils4lessEEvPKT2_PS2_T3_,@function
_Z10sort_pairsILj256ELj64ELj8EhN10test_utils4lessEEvPKT2_PS2_T3_: ; @_Z10sort_pairsILj256ELj64ELj8EhN10test_utils4lessEEvPKT2_PS2_T3_
; %bb.0:
	s_load_dwordx4 s[36:39], s[4:5], 0x0
	s_lshl_b32 s40, s6, 11
	v_lshlrev_b32_e32 v3, 3, v0
	v_mov_b32_e32 v14, 0xff
	v_mbcnt_lo_u32_b32 v16, -1, 0
	v_lshrrev_b32_e32 v0, 6, v0
	s_mov_b32 s28, 0
	s_mov_b32 s29, exec_lo
	s_waitcnt lgkmcnt(0)
	s_add_u32 s0, s36, s40
	s_addc_u32 s1, s37, 0
	global_load_dwordx2 v[1:2], v3, s[0:1]
	; wave barrier
	s_waitcnt vmcnt(0)
	v_lshrrev_b32_e32 v4, 8, v1
	v_lshrrev_b32_e32 v6, 16, v1
	;; [unrolled: 1-line block ×4, first 2 shown]
	v_perm_b32 v13, v2, v2, 0x7060405
	v_lshlrev_b16 v5, 8, v4
	v_and_b32_e32 v9, 0xff, v4
	v_perm_b32 v4, 0, v1, 0xc0c0001
	v_lshlrev_b16 v7, 8, v12
	v_cmp_lt_u16_sdwa s5, v8, v2 src0_sel:BYTE_0 src1_sel:BYTE_0
	v_or_b32_sdwa v10, v1, v5 dst_sel:DWORD dst_unused:UNUSED_PAD src0_sel:BYTE_0 src1_sel:DWORD
	v_perm_b32 v5, 0, v6, 0xc0c0001
	v_or_b32_sdwa v11, v6, v7 dst_sel:DWORD dst_unused:UNUSED_PAD src0_sel:BYTE_0 src1_sel:DWORD
	v_cmp_lt_u16_sdwa s4, v9, v10 src0_sel:DWORD src1_sel:BYTE_0
	v_lshlrev_b32_e32 v5, 16, v5
	v_cmp_lt_u16_sdwa s7, v12, v11 src0_sel:DWORD src1_sel:BYTE_0
	v_cndmask_b32_e64 v4, v1, v4, s4
	v_bfi_b32 v1, 0xffff, v4, v1
	v_and_or_b32 v4, 0xffff, v4, v5
	v_cndmask_b32_e64 v5, v2, v13, s5
	v_cndmask_b32_e64 v1, v1, v4, s7
	v_and_b32_sdwa v4, v5, v14 dst_sel:DWORD dst_unused:UNUSED_PAD src0_sel:WORD_1 src1_sel:DWORD
	v_perm_b32 v6, v5, v5, 0x6070504
	v_and_b32_sdwa v12, v1, v14 dst_sel:DWORD dst_unused:UNUSED_PAD src0_sel:WORD_1 src1_sel:DWORD
	v_lshrrev_b32_e32 v13, 8, v1
	v_perm_b32 v15, v1, v1, 0x7050604
	v_cmp_lt_u16_sdwa s9, v5, v4 src0_sel:BYTE_3 src1_sel:DWORD
	v_cmp_lt_u16_sdwa s10, v12, v13 src0_sel:DWORD src1_sel:BYTE_0
	v_cndmask_b32_e64 v4, v5, v6, s9
	v_cndmask_b32_e64 v1, v1, v15, s10
	v_lshlrev_b16 v5, 8, v4
	v_and_b32_sdwa v6, v1, v14 dst_sel:DWORD dst_unused:UNUSED_PAD src0_sel:WORD_1 src1_sel:DWORD
	v_cmp_lt_u16_sdwa s6, v4, v1 src0_sel:BYTE_0 src1_sel:BYTE_3
	v_or_b32_sdwa v5, v6, v5 dst_sel:WORD_1 dst_unused:UNUSED_PAD src0_sel:DWORD src1_sel:DWORD
	v_and_or_b32 v5, 0xffff, v1, v5
	v_cndmask_b32_e64 v5, v1, v5, s6
	v_perm_b32 v1, v1, v4, 0x3020107
	v_perm_b32 v6, 0, v5, 0xc0c0001
	v_lshrrev_b32_e32 v12, 8, v5
	v_cndmask_b32_e64 v1, v4, v1, s6
	v_and_or_b32 v6, 0xffff0000, v5, v6
	v_cmp_lt_u16_sdwa s11, v12, v5 src0_sel:BYTE_0 src1_sel:BYTE_0
	v_lshrrev_b32_e32 v12, 8, v1
	v_perm_b32 v13, v1, v1, 0x7050604
	v_cndmask_b32_e64 v4, v5, v6, s11
	v_and_b32_sdwa v5, v1, v14 dst_sel:DWORD dst_unused:UNUSED_PAD src0_sel:WORD_1 src1_sel:DWORD
	v_lshrrev_b32_e32 v6, 16, v4
	v_cmp_lt_u16_sdwa s12, v5, v12 src0_sel:DWORD src1_sel:BYTE_0
	v_perm_b32 v15, 0, v6, 0xc0c0001
	v_cndmask_b32_e64 v1, v1, v13, s12
	v_cmp_lt_u16_sdwa s15, v4, v6 src0_sel:BYTE_3 src1_sel:BYTE_0
	v_lshlrev_b32_e32 v5, 16, v15
	v_lshrrev_b32_e32 v12, 8, v1
	v_perm_b32 v13, v1, v1, 0x7060405
	v_and_or_b32 v5, 0xffff, v4, v5
	v_cmp_lt_u16_sdwa s13, v12, v1 src0_sel:BYTE_0 src1_sel:BYTE_0
	v_cndmask_b32_e64 v4, v4, v5, s15
	v_cndmask_b32_e64 v1, v1, v13, s13
	v_and_b32_sdwa v12, v4, v14 dst_sel:DWORD dst_unused:UNUSED_PAD src0_sel:WORD_1 src1_sel:DWORD
	v_and_b32_sdwa v5, v1, v14 dst_sel:DWORD dst_unused:UNUSED_PAD src0_sel:WORD_1 src1_sel:DWORD
	v_lshrrev_b32_e32 v13, 8, v4
	v_perm_b32 v6, v1, v1, 0x6070504
	v_perm_b32 v15, v4, v4, 0x7050604
	v_cmp_lt_u16_sdwa s17, v1, v5 src0_sel:BYTE_3 src1_sel:DWORD
	v_cmp_lt_u16_sdwa s18, v12, v13 src0_sel:DWORD src1_sel:BYTE_0
	v_cndmask_b32_e64 v1, v1, v6, s17
	v_cndmask_b32_e64 v4, v4, v15, s18
	v_lshlrev_b16 v5, 8, v1
	v_and_b32_sdwa v6, v4, v14 dst_sel:DWORD dst_unused:UNUSED_PAD src0_sel:WORD_1 src1_sel:DWORD
	v_cmp_lt_u16_sdwa s16, v1, v4 src0_sel:BYTE_0 src1_sel:BYTE_3
	v_or_b32_sdwa v5, v6, v5 dst_sel:WORD_1 dst_unused:UNUSED_PAD src0_sel:DWORD src1_sel:DWORD
	v_and_or_b32 v5, 0xffff, v4, v5
	v_cndmask_b32_e64 v5, v4, v5, s16
	v_perm_b32 v4, v4, v1, 0x3020107
	v_perm_b32 v6, 0, v5, 0xc0c0001
	v_lshrrev_b32_e32 v12, 8, v5
	v_cndmask_b32_e64 v1, v1, v4, s16
	v_and_or_b32 v6, 0xffff0000, v5, v6
	v_cmp_lt_u16_sdwa s20, v12, v5 src0_sel:BYTE_0 src1_sel:BYTE_0
	v_lshrrev_b32_e32 v12, 8, v1
	v_perm_b32 v13, v1, v1, 0x7050604
	v_cndmask_b32_e64 v4, v5, v6, s20
	v_and_b32_sdwa v5, v1, v14 dst_sel:DWORD dst_unused:UNUSED_PAD src0_sel:WORD_1 src1_sel:DWORD
	v_lshrrev_b32_e32 v6, 16, v4
	v_cmp_lt_u16_sdwa s21, v5, v12 src0_sel:DWORD src1_sel:BYTE_0
	v_perm_b32 v15, 0, v6, 0xc0c0001
	v_cndmask_b32_e64 v1, v1, v13, s21
	v_cmp_lt_u16_sdwa s23, v4, v6 src0_sel:BYTE_3 src1_sel:BYTE_0
	v_lshlrev_b32_e32 v5, 16, v15
	v_lshrrev_b32_e32 v12, 8, v1
	v_perm_b32 v13, v1, v1, 0x7060405
	v_and_or_b32 v5, 0xffff, v4, v5
	v_cmp_lt_u16_sdwa s22, v12, v1 src0_sel:BYTE_0 src1_sel:BYTE_0
	v_cndmask_b32_e64 v4, v4, v5, s23
	v_cndmask_b32_e64 v1, v1, v13, s22
	v_and_b32_sdwa v12, v4, v14 dst_sel:DWORD dst_unused:UNUSED_PAD src0_sel:WORD_1 src1_sel:DWORD
	v_and_b32_sdwa v5, v1, v14 dst_sel:DWORD dst_unused:UNUSED_PAD src0_sel:WORD_1 src1_sel:DWORD
	v_lshrrev_b32_e32 v13, 8, v4
	v_perm_b32 v6, v1, v1, 0x6070504
	;; [unrolled: 37-line block ×3, first 2 shown]
	v_perm_b32 v15, v4, v4, 0x7050604
	v_cmp_lt_u16_sdwa s2, v1, v5 src0_sel:BYTE_3 src1_sel:DWORD
	v_cmp_lt_u16_sdwa s3, v12, v13 src0_sel:DWORD src1_sel:BYTE_0
	v_cndmask_b32_e64 v17, v1, v6, s2
	v_cndmask_b32_e64 v13, v4, v15, s3
	v_lshlrev_b32_e32 v4, 3, v16
	v_lshlrev_b16 v5, 8, v17
	v_and_b32_sdwa v6, v13, v14 dst_sel:DWORD dst_unused:UNUSED_PAD src0_sel:WORD_1 src1_sel:DWORD
	v_and_b32_e32 v1, 0xf0, v4
	v_perm_b32 v16, v13, v17, 0x3020107
	v_cmp_lt_u16_sdwa s8, v17, v13 src0_sel:BYTE_0 src1_sel:BYTE_3
	v_or_b32_sdwa v12, v6, v5 dst_sel:WORD_1 dst_unused:UNUSED_PAD src0_sel:DWORD src1_sel:DWORD
	v_or_b32_e32 v6, 8, v1
	v_add_nc_u32_e32 v5, 16, v1
	v_cndmask_b32_e64 v16, v17, v16, s8
	v_mad_u32_u24 v17, 0x201, v0, v4
	v_and_or_b32 v15, 0xffff, v13, v12
	v_and_b32_e32 v12, 8, v4
	v_sub_nc_u32_e32 v18, v5, v6
	v_and_b32_sdwa v20, v16, v14 dst_sel:DWORD dst_unused:UNUSED_PAD src0_sel:WORD_1 src1_sel:DWORD
	v_lshrrev_b32_e32 v21, 8, v16
	v_cndmask_b32_e64 v15, v13, v15, s8
	v_sub_nc_u32_e32 v13, v6, v1
	v_sub_nc_u32_e32 v19, v12, v18
	v_perm_b32 v22, v16, v16, 0x7050604
	v_cmp_ge_i32_e32 vcc_lo, v12, v18
	v_cmp_lt_u16_sdwa s14, v20, v21 src0_sel:DWORD src1_sel:BYTE_0
	v_min_i32_e32 v14, v12, v13
	v_mul_u32_u24_e32 v0, 0x201, v0
	v_cndmask_b32_e32 v13, 0, v19, vcc_lo
	v_cndmask_b32_e64 v16, v16, v22, s14
	ds_write_b64 v17, v[15:16]
	; wave barrier
	v_cmpx_lt_i32_e64 v13, v14
	s_cbranch_execz .LBB141_4
; %bb.1:
	v_add_nc_u32_e32 v15, v0, v1
	v_add3_u32 v16, v0, v6, v12
	.p2align	6
.LBB141_2:                              ; =>This Inner Loop Header: Depth=1
	v_sub_nc_u32_e32 v17, v14, v13
	v_lshrrev_b32_e32 v17, 1, v17
	v_add_nc_u32_e32 v17, v17, v13
	v_add_nc_u32_e32 v18, v15, v17
	v_xad_u32 v19, v17, -1, v16
	v_add_nc_u32_e32 v20, 1, v17
	ds_read_u8 v18, v18
	ds_read_u8 v19, v19
	s_waitcnt lgkmcnt(0)
	v_cmp_lt_u16_e32 vcc_lo, v19, v18
	v_cndmask_b32_e32 v14, v14, v17, vcc_lo
	v_cndmask_b32_e32 v13, v20, v13, vcc_lo
	v_cmp_ge_i32_e32 vcc_lo, v13, v14
	s_or_b32 s28, vcc_lo, s28
	s_andn2_b32 exec_lo, exec_lo, s28
	s_cbranch_execnz .LBB141_2
; %bb.3:
	s_or_b32 exec_lo, exec_lo, s28
.LBB141_4:
	s_or_b32 exec_lo, exec_lo, s29
	v_add_nc_u32_e32 v12, v6, v12
	v_add_nc_u32_e32 v1, v13, v1
	v_mov_b32_e32 v14, 24
	v_lshrrev_b32_e32 v27, 16, v2
                                        ; implicit-def: $vgpr15
	v_sub_nc_u32_e32 v12, v12, v13
	v_add_nc_u32_e32 v16, v0, v1
	v_lshrrev_b32_sdwa v25, v14, v2 dst_sel:BYTE_1 dst_unused:UNUSED_PAD src0_sel:DWORD src1_sel:DWORD
	v_cmp_le_i32_e32 vcc_lo, v6, v1
	v_add_nc_u32_e32 v17, v0, v12
	v_cmp_gt_i32_e64 s28, v5, v12
	ds_read_u8 v13, v16
	ds_read_u8 v14, v17
	s_waitcnt lgkmcnt(0)
	v_cmp_lt_u16_sdwa s29, v14, v13 src0_sel:BYTE_0 src1_sel:BYTE_0
	s_or_b32 s29, vcc_lo, s29
	s_and_b32 s28, s28, s29
	s_xor_b32 s29, s28, -1
	s_and_saveexec_b32 s30, s29
	s_xor_b32 s29, exec_lo, s30
; %bb.5:
	ds_read_u8 v15, v16 offset:1
                                        ; implicit-def: $vgpr17
; %bb.6:
	s_or_saveexec_b32 s29, s29
	v_mov_b32_e32 v16, v14
	s_xor_b32 exec_lo, exec_lo, s29
	s_cbranch_execz .LBB141_8
; %bb.7:
	ds_read_u8 v16, v17 offset:1
	s_waitcnt lgkmcnt(1)
	v_mov_b32_e32 v15, v13
.LBB141_8:
	s_or_b32 exec_lo, exec_lo, s29
	v_add_nc_u32_e32 v17, 1, v1
	v_add_nc_u32_e32 v18, 1, v12
	s_waitcnt lgkmcnt(0)
	v_cmp_lt_u16_sdwa s30, v16, v15 src0_sel:BYTE_0 src1_sel:BYTE_0
                                        ; implicit-def: $vgpr19
	v_cndmask_b32_e64 v17, v17, v1, s28
	v_cndmask_b32_e64 v18, v12, v18, s28
	v_cmp_ge_i32_e32 vcc_lo, v17, v6
	v_cmp_lt_i32_e64 s29, v18, v5
	s_or_b32 s30, vcc_lo, s30
	s_and_b32 s29, s29, s30
	s_xor_b32 s30, s29, -1
	s_and_saveexec_b32 s31, s30
	s_xor_b32 s30, exec_lo, s31
; %bb.9:
	v_add_nc_u32_e32 v19, v0, v17
	ds_read_u8 v19, v19 offset:1
; %bb.10:
	s_or_saveexec_b32 s30, s30
	v_mov_b32_e32 v20, v16
	s_xor_b32 exec_lo, exec_lo, s30
	s_cbranch_execz .LBB141_12
; %bb.11:
	s_waitcnt lgkmcnt(0)
	v_add_nc_u32_e32 v19, v0, v18
	ds_read_u8 v20, v19 offset:1
	v_mov_b32_e32 v19, v15
.LBB141_12:
	s_or_b32 exec_lo, exec_lo, s30
	v_add_nc_u32_e32 v21, 1, v17
	v_add_nc_u32_e32 v22, 1, v18
	s_waitcnt lgkmcnt(0)
	v_cmp_lt_u16_sdwa s31, v20, v19 src0_sel:BYTE_0 src1_sel:BYTE_0
                                        ; implicit-def: $vgpr24
	v_cndmask_b32_e64 v21, v21, v17, s29
	v_cndmask_b32_e64 v22, v18, v22, s29
	v_cmp_ge_i32_e32 vcc_lo, v21, v6
	v_cmp_lt_i32_e64 s30, v22, v5
	s_or_b32 s31, vcc_lo, s31
	s_and_b32 s30, s30, s31
	s_xor_b32 s31, s30, -1
	s_and_saveexec_b32 s33, s31
	s_xor_b32 s31, exec_lo, s33
; %bb.13:
	v_add_nc_u32_e32 v23, v0, v21
	ds_read_u8 v24, v23 offset:1
; %bb.14:
	s_or_saveexec_b32 s31, s31
	v_mov_b32_e32 v28, v20
	s_xor_b32 exec_lo, exec_lo, s31
	s_cbranch_execz .LBB141_16
; %bb.15:
	v_add_nc_u32_e32 v23, v0, v22
	s_waitcnt lgkmcnt(0)
	v_mov_b32_e32 v24, v19
	ds_read_u8 v28, v23 offset:1
.LBB141_16:
	s_or_b32 exec_lo, exec_lo, s31
	v_add_nc_u32_e32 v23, 1, v21
	v_add_nc_u32_e32 v26, 1, v22
	s_waitcnt lgkmcnt(0)
	v_cmp_lt_u16_sdwa s33, v28, v24 src0_sel:BYTE_0 src1_sel:BYTE_0
                                        ; implicit-def: $vgpr31
	v_cndmask_b32_e64 v29, v23, v21, s30
	v_cndmask_b32_e64 v30, v22, v26, s30
	v_cmp_ge_i32_e32 vcc_lo, v29, v6
	v_cmp_lt_i32_e64 s31, v30, v5
	s_or_b32 s33, vcc_lo, s33
	s_and_b32 s31, s31, s33
	s_xor_b32 s33, s31, -1
	s_and_saveexec_b32 s34, s33
	s_xor_b32 s33, exec_lo, s34
; %bb.17:
	v_add_nc_u32_e32 v23, v0, v29
	ds_read_u8 v31, v23 offset:1
; %bb.18:
	s_or_saveexec_b32 s33, s33
	v_mov_b32_e32 v33, v28
	s_xor_b32 exec_lo, exec_lo, s33
	s_cbranch_execz .LBB141_20
; %bb.19:
	v_add_nc_u32_e32 v23, v0, v30
	s_waitcnt lgkmcnt(0)
	v_mov_b32_e32 v31, v24
	ds_read_u8 v33, v23 offset:1
.LBB141_20:
	s_or_b32 exec_lo, exec_lo, s33
	v_add_nc_u32_e32 v23, 1, v29
	v_add_nc_u32_e32 v26, 1, v30
	s_waitcnt lgkmcnt(0)
	v_cmp_lt_u16_sdwa s34, v33, v31 src0_sel:BYTE_0 src1_sel:BYTE_0
	v_cndmask_b32_e64 v37, v23, v29, s31
	v_cndmask_b32_e64 v38, v30, v26, s31
                                        ; implicit-def: $vgpr23
	v_cmp_ge_i32_e32 vcc_lo, v37, v6
	v_cmp_lt_i32_e64 s33, v38, v5
	s_or_b32 s34, vcc_lo, s34
	s_and_b32 s34, s33, s34
	s_xor_b32 s33, s34, -1
	s_and_saveexec_b32 s35, s33
	s_xor_b32 s33, exec_lo, s35
; %bb.21:
	v_add_nc_u32_e32 v23, v0, v37
	ds_read_u8 v23, v23 offset:1
; %bb.22:
	s_or_saveexec_b32 s33, s33
	v_mov_b32_e32 v26, v33
	s_xor_b32 exec_lo, exec_lo, s33
	s_cbranch_execz .LBB141_24
; %bb.23:
	s_waitcnt lgkmcnt(0)
	v_add_nc_u32_e32 v23, v0, v38
	ds_read_u8 v26, v23 offset:1
	v_mov_b32_e32 v23, v31
.LBB141_24:
	s_or_b32 exec_lo, exec_lo, s33
	v_add_nc_u32_e32 v32, 1, v37
	v_add_nc_u32_e32 v34, 1, v38
	s_waitcnt lgkmcnt(0)
	v_cmp_lt_u16_sdwa s35, v26, v23 src0_sel:BYTE_0 src1_sel:BYTE_0
                                        ; implicit-def: $vgpr41
	v_cndmask_b32_e64 v39, v32, v37, s34
	v_cndmask_b32_e64 v40, v38, v34, s34
	v_cmp_ge_i32_e32 vcc_lo, v39, v6
	v_cmp_lt_i32_e64 s33, v40, v5
	s_or_b32 s35, vcc_lo, s35
	s_and_b32 vcc_lo, s33, s35
	s_xor_b32 s33, vcc_lo, -1
	s_and_saveexec_b32 s35, s33
	s_xor_b32 s33, exec_lo, s35
; %bb.25:
	v_add_nc_u32_e32 v32, v0, v39
	ds_read_u8 v41, v32 offset:1
; %bb.26:
	s_or_saveexec_b32 s33, s33
	v_mov_b32_e32 v42, v26
	s_xor_b32 exec_lo, exec_lo, s33
	s_cbranch_execz .LBB141_28
; %bb.27:
	v_add_nc_u32_e32 v32, v0, v40
	s_waitcnt lgkmcnt(0)
	v_mov_b32_e32 v41, v23
	ds_read_u8 v42, v32 offset:1
.LBB141_28:
	s_or_b32 exec_lo, exec_lo, s33
	v_add_nc_u32_e32 v32, 1, v39
	v_add_nc_u32_e32 v35, 1, v40
	s_waitcnt lgkmcnt(0)
	v_cmp_lt_u16_sdwa s36, v42, v41 src0_sel:BYTE_0 src1_sel:BYTE_0
	v_cndmask_b32_e32 v34, v32, v39, vcc_lo
	v_cndmask_b32_e32 v36, v40, v35, vcc_lo
                                        ; implicit-def: $vgpr32
	v_cmp_ge_i32_e64 s33, v34, v6
	v_cmp_lt_i32_e64 s35, v36, v5
	s_or_b32 s33, s33, s36
	s_and_b32 s33, s35, s33
	s_xor_b32 s35, s33, -1
	s_and_saveexec_b32 s36, s35
	s_xor_b32 s35, exec_lo, s36
; %bb.29:
	v_add_nc_u32_e32 v32, v0, v34
	ds_read_u8 v32, v32 offset:1
; %bb.30:
	s_or_saveexec_b32 s35, s35
	v_mov_b32_e32 v35, v42
	s_xor_b32 exec_lo, exec_lo, s35
	s_cbranch_execz .LBB141_32
; %bb.31:
	s_waitcnt lgkmcnt(0)
	v_add_nc_u32_e32 v32, v0, v36
	ds_read_u8 v35, v32 offset:1
	v_mov_b32_e32 v32, v41
.LBB141_32:
	s_or_b32 exec_lo, exec_lo, s35
	v_add_nc_u16 v11, v11, 1
	v_add_nc_u16 v9, v9, 1
	;; [unrolled: 1-line block ×5, first 2 shown]
	v_or_b32_sdwa v7, v7, v11 dst_sel:DWORD dst_unused:UNUSED_PAD src0_sel:DWORD src1_sel:BYTE_0
	v_lshlrev_b16 v11, 8, v9
	v_lshlrev_b16 v43, 8, v10
	;; [unrolled: 1-line block ×3, first 2 shown]
	v_or_b32_sdwa v25, v25, v27 dst_sel:DWORD dst_unused:UNUSED_PAD src0_sel:DWORD src1_sel:BYTE_0
	v_add_nc_u16 v7, 0x100, v7
	v_or_b32_sdwa v10, v10, v11 dst_sel:DWORD dst_unused:UNUSED_PAD src0_sel:BYTE_0 src1_sel:DWORD
	v_or_b32_sdwa v9, v9, v43 dst_sel:DWORD dst_unused:UNUSED_PAD src0_sel:BYTE_0 src1_sel:DWORD
	v_or_b32_sdwa v2, v8, v2 dst_sel:DWORD dst_unused:UNUSED_PAD src0_sel:DWORD src1_sel:BYTE_0
	v_add_nc_u16 v8, 0x100, v25
	v_lshlrev_b32_e32 v11, 16, v7
	v_and_b32_e32 v10, 0xffff, v10
	v_and_b32_e32 v9, 0xffff, v9
	v_add_nc_u16 v2, 0x100, v2
	v_lshlrev_b32_e32 v8, 16, v8
	v_perm_b32 v7, 0, v7, 0xc0c0001
	v_cndmask_b32_e64 v16, v15, v16, s29
	v_cndmask_b32_e64 v9, v10, v9, s4
	v_mov_b32_e32 v10, 0xff
	v_or_b32_sdwa v2, v2, v8 dst_sel:DWORD dst_unused:UNUSED_PAD src0_sel:WORD_0 src1_sel:DWORD
	v_lshlrev_b32_e32 v7, 16, v7
	v_cndmask_b32_e64 v12, v1, v12, s28
	v_or_b32_e32 v8, v9, v11
	v_cndmask_b32_e64 v17, v17, v18, s29
	v_perm_b32 v9, v2, v2, 0x7060405
	v_cndmask_b32_e64 v18, v13, v14, s28
	v_cndmask_b32_e64 v19, v19, v20, s30
	v_and_or_b32 v7, 0xffff, v8, v7
	v_cndmask_b32_e64 v20, v21, v22, s30
	v_cndmask_b32_e64 v2, v2, v9, s5
	v_add_nc_u32_e32 v11, 1, v36
	v_add_nc_u32_e32 v27, 1, v34
	v_cndmask_b32_e64 v7, v8, v7, s7
	v_cndmask_b32_sdwa v21, v23, v26, vcc_lo dst_sel:BYTE_1 dst_unused:UNUSED_PAD src0_sel:DWORD src1_sel:DWORD
	v_perm_b32 v8, v2, v2, 0x6070504
	v_cndmask_b32_e32 v39, v39, v40, vcc_lo
	s_waitcnt lgkmcnt(0)
	v_cmp_lt_u16_sdwa s4, v35, v32 src0_sel:BYTE_0 src1_sel:BYTE_0
	v_perm_b32 v9, v7, v7, 0x7050604
	v_cndmask_b32_e64 v24, v24, v28, s31
	v_cndmask_b32_e64 v2, v2, v8, s9
	;; [unrolled: 1-line block ×6, first 2 shown]
	v_lshlrev_b16 v8, 8, v2
	v_add_nc_u32_e32 v12, v0, v12
	v_add_nc_u32_e32 v17, v0, v17
	v_and_b32_sdwa v9, v7, v10 dst_sel:DWORD dst_unused:UNUSED_PAD src0_sel:WORD_1 src1_sel:DWORD
	v_add_nc_u32_e32 v20, v0, v20
	; wave barrier
	v_add_nc_u32_e32 v26, v0, v39
	v_or_b32_sdwa v8, v9, v8 dst_sel:WORD_1 dst_unused:UNUSED_PAD src0_sel:DWORD src1_sel:DWORD
	v_and_b32_e32 v14, 0xe0, v4
	v_lshlrev_b16 v16, 8, v16
	v_cndmask_b32_e64 v31, v31, v33, s34
	v_lshlrev_b16 v24, 8, v24
	v_and_or_b32 v8, 0xffff, v7, v8
	v_or_b32_sdwa v18, v18, v16 dst_sel:DWORD dst_unused:UNUSED_PAD src0_sel:BYTE_0 src1_sel:DWORD
	v_or_b32_sdwa v21, v31, v21 dst_sel:DWORD dst_unused:UNUSED_PAD src0_sel:BYTE_0 src1_sel:DWORD
	v_or_b32_sdwa v19, v19, v24 dst_sel:WORD_1 dst_unused:UNUSED_PAD src0_sel:BYTE_0 src1_sel:DWORD
	v_cndmask_b32_e64 v8, v7, v8, s6
	v_perm_b32 v7, v7, v2, 0x3020107
	v_or_b32_sdwa v18, v18, v19 dst_sel:DWORD dst_unused:UNUSED_PAD src0_sel:WORD_0 src1_sel:DWORD
	v_perm_b32 v9, 0, v8, 0xc0c0001
	v_cndmask_b32_e64 v2, v2, v7, s6
	v_and_or_b32 v9, 0xffff0000, v8, v9
	v_cndmask_b32_e64 v8, v8, v9, s11
	v_perm_b32 v9, v2, v2, 0x7050604
	v_lshrrev_b32_e32 v7, 16, v8
	v_cndmask_b32_e64 v2, v2, v9, s12
	v_perm_b32 v7, 0, v7, 0xc0c0001
	v_perm_b32 v9, v2, v2, 0x7060405
	v_lshlrev_b32_e32 v7, 16, v7
	v_cndmask_b32_e64 v2, v2, v9, s13
	v_and_or_b32 v7, 0xffff, v8, v7
	v_cndmask_b32_e64 v7, v8, v7, s15
	v_perm_b32 v8, v2, v2, 0x6070504
	v_perm_b32 v9, v7, v7, 0x7050604
	v_cndmask_b32_e64 v2, v2, v8, s17
	v_cndmask_b32_e64 v7, v7, v9, s18
	v_lshlrev_b16 v8, 8, v2
	v_and_b32_sdwa v9, v7, v10 dst_sel:DWORD dst_unused:UNUSED_PAD src0_sel:WORD_1 src1_sel:DWORD
	v_or_b32_sdwa v8, v9, v8 dst_sel:WORD_1 dst_unused:UNUSED_PAD src0_sel:DWORD src1_sel:DWORD
	v_and_or_b32 v8, 0xffff, v7, v8
	v_cndmask_b32_e64 v8, v7, v8, s16
	v_perm_b32 v7, v7, v2, 0x3020107
	v_perm_b32 v9, 0, v8, 0xc0c0001
	v_cndmask_b32_e64 v2, v2, v7, s16
	v_and_or_b32 v9, 0xffff0000, v8, v9
	v_cndmask_b32_e64 v8, v8, v9, s20
	v_perm_b32 v9, v2, v2, 0x7050604
	v_lshrrev_b32_e32 v7, 16, v8
	v_cndmask_b32_e64 v2, v2, v9, s21
	v_perm_b32 v7, 0, v7, 0xc0c0001
	v_perm_b32 v9, v2, v2, 0x7060405
	v_lshlrev_b32_e32 v7, 16, v7
	v_cndmask_b32_e64 v2, v2, v9, s22
	v_and_or_b32 v7, 0xffff, v8, v7
	v_cndmask_b32_e64 v7, v8, v7, s23
	v_perm_b32 v8, v2, v2, 0x6070504
	v_perm_b32 v9, v7, v7, 0x7050604
	v_cndmask_b32_e64 v2, v2, v8, s25
	v_cndmask_b32_e64 v7, v7, v9, s26
	v_lshlrev_b16 v8, 8, v2
	v_and_b32_sdwa v9, v7, v10 dst_sel:DWORD dst_unused:UNUSED_PAD src0_sel:WORD_1 src1_sel:DWORD
	v_or_b32_sdwa v8, v9, v8 dst_sel:WORD_1 dst_unused:UNUSED_PAD src0_sel:DWORD src1_sel:DWORD
	v_and_or_b32 v8, 0xffff, v7, v8
	v_cndmask_b32_e64 v8, v7, v8, s19
	v_perm_b32 v7, v7, v2, 0x3020107
	v_perm_b32 v9, 0, v8, 0xc0c0001
	v_cndmask_b32_e64 v2, v2, v7, s19
	v_and_or_b32 v9, 0xffff0000, v8, v9
	v_perm_b32 v15, v2, v2, 0x7050604
	v_cndmask_b32_e64 v8, v8, v9, s27
	v_cndmask_b32_e64 v2, v2, v15, s24
	v_cndmask_b32_e64 v9, v37, v38, s34
	v_and_b32_e32 v15, 24, v4
	v_lshrrev_b32_e32 v7, 16, v8
	v_add_nc_u32_e32 v23, v0, v9
	v_perm_b32 v7, 0, v7, 0xc0c0001
	v_lshlrev_b32_e32 v1, 16, v7
	v_perm_b32 v7, v2, v2, 0x7060405
	v_and_or_b32 v13, 0xffff, v8, v1
	v_cndmask_b32_e64 v2, v2, v7, s0
	v_add_nc_u32_e32 v1, v0, v4
	v_cndmask_b32_e64 v7, v8, v13, s1
	v_perm_b32 v13, v2, v2, 0x6070504
	v_cndmask_b32_e64 v8, v36, v11, s33
	v_cndmask_b32_e64 v11, v27, v34, s33
	v_perm_b32 v22, v7, v7, 0x7050604
	v_cndmask_b32_e64 v2, v2, v13, s2
	v_cmp_lt_i32_e64 s0, v8, v5
	v_cmp_ge_i32_e32 vcc_lo, v11, v6
	v_cndmask_b32_e64 v13, v7, v22, s3
	v_lshlrev_b16 v9, 8, v2
	v_add_nc_u32_e32 v22, v0, v28
	s_or_b32 s1, vcc_lo, s4
	v_add_nc_u32_e32 v28, v0, v41
	v_and_b32_sdwa v10, v13, v10 dst_sel:DWORD dst_unused:UNUSED_PAD src0_sel:WORD_1 src1_sel:DWORD
	v_perm_b32 v27, v13, v2, 0x3020107
	s_and_b32 vcc_lo, s0, s1
	v_or_b32_e32 v7, 16, v14
	v_cndmask_b32_e32 v8, v11, v8, vcc_lo
	v_or_b32_sdwa v6, v10, v9 dst_sel:WORD_1 dst_unused:UNUSED_PAD src0_sel:DWORD src1_sel:DWORD
	v_cndmask_b32_e64 v9, v2, v27, s8
	v_add_nc_u32_e32 v2, 32, v14
	v_cndmask_b32_e32 v27, v32, v35, vcc_lo
	s_mov_b32 s0, 0
	v_and_or_b32 v5, 0xffff, v13, v6
	v_perm_b32 v6, v9, v9, 0x7050604
	v_sub_nc_u32_e32 v29, v2, v7
	v_lshlrev_b16 v16, 8, v27
	s_mov_b32 s1, exec_lo
	v_cndmask_b32_e64 v5, v13, v5, s8
	v_cndmask_b32_e64 v6, v9, v6, s14
	v_add_nc_u32_e32 v13, v0, v8
	v_cmp_ge_i32_e32 vcc_lo, v15, v29
	ds_write_b64 v1, v[5:6]
	; wave barrier
	ds_read_u8 v5, v12
	ds_read_u8 v6, v17
	ds_read_u8 v8, v20
	ds_read_u8 v9, v22
	ds_read_u8 v10, v23
	ds_read_u8 v11, v26
	ds_read_u8 v12, v28
	ds_read_u8 v13, v13
	v_sub_nc_u32_e32 v17, v15, v29
	v_sub_nc_u32_e32 v20, v7, v14
	v_or_b32_sdwa v22, v25, v16 dst_sel:WORD_1 dst_unused:UNUSED_PAD src0_sel:BYTE_0 src1_sel:DWORD
	; wave barrier
	v_cndmask_b32_e32 v16, 0, v17, vcc_lo
	v_min_i32_e32 v17, v15, v20
	v_or_b32_sdwa v19, v21, v22 dst_sel:DWORD dst_unused:UNUSED_PAD src0_sel:WORD_0 src1_sel:DWORD
	ds_write_b64 v1, v[18:19]
	; wave barrier
	v_cmpx_lt_i32_e64 v16, v17
	s_cbranch_execz .LBB141_36
; %bb.33:
	v_add_nc_u32_e32 v18, v0, v14
	v_add3_u32 v19, v0, v7, v15
	.p2align	6
.LBB141_34:                             ; =>This Inner Loop Header: Depth=1
	v_sub_nc_u32_e32 v20, v17, v16
	v_lshrrev_b32_e32 v20, 1, v20
	v_add_nc_u32_e32 v20, v20, v16
	v_add_nc_u32_e32 v21, v18, v20
	v_xad_u32 v22, v20, -1, v19
	v_add_nc_u32_e32 v23, 1, v20
	ds_read_u8 v21, v21
	ds_read_u8 v22, v22
	s_waitcnt lgkmcnt(0)
	v_cmp_lt_u16_e32 vcc_lo, v22, v21
	v_cndmask_b32_e32 v17, v17, v20, vcc_lo
	v_cndmask_b32_e32 v16, v23, v16, vcc_lo
	v_cmp_ge_i32_e32 vcc_lo, v16, v17
	s_or_b32 s0, vcc_lo, s0
	s_andn2_b32 exec_lo, exec_lo, s0
	s_cbranch_execnz .LBB141_34
; %bb.35:
	s_or_b32 exec_lo, exec_lo, s0
.LBB141_36:
	s_or_b32 exec_lo, exec_lo, s1
	v_add_nc_u32_e32 v15, v7, v15
	v_add_nc_u32_e32 v14, v16, v14
                                        ; implicit-def: $vgpr18
	v_sub_nc_u32_e32 v15, v15, v16
	v_add_nc_u32_e32 v19, v0, v14
	v_cmp_le_i32_e32 vcc_lo, v7, v14
	v_add_nc_u32_e32 v20, v0, v15
	v_cmp_gt_i32_e64 s0, v2, v15
	ds_read_u8 v16, v19
	ds_read_u8 v17, v20
	s_waitcnt lgkmcnt(0)
	v_cmp_lt_u16_sdwa s1, v17, v16 src0_sel:BYTE_0 src1_sel:BYTE_0
	s_or_b32 s1, vcc_lo, s1
	s_and_b32 s0, s0, s1
	s_xor_b32 s1, s0, -1
	s_and_saveexec_b32 s2, s1
	s_xor_b32 s1, exec_lo, s2
; %bb.37:
	ds_read_u8 v18, v19 offset:1
                                        ; implicit-def: $vgpr20
; %bb.38:
	s_or_saveexec_b32 s1, s1
	v_mov_b32_e32 v19, v17
	s_xor_b32 exec_lo, exec_lo, s1
	s_cbranch_execz .LBB141_40
; %bb.39:
	ds_read_u8 v19, v20 offset:1
	s_waitcnt lgkmcnt(1)
	v_mov_b32_e32 v18, v16
.LBB141_40:
	s_or_b32 exec_lo, exec_lo, s1
	v_add_nc_u32_e32 v20, 1, v14
	v_add_nc_u32_e32 v21, 1, v15
	s_waitcnt lgkmcnt(0)
	v_cmp_lt_u16_sdwa s2, v19, v18 src0_sel:BYTE_0 src1_sel:BYTE_0
                                        ; implicit-def: $vgpr22
	v_cndmask_b32_e64 v20, v20, v14, s0
	v_cndmask_b32_e64 v21, v15, v21, s0
	v_cmp_ge_i32_e32 vcc_lo, v20, v7
	v_cmp_lt_i32_e64 s1, v21, v2
	s_or_b32 s2, vcc_lo, s2
	s_and_b32 s1, s1, s2
	s_xor_b32 s2, s1, -1
	s_and_saveexec_b32 s3, s2
	s_xor_b32 s2, exec_lo, s3
; %bb.41:
	v_add_nc_u32_e32 v22, v0, v20
	ds_read_u8 v22, v22 offset:1
; %bb.42:
	s_or_saveexec_b32 s2, s2
	v_mov_b32_e32 v23, v19
	s_xor_b32 exec_lo, exec_lo, s2
	s_cbranch_execz .LBB141_44
; %bb.43:
	s_waitcnt lgkmcnt(0)
	v_add_nc_u32_e32 v22, v0, v21
	ds_read_u8 v23, v22 offset:1
	v_mov_b32_e32 v22, v18
.LBB141_44:
	s_or_b32 exec_lo, exec_lo, s2
	v_add_nc_u32_e32 v24, 1, v20
	v_add_nc_u32_e32 v25, 1, v21
	s_waitcnt lgkmcnt(0)
	v_cmp_lt_u16_sdwa s3, v23, v22 src0_sel:BYTE_0 src1_sel:BYTE_0
                                        ; implicit-def: $vgpr26
	v_cndmask_b32_e64 v24, v24, v20, s1
	v_cndmask_b32_e64 v25, v21, v25, s1
	v_cmp_ge_i32_e32 vcc_lo, v24, v7
	v_cmp_lt_i32_e64 s2, v25, v2
	s_or_b32 s3, vcc_lo, s3
	s_and_b32 s2, s2, s3
	s_xor_b32 s3, s2, -1
	s_and_saveexec_b32 s4, s3
	s_xor_b32 s3, exec_lo, s4
; %bb.45:
	v_add_nc_u32_e32 v26, v0, v24
	ds_read_u8 v26, v26 offset:1
; %bb.46:
	s_or_saveexec_b32 s3, s3
	v_mov_b32_e32 v27, v23
	s_xor_b32 exec_lo, exec_lo, s3
	s_cbranch_execz .LBB141_48
; %bb.47:
	s_waitcnt lgkmcnt(0)
	v_add_nc_u32_e32 v26, v0, v25
	ds_read_u8 v27, v26 offset:1
	v_mov_b32_e32 v26, v22
.LBB141_48:
	s_or_b32 exec_lo, exec_lo, s3
	v_add_nc_u32_e32 v28, 1, v24
	v_add_nc_u32_e32 v29, 1, v25
	s_waitcnt lgkmcnt(0)
	v_cmp_lt_u16_sdwa s4, v27, v26 src0_sel:BYTE_0 src1_sel:BYTE_0
                                        ; implicit-def: $vgpr30
	v_cndmask_b32_e64 v28, v28, v24, s2
	v_cndmask_b32_e64 v29, v25, v29, s2
	v_cmp_ge_i32_e32 vcc_lo, v28, v7
	v_cmp_lt_i32_e64 s3, v29, v2
	s_or_b32 s4, vcc_lo, s4
	s_and_b32 s3, s3, s4
	s_xor_b32 s4, s3, -1
	s_and_saveexec_b32 s5, s4
	s_xor_b32 s4, exec_lo, s5
; %bb.49:
	v_add_nc_u32_e32 v30, v0, v28
	ds_read_u8 v30, v30 offset:1
; %bb.50:
	s_or_saveexec_b32 s4, s4
	v_mov_b32_e32 v31, v27
	s_xor_b32 exec_lo, exec_lo, s4
	s_cbranch_execz .LBB141_52
; %bb.51:
	s_waitcnt lgkmcnt(0)
	v_add_nc_u32_e32 v30, v0, v29
	ds_read_u8 v31, v30 offset:1
	v_mov_b32_e32 v30, v26
.LBB141_52:
	s_or_b32 exec_lo, exec_lo, s4
	v_add_nc_u32_e32 v32, 1, v28
	v_add_nc_u32_e32 v33, 1, v29
	s_waitcnt lgkmcnt(0)
	v_cmp_lt_u16_sdwa s5, v31, v30 src0_sel:BYTE_0 src1_sel:BYTE_0
                                        ; implicit-def: $vgpr34
	v_cndmask_b32_e64 v32, v32, v28, s3
	v_cndmask_b32_e64 v33, v29, v33, s3
	v_cmp_ge_i32_e32 vcc_lo, v32, v7
	v_cmp_lt_i32_e64 s4, v33, v2
	s_or_b32 s5, vcc_lo, s5
	s_and_b32 s4, s4, s5
	s_xor_b32 s5, s4, -1
	s_and_saveexec_b32 s6, s5
	s_xor_b32 s5, exec_lo, s6
; %bb.53:
	v_add_nc_u32_e32 v34, v0, v32
	ds_read_u8 v34, v34 offset:1
; %bb.54:
	s_or_saveexec_b32 s5, s5
	v_mov_b32_e32 v35, v31
	s_xor_b32 exec_lo, exec_lo, s5
	s_cbranch_execz .LBB141_56
; %bb.55:
	s_waitcnt lgkmcnt(0)
	v_add_nc_u32_e32 v34, v0, v33
	ds_read_u8 v35, v34 offset:1
	v_mov_b32_e32 v34, v30
.LBB141_56:
	s_or_b32 exec_lo, exec_lo, s5
	v_add_nc_u32_e32 v36, 1, v32
	v_add_nc_u32_e32 v37, 1, v33
	s_waitcnt lgkmcnt(0)
	v_cmp_lt_u16_sdwa s6, v35, v34 src0_sel:BYTE_0 src1_sel:BYTE_0
                                        ; implicit-def: $vgpr38
	v_cndmask_b32_e64 v36, v36, v32, s4
	v_cndmask_b32_e64 v37, v33, v37, s4
	v_cmp_ge_i32_e32 vcc_lo, v36, v7
	v_cmp_lt_i32_e64 s5, v37, v2
	s_or_b32 s6, vcc_lo, s6
	s_and_b32 vcc_lo, s5, s6
	s_xor_b32 s5, vcc_lo, -1
	s_and_saveexec_b32 s6, s5
	s_xor_b32 s5, exec_lo, s6
; %bb.57:
	v_add_nc_u32_e32 v38, v0, v36
	ds_read_u8 v38, v38 offset:1
; %bb.58:
	s_or_saveexec_b32 s5, s5
	v_mov_b32_e32 v40, v35
	s_xor_b32 exec_lo, exec_lo, s5
	s_cbranch_execz .LBB141_60
; %bb.59:
	s_waitcnt lgkmcnt(0)
	v_add_nc_u32_e32 v38, v0, v37
	ds_read_u8 v40, v38 offset:1
	v_mov_b32_e32 v38, v34
.LBB141_60:
	s_or_b32 exec_lo, exec_lo, s5
	v_add_nc_u32_e32 v39, 1, v36
	v_add_nc_u32_e32 v41, 1, v37
	s_waitcnt lgkmcnt(0)
	v_cmp_lt_u16_sdwa s7, v40, v38 src0_sel:BYTE_0 src1_sel:BYTE_0
	v_cndmask_b32_e32 v42, v39, v36, vcc_lo
	v_cndmask_b32_e32 v43, v37, v41, vcc_lo
                                        ; implicit-def: $vgpr39
	v_cmp_ge_i32_e64 s5, v42, v7
	v_cmp_lt_i32_e64 s6, v43, v2
	s_or_b32 s5, s5, s7
	s_and_b32 s5, s6, s5
	s_xor_b32 s6, s5, -1
	s_and_saveexec_b32 s7, s6
	s_xor_b32 s6, exec_lo, s7
; %bb.61:
	v_add_nc_u32_e32 v39, v0, v42
	ds_read_u8 v39, v39 offset:1
; %bb.62:
	s_or_saveexec_b32 s6, s6
	v_mov_b32_e32 v41, v40
	s_xor_b32 exec_lo, exec_lo, s6
	s_cbranch_execz .LBB141_64
; %bb.63:
	s_waitcnt lgkmcnt(0)
	v_add_nc_u32_e32 v39, v0, v43
	ds_read_u8 v41, v39 offset:1
	v_mov_b32_e32 v39, v38
.LBB141_64:
	s_or_b32 exec_lo, exec_lo, s6
	v_add_nc_u32_e32 v44, 1, v43
	v_add_nc_u32_e32 v45, 1, v42
	v_cndmask_b32_e64 v38, v38, v40, s5
	v_cndmask_b32_sdwa v34, v34, v35, vcc_lo dst_sel:BYTE_1 dst_unused:UNUSED_PAD src0_sel:DWORD src1_sel:DWORD
	v_cndmask_b32_e32 v35, v36, v37, vcc_lo
	v_cndmask_b32_e64 v40, v43, v44, s5
	v_cndmask_b32_e64 v44, v45, v42, s5
	v_perm_b32 v5, v5, v6, 0xc0c0004
	v_perm_b32 v8, v8, v9, 0xc0c0004
	v_cndmask_b32_e64 v22, v22, v23, s2
	v_cndmask_b32_e64 v23, v24, v25, s2
	v_cmp_ge_i32_e32 vcc_lo, v44, v7
	v_perm_b32 v7, v10, v11, 0xc0c0004
	v_perm_b32 v10, v12, v13, 0xc0c0004
	s_waitcnt lgkmcnt(0)
	v_cmp_lt_u16_sdwa s2, v41, v39 src0_sel:BYTE_0 src1_sel:BYTE_0
	v_cndmask_b32_e64 v18, v18, v19, s1
	v_cndmask_b32_e64 v19, v20, v21, s1
	v_cmp_lt_i32_e64 s1, v40, v2
	v_cndmask_b32_e64 v2, v14, v15, s0
	v_lshl_or_b32 v6, v10, 16, v7
	v_lshl_or_b32 v5, v8, 16, v5
	v_cndmask_b32_e64 v16, v16, v17, s0
	s_or_b32 s0, vcc_lo, s2
	v_cndmask_b32_e64 v26, v26, v27, s3
	v_cndmask_b32_e64 v27, v28, v29, s3
	s_and_b32 vcc_lo, s1, s0
	v_cndmask_b32_e64 v42, v42, v43, s5
	v_cndmask_b32_e64 v30, v30, v31, s4
	;; [unrolled: 1-line block ×3, first 2 shown]
	v_cndmask_b32_e32 v7, v44, v40, vcc_lo
	; wave barrier
	ds_write_b64 v1, v[5:6]
	v_add_nc_u32_e32 v5, v0, v2
	v_add_nc_u32_e32 v6, v0, v19
	;; [unrolled: 1-line block ×7, first 2 shown]
	; wave barrier
	v_add_nc_u32_e32 v15, v0, v7
	ds_read_u8 v5, v5
	ds_read_u8 v6, v6
	;; [unrolled: 1-line block ×8, first 2 shown]
	v_and_b32_e32 v14, 0xc0, v4
	v_cndmask_b32_e32 v17, v39, v41, vcc_lo
	v_lshlrev_b16 v18, 8, v18
	v_lshlrev_b16 v19, 8, v26
	v_and_b32_e32 v15, 56, v4
	v_or_b32_e32 v13, 32, v14
	v_add_nc_u32_e32 v2, 64, v14
	v_lshlrev_b16 v17, 8, v17
	v_or_b32_sdwa v16, v16, v18 dst_sel:DWORD dst_unused:UNUSED_PAD src0_sel:BYTE_0 src1_sel:DWORD
	v_or_b32_sdwa v18, v22, v19 dst_sel:WORD_1 dst_unused:UNUSED_PAD src0_sel:BYTE_0 src1_sel:DWORD
	v_or_b32_sdwa v19, v30, v34 dst_sel:DWORD dst_unused:UNUSED_PAD src0_sel:BYTE_0 src1_sel:DWORD
	v_sub_nc_u32_e32 v20, v2, v13
	v_sub_nc_u32_e32 v22, v13, v14
	v_or_b32_sdwa v23, v38, v17 dst_sel:WORD_1 dst_unused:UNUSED_PAD src0_sel:BYTE_0 src1_sel:DWORD
	v_or_b32_sdwa v18, v16, v18 dst_sel:DWORD dst_unused:UNUSED_PAD src0_sel:WORD_0 src1_sel:DWORD
	s_mov_b32 s1, 0
	v_sub_nc_u32_e32 v21, v15, v20
	v_cmp_ge_i32_e32 vcc_lo, v15, v20
	v_min_i32_e32 v17, v15, v22
	v_or_b32_sdwa v19, v19, v23 dst_sel:DWORD dst_unused:UNUSED_PAD src0_sel:WORD_0 src1_sel:DWORD
	s_mov_b32 s0, exec_lo
	v_cndmask_b32_e32 v16, 0, v21, vcc_lo
	; wave barrier
	ds_write_b64 v1, v[18:19]
	; wave barrier
	v_cmpx_lt_i32_e64 v16, v17
	s_cbranch_execz .LBB141_68
; %bb.65:
	v_add_nc_u32_e32 v18, v0, v14
	v_add3_u32 v19, v0, v13, v15
	.p2align	6
.LBB141_66:                             ; =>This Inner Loop Header: Depth=1
	v_sub_nc_u32_e32 v20, v17, v16
	v_lshrrev_b32_e32 v20, 1, v20
	v_add_nc_u32_e32 v20, v20, v16
	v_add_nc_u32_e32 v21, v18, v20
	v_xad_u32 v22, v20, -1, v19
	v_add_nc_u32_e32 v23, 1, v20
	ds_read_u8 v21, v21
	ds_read_u8 v22, v22
	s_waitcnt lgkmcnt(0)
	v_cmp_lt_u16_e32 vcc_lo, v22, v21
	v_cndmask_b32_e32 v17, v17, v20, vcc_lo
	v_cndmask_b32_e32 v16, v23, v16, vcc_lo
	v_cmp_ge_i32_e32 vcc_lo, v16, v17
	s_or_b32 s1, vcc_lo, s1
	s_andn2_b32 exec_lo, exec_lo, s1
	s_cbranch_execnz .LBB141_66
; %bb.67:
	s_or_b32 exec_lo, exec_lo, s1
.LBB141_68:
	s_or_b32 exec_lo, exec_lo, s0
	v_add_nc_u32_e32 v15, v13, v15
	v_add_nc_u32_e32 v14, v16, v14
                                        ; implicit-def: $vgpr18
	v_sub_nc_u32_e32 v15, v15, v16
	v_add_nc_u32_e32 v19, v0, v14
	v_cmp_le_i32_e32 vcc_lo, v13, v14
	v_add_nc_u32_e32 v20, v0, v15
	v_cmp_gt_i32_e64 s0, v2, v15
	ds_read_u8 v16, v19
	ds_read_u8 v17, v20
	s_waitcnt lgkmcnt(0)
	v_cmp_lt_u16_sdwa s1, v17, v16 src0_sel:BYTE_0 src1_sel:BYTE_0
	s_or_b32 s1, vcc_lo, s1
	s_and_b32 s0, s0, s1
	s_xor_b32 s1, s0, -1
	s_and_saveexec_b32 s2, s1
	s_xor_b32 s1, exec_lo, s2
; %bb.69:
	ds_read_u8 v18, v19 offset:1
                                        ; implicit-def: $vgpr20
; %bb.70:
	s_or_saveexec_b32 s1, s1
	v_mov_b32_e32 v19, v17
	s_xor_b32 exec_lo, exec_lo, s1
	s_cbranch_execz .LBB141_72
; %bb.71:
	ds_read_u8 v19, v20 offset:1
	s_waitcnt lgkmcnt(1)
	v_mov_b32_e32 v18, v16
.LBB141_72:
	s_or_b32 exec_lo, exec_lo, s1
	v_add_nc_u32_e32 v20, 1, v14
	v_add_nc_u32_e32 v21, 1, v15
	s_waitcnt lgkmcnt(0)
	v_cmp_lt_u16_sdwa s2, v19, v18 src0_sel:BYTE_0 src1_sel:BYTE_0
                                        ; implicit-def: $vgpr22
	v_cndmask_b32_e64 v20, v20, v14, s0
	v_cndmask_b32_e64 v21, v15, v21, s0
	v_cmp_ge_i32_e32 vcc_lo, v20, v13
	v_cmp_lt_i32_e64 s1, v21, v2
	s_or_b32 s2, vcc_lo, s2
	s_and_b32 s1, s1, s2
	s_xor_b32 s2, s1, -1
	s_and_saveexec_b32 s3, s2
	s_xor_b32 s2, exec_lo, s3
; %bb.73:
	v_add_nc_u32_e32 v22, v0, v20
	ds_read_u8 v22, v22 offset:1
; %bb.74:
	s_or_saveexec_b32 s2, s2
	v_mov_b32_e32 v23, v19
	s_xor_b32 exec_lo, exec_lo, s2
	s_cbranch_execz .LBB141_76
; %bb.75:
	s_waitcnt lgkmcnt(0)
	v_add_nc_u32_e32 v22, v0, v21
	ds_read_u8 v23, v22 offset:1
	v_mov_b32_e32 v22, v18
.LBB141_76:
	s_or_b32 exec_lo, exec_lo, s2
	v_add_nc_u32_e32 v24, 1, v20
	v_add_nc_u32_e32 v25, 1, v21
	s_waitcnt lgkmcnt(0)
	v_cmp_lt_u16_sdwa s3, v23, v22 src0_sel:BYTE_0 src1_sel:BYTE_0
                                        ; implicit-def: $vgpr26
	v_cndmask_b32_e64 v24, v24, v20, s1
	v_cndmask_b32_e64 v25, v21, v25, s1
	v_cmp_ge_i32_e32 vcc_lo, v24, v13
	v_cmp_lt_i32_e64 s2, v25, v2
	s_or_b32 s3, vcc_lo, s3
	s_and_b32 s2, s2, s3
	s_xor_b32 s3, s2, -1
	s_and_saveexec_b32 s4, s3
	s_xor_b32 s3, exec_lo, s4
; %bb.77:
	v_add_nc_u32_e32 v26, v0, v24
	ds_read_u8 v26, v26 offset:1
; %bb.78:
	s_or_saveexec_b32 s3, s3
	v_mov_b32_e32 v27, v23
	s_xor_b32 exec_lo, exec_lo, s3
	s_cbranch_execz .LBB141_80
; %bb.79:
	s_waitcnt lgkmcnt(0)
	v_add_nc_u32_e32 v26, v0, v25
	ds_read_u8 v27, v26 offset:1
	v_mov_b32_e32 v26, v22
.LBB141_80:
	s_or_b32 exec_lo, exec_lo, s3
	v_add_nc_u32_e32 v28, 1, v24
	v_add_nc_u32_e32 v29, 1, v25
	s_waitcnt lgkmcnt(0)
	v_cmp_lt_u16_sdwa s4, v27, v26 src0_sel:BYTE_0 src1_sel:BYTE_0
                                        ; implicit-def: $vgpr30
	v_cndmask_b32_e64 v28, v28, v24, s2
	v_cndmask_b32_e64 v29, v25, v29, s2
	v_cmp_ge_i32_e32 vcc_lo, v28, v13
	v_cmp_lt_i32_e64 s3, v29, v2
	s_or_b32 s4, vcc_lo, s4
	s_and_b32 s3, s3, s4
	s_xor_b32 s4, s3, -1
	s_and_saveexec_b32 s5, s4
	s_xor_b32 s4, exec_lo, s5
; %bb.81:
	v_add_nc_u32_e32 v30, v0, v28
	ds_read_u8 v30, v30 offset:1
; %bb.82:
	s_or_saveexec_b32 s4, s4
	v_mov_b32_e32 v31, v27
	s_xor_b32 exec_lo, exec_lo, s4
	s_cbranch_execz .LBB141_84
; %bb.83:
	s_waitcnt lgkmcnt(0)
	v_add_nc_u32_e32 v30, v0, v29
	ds_read_u8 v31, v30 offset:1
	v_mov_b32_e32 v30, v26
.LBB141_84:
	s_or_b32 exec_lo, exec_lo, s4
	v_add_nc_u32_e32 v32, 1, v28
	v_add_nc_u32_e32 v33, 1, v29
	s_waitcnt lgkmcnt(0)
	v_cmp_lt_u16_sdwa s5, v31, v30 src0_sel:BYTE_0 src1_sel:BYTE_0
                                        ; implicit-def: $vgpr34
	v_cndmask_b32_e64 v32, v32, v28, s3
	v_cndmask_b32_e64 v33, v29, v33, s3
	v_cmp_ge_i32_e32 vcc_lo, v32, v13
	v_cmp_lt_i32_e64 s4, v33, v2
	s_or_b32 s5, vcc_lo, s5
	s_and_b32 s4, s4, s5
	s_xor_b32 s5, s4, -1
	s_and_saveexec_b32 s6, s5
	s_xor_b32 s5, exec_lo, s6
; %bb.85:
	v_add_nc_u32_e32 v34, v0, v32
	ds_read_u8 v34, v34 offset:1
; %bb.86:
	s_or_saveexec_b32 s5, s5
	v_mov_b32_e32 v35, v31
	s_xor_b32 exec_lo, exec_lo, s5
	s_cbranch_execz .LBB141_88
; %bb.87:
	s_waitcnt lgkmcnt(0)
	v_add_nc_u32_e32 v34, v0, v33
	ds_read_u8 v35, v34 offset:1
	v_mov_b32_e32 v34, v30
.LBB141_88:
	s_or_b32 exec_lo, exec_lo, s5
	v_add_nc_u32_e32 v36, 1, v32
	v_add_nc_u32_e32 v37, 1, v33
	s_waitcnt lgkmcnt(0)
	v_cmp_lt_u16_sdwa s6, v35, v34 src0_sel:BYTE_0 src1_sel:BYTE_0
                                        ; implicit-def: $vgpr38
	v_cndmask_b32_e64 v36, v36, v32, s4
	v_cndmask_b32_e64 v37, v33, v37, s4
	v_cmp_ge_i32_e32 vcc_lo, v36, v13
	v_cmp_lt_i32_e64 s5, v37, v2
	s_or_b32 s6, vcc_lo, s6
	s_and_b32 vcc_lo, s5, s6
	s_xor_b32 s5, vcc_lo, -1
	s_and_saveexec_b32 s6, s5
	s_xor_b32 s5, exec_lo, s6
; %bb.89:
	v_add_nc_u32_e32 v38, v0, v36
	ds_read_u8 v38, v38 offset:1
; %bb.90:
	s_or_saveexec_b32 s5, s5
	v_mov_b32_e32 v40, v35
	s_xor_b32 exec_lo, exec_lo, s5
	s_cbranch_execz .LBB141_92
; %bb.91:
	s_waitcnt lgkmcnt(0)
	v_add_nc_u32_e32 v38, v0, v37
	ds_read_u8 v40, v38 offset:1
	v_mov_b32_e32 v38, v34
.LBB141_92:
	s_or_b32 exec_lo, exec_lo, s5
	v_add_nc_u32_e32 v39, 1, v36
	v_add_nc_u32_e32 v41, 1, v37
	s_waitcnt lgkmcnt(0)
	v_cmp_lt_u16_sdwa s7, v40, v38 src0_sel:BYTE_0 src1_sel:BYTE_0
	v_cndmask_b32_e32 v42, v39, v36, vcc_lo
	v_cndmask_b32_e32 v43, v37, v41, vcc_lo
                                        ; implicit-def: $vgpr39
	v_cmp_ge_i32_e64 s5, v42, v13
	v_cmp_lt_i32_e64 s6, v43, v2
	s_or_b32 s5, s5, s7
	s_and_b32 s5, s6, s5
	s_xor_b32 s6, s5, -1
	s_and_saveexec_b32 s7, s6
	s_xor_b32 s6, exec_lo, s7
; %bb.93:
	v_add_nc_u32_e32 v39, v0, v42
	ds_read_u8 v39, v39 offset:1
; %bb.94:
	s_or_saveexec_b32 s6, s6
	v_mov_b32_e32 v41, v40
	s_xor_b32 exec_lo, exec_lo, s6
	s_cbranch_execz .LBB141_96
; %bb.95:
	s_waitcnt lgkmcnt(0)
	v_add_nc_u32_e32 v39, v0, v43
	ds_read_u8 v41, v39 offset:1
	v_mov_b32_e32 v39, v38
.LBB141_96:
	s_or_b32 exec_lo, exec_lo, s6
	v_add_nc_u32_e32 v44, 1, v43
	v_add_nc_u32_e32 v45, 1, v42
	v_cndmask_b32_e64 v38, v38, v40, s5
	v_perm_b32 v9, v9, v10, 0xc0c0004
	v_perm_b32 v10, v11, v12, 0xc0c0004
	v_cndmask_b32_e64 v40, v43, v44, s5
	v_cndmask_b32_e64 v44, v45, v42, s5
	v_perm_b32 v5, v5, v6, 0xc0c0004
	v_perm_b32 v7, v7, v8, 0xc0c0004
	v_cndmask_b32_sdwa v34, v34, v35, vcc_lo dst_sel:BYTE_1 dst_unused:UNUSED_PAD src0_sel:DWORD src1_sel:DWORD
	v_cndmask_b32_e32 v35, v36, v37, vcc_lo
	v_cndmask_b32_e64 v22, v22, v23, s2
	v_cndmask_b32_e64 v23, v24, v25, s2
	v_cmp_ge_i32_e32 vcc_lo, v44, v13
	s_waitcnt lgkmcnt(0)
	v_cmp_lt_u16_sdwa s2, v41, v39 src0_sel:BYTE_0 src1_sel:BYTE_0
	v_cndmask_b32_e64 v18, v18, v19, s1
	v_cndmask_b32_e64 v19, v20, v21, s1
	v_cmp_lt_i32_e64 s1, v40, v2
	v_cndmask_b32_e64 v2, v14, v15, s0
	v_lshl_or_b32 v6, v10, 16, v9
	v_lshl_or_b32 v5, v7, 16, v5
	v_cndmask_b32_e64 v16, v16, v17, s0
	s_or_b32 s0, vcc_lo, s2
	v_cndmask_b32_e64 v26, v26, v27, s3
	v_cndmask_b32_e64 v27, v28, v29, s3
	s_and_b32 vcc_lo, s1, s0
	v_cndmask_b32_e64 v42, v42, v43, s5
	v_cndmask_b32_e64 v30, v30, v31, s4
	;; [unrolled: 1-line block ×3, first 2 shown]
	v_cndmask_b32_e32 v7, v44, v40, vcc_lo
	; wave barrier
	ds_write_b64 v1, v[5:6]
	v_add_nc_u32_e32 v5, v0, v2
	v_add_nc_u32_e32 v6, v0, v19
	;; [unrolled: 1-line block ×7, first 2 shown]
	; wave barrier
	v_add_nc_u32_e32 v15, v0, v7
	ds_read_u8 v5, v5
	ds_read_u8 v6, v6
	;; [unrolled: 1-line block ×8, first 2 shown]
	v_and_b32_e32 v14, 0x80, v4
	v_cndmask_b32_e32 v17, v39, v41, vcc_lo
	v_lshlrev_b16 v18, 8, v18
	v_lshlrev_b16 v19, 8, v26
	v_and_b32_e32 v15, 0x78, v4
	v_or_b32_e32 v13, 64, v14
	v_add_nc_u32_e32 v2, 0x80, v14
	v_lshlrev_b16 v17, 8, v17
	v_or_b32_sdwa v16, v16, v18 dst_sel:DWORD dst_unused:UNUSED_PAD src0_sel:BYTE_0 src1_sel:DWORD
	v_or_b32_sdwa v18, v22, v19 dst_sel:WORD_1 dst_unused:UNUSED_PAD src0_sel:BYTE_0 src1_sel:DWORD
	v_or_b32_sdwa v19, v30, v34 dst_sel:DWORD dst_unused:UNUSED_PAD src0_sel:BYTE_0 src1_sel:DWORD
	v_sub_nc_u32_e32 v20, v2, v13
	v_sub_nc_u32_e32 v22, v13, v14
	v_or_b32_sdwa v23, v38, v17 dst_sel:WORD_1 dst_unused:UNUSED_PAD src0_sel:BYTE_0 src1_sel:DWORD
	v_or_b32_sdwa v18, v16, v18 dst_sel:DWORD dst_unused:UNUSED_PAD src0_sel:WORD_0 src1_sel:DWORD
	s_mov_b32 s1, 0
	v_sub_nc_u32_e32 v21, v15, v20
	v_cmp_ge_i32_e32 vcc_lo, v15, v20
	v_min_i32_e32 v17, v15, v22
	v_or_b32_sdwa v19, v19, v23 dst_sel:DWORD dst_unused:UNUSED_PAD src0_sel:WORD_0 src1_sel:DWORD
	s_mov_b32 s0, exec_lo
	v_cndmask_b32_e32 v16, 0, v21, vcc_lo
	; wave barrier
	ds_write_b64 v1, v[18:19]
	; wave barrier
	v_cmpx_lt_i32_e64 v16, v17
	s_cbranch_execz .LBB141_100
; %bb.97:
	v_add_nc_u32_e32 v18, v0, v14
	v_add3_u32 v19, v0, v13, v15
	.p2align	6
.LBB141_98:                             ; =>This Inner Loop Header: Depth=1
	v_sub_nc_u32_e32 v20, v17, v16
	v_lshrrev_b32_e32 v20, 1, v20
	v_add_nc_u32_e32 v20, v20, v16
	v_add_nc_u32_e32 v21, v18, v20
	v_xad_u32 v22, v20, -1, v19
	v_add_nc_u32_e32 v23, 1, v20
	ds_read_u8 v21, v21
	ds_read_u8 v22, v22
	s_waitcnt lgkmcnt(0)
	v_cmp_lt_u16_e32 vcc_lo, v22, v21
	v_cndmask_b32_e32 v17, v17, v20, vcc_lo
	v_cndmask_b32_e32 v16, v23, v16, vcc_lo
	v_cmp_ge_i32_e32 vcc_lo, v16, v17
	s_or_b32 s1, vcc_lo, s1
	s_andn2_b32 exec_lo, exec_lo, s1
	s_cbranch_execnz .LBB141_98
; %bb.99:
	s_or_b32 exec_lo, exec_lo, s1
.LBB141_100:
	s_or_b32 exec_lo, exec_lo, s0
	v_add_nc_u32_e32 v15, v13, v15
	v_add_nc_u32_e32 v14, v16, v14
                                        ; implicit-def: $vgpr18
	v_sub_nc_u32_e32 v15, v15, v16
	v_add_nc_u32_e32 v19, v0, v14
	v_cmp_le_i32_e32 vcc_lo, v13, v14
	v_add_nc_u32_e32 v20, v0, v15
	v_cmp_gt_i32_e64 s0, v2, v15
	ds_read_u8 v16, v19
	ds_read_u8 v17, v20
	s_waitcnt lgkmcnt(0)
	v_cmp_lt_u16_sdwa s1, v17, v16 src0_sel:BYTE_0 src1_sel:BYTE_0
	s_or_b32 s1, vcc_lo, s1
	s_and_b32 s0, s0, s1
	s_xor_b32 s1, s0, -1
	s_and_saveexec_b32 s2, s1
	s_xor_b32 s1, exec_lo, s2
; %bb.101:
	ds_read_u8 v18, v19 offset:1
                                        ; implicit-def: $vgpr20
; %bb.102:
	s_or_saveexec_b32 s1, s1
	v_mov_b32_e32 v19, v17
	s_xor_b32 exec_lo, exec_lo, s1
	s_cbranch_execz .LBB141_104
; %bb.103:
	ds_read_u8 v19, v20 offset:1
	s_waitcnt lgkmcnt(1)
	v_mov_b32_e32 v18, v16
.LBB141_104:
	s_or_b32 exec_lo, exec_lo, s1
	v_add_nc_u32_e32 v20, 1, v14
	v_add_nc_u32_e32 v21, 1, v15
	s_waitcnt lgkmcnt(0)
	v_cmp_lt_u16_sdwa s2, v19, v18 src0_sel:BYTE_0 src1_sel:BYTE_0
                                        ; implicit-def: $vgpr22
	v_cndmask_b32_e64 v20, v20, v14, s0
	v_cndmask_b32_e64 v21, v15, v21, s0
	v_cmp_ge_i32_e32 vcc_lo, v20, v13
	v_cmp_lt_i32_e64 s1, v21, v2
	s_or_b32 s2, vcc_lo, s2
	s_and_b32 s1, s1, s2
	s_xor_b32 s2, s1, -1
	s_and_saveexec_b32 s3, s2
	s_xor_b32 s2, exec_lo, s3
; %bb.105:
	v_add_nc_u32_e32 v22, v0, v20
	ds_read_u8 v22, v22 offset:1
; %bb.106:
	s_or_saveexec_b32 s2, s2
	v_mov_b32_e32 v24, v19
	s_xor_b32 exec_lo, exec_lo, s2
	s_cbranch_execz .LBB141_108
; %bb.107:
	s_waitcnt lgkmcnt(0)
	v_add_nc_u32_e32 v22, v0, v21
	ds_read_u8 v24, v22 offset:1
	v_mov_b32_e32 v22, v18
.LBB141_108:
	s_or_b32 exec_lo, exec_lo, s2
	v_add_nc_u32_e32 v23, 1, v20
	v_add_nc_u32_e32 v25, 1, v21
	s_waitcnt lgkmcnt(0)
	v_cmp_lt_u16_sdwa s3, v24, v22 src0_sel:BYTE_0 src1_sel:BYTE_0
                                        ; implicit-def: $vgpr28
	v_cndmask_b32_e64 v26, v23, v20, s1
	v_cndmask_b32_e64 v27, v21, v25, s1
	v_cmp_ge_i32_e32 vcc_lo, v26, v13
	v_cmp_lt_i32_e64 s2, v27, v2
	s_or_b32 s3, vcc_lo, s3
	s_and_b32 s2, s2, s3
	s_xor_b32 s3, s2, -1
	s_and_saveexec_b32 s4, s3
	s_xor_b32 s3, exec_lo, s4
; %bb.109:
	v_add_nc_u32_e32 v23, v0, v26
	ds_read_u8 v28, v23 offset:1
; %bb.110:
	s_or_saveexec_b32 s3, s3
	v_mov_b32_e32 v29, v24
	s_xor_b32 exec_lo, exec_lo, s3
	s_cbranch_execz .LBB141_112
; %bb.111:
	v_add_nc_u32_e32 v23, v0, v27
	s_waitcnt lgkmcnt(0)
	v_mov_b32_e32 v28, v22
	ds_read_u8 v29, v23 offset:1
.LBB141_112:
	s_or_b32 exec_lo, exec_lo, s3
	v_add_nc_u32_e32 v23, 1, v26
	v_add_nc_u32_e32 v25, 1, v27
	s_waitcnt lgkmcnt(0)
	v_cmp_lt_u16_sdwa s4, v29, v28 src0_sel:BYTE_0 src1_sel:BYTE_0
	v_cndmask_b32_e64 v30, v23, v26, s2
	v_cndmask_b32_e64 v31, v27, v25, s2
                                        ; implicit-def: $vgpr23
	v_cmp_ge_i32_e32 vcc_lo, v30, v13
	v_cmp_lt_i32_e64 s3, v31, v2
	s_or_b32 s4, vcc_lo, s4
	s_and_b32 s4, s3, s4
	s_xor_b32 s3, s4, -1
	s_and_saveexec_b32 s5, s3
	s_xor_b32 s3, exec_lo, s5
; %bb.113:
	v_add_nc_u32_e32 v23, v0, v30
	ds_read_u8 v23, v23 offset:1
; %bb.114:
	s_or_saveexec_b32 s3, s3
	v_mov_b32_e32 v25, v29
	s_xor_b32 exec_lo, exec_lo, s3
	s_cbranch_execz .LBB141_116
; %bb.115:
	s_waitcnt lgkmcnt(0)
	v_add_nc_u32_e32 v23, v0, v31
	ds_read_u8 v25, v23 offset:1
	v_mov_b32_e32 v23, v28
.LBB141_116:
	s_or_b32 exec_lo, exec_lo, s3
	v_add_nc_u32_e32 v32, 1, v30
	v_add_nc_u32_e32 v33, 1, v31
	s_waitcnt lgkmcnt(0)
	v_cmp_lt_u16_sdwa s5, v25, v23 src0_sel:BYTE_0 src1_sel:BYTE_0
                                        ; implicit-def: $vgpr34
	v_cndmask_b32_e64 v32, v32, v30, s4
	v_cndmask_b32_e64 v33, v31, v33, s4
	v_cmp_ge_i32_e32 vcc_lo, v32, v13
	v_cmp_lt_i32_e64 s3, v33, v2
	s_or_b32 s5, vcc_lo, s5
	s_and_b32 s3, s3, s5
	s_xor_b32 s5, s3, -1
	s_and_saveexec_b32 s6, s5
	s_xor_b32 s5, exec_lo, s6
; %bb.117:
	v_add_nc_u32_e32 v34, v0, v32
	ds_read_u8 v34, v34 offset:1
; %bb.118:
	s_or_saveexec_b32 s5, s5
	v_mov_b32_e32 v35, v25
	s_xor_b32 exec_lo, exec_lo, s5
	s_cbranch_execz .LBB141_120
; %bb.119:
	s_waitcnt lgkmcnt(0)
	v_add_nc_u32_e32 v34, v0, v33
	ds_read_u8 v35, v34 offset:1
	v_mov_b32_e32 v34, v23
.LBB141_120:
	s_or_b32 exec_lo, exec_lo, s5
	v_add_nc_u32_e32 v36, 1, v32
	v_add_nc_u32_e32 v37, 1, v33
	s_waitcnt lgkmcnt(0)
	v_cmp_lt_u16_sdwa s6, v35, v34 src0_sel:BYTE_0 src1_sel:BYTE_0
                                        ; implicit-def: $vgpr38
	v_cndmask_b32_e64 v36, v36, v32, s3
	v_cndmask_b32_e64 v37, v33, v37, s3
	v_cmp_ge_i32_e32 vcc_lo, v36, v13
	v_cmp_lt_i32_e64 s5, v37, v2
	s_or_b32 s6, vcc_lo, s6
	s_and_b32 vcc_lo, s5, s6
	s_xor_b32 s5, vcc_lo, -1
	s_and_saveexec_b32 s6, s5
	s_xor_b32 s5, exec_lo, s6
; %bb.121:
	v_add_nc_u32_e32 v38, v0, v36
	ds_read_u8 v38, v38 offset:1
; %bb.122:
	s_or_saveexec_b32 s5, s5
	v_mov_b32_e32 v40, v35
	s_xor_b32 exec_lo, exec_lo, s5
	s_cbranch_execz .LBB141_124
; %bb.123:
	s_waitcnt lgkmcnt(0)
	v_add_nc_u32_e32 v38, v0, v37
	ds_read_u8 v40, v38 offset:1
	v_mov_b32_e32 v38, v34
.LBB141_124:
	s_or_b32 exec_lo, exec_lo, s5
	v_add_nc_u32_e32 v39, 1, v36
	v_add_nc_u32_e32 v41, 1, v37
	s_waitcnt lgkmcnt(0)
	v_cmp_lt_u16_sdwa s7, v40, v38 src0_sel:BYTE_0 src1_sel:BYTE_0
	v_cndmask_b32_e32 v42, v39, v36, vcc_lo
	v_cndmask_b32_e32 v43, v37, v41, vcc_lo
                                        ; implicit-def: $vgpr39
	v_cmp_ge_i32_e64 s5, v42, v13
	v_cmp_lt_i32_e64 s6, v43, v2
	s_or_b32 s5, s5, s7
	s_and_b32 s5, s6, s5
	s_xor_b32 s6, s5, -1
	s_and_saveexec_b32 s7, s6
	s_xor_b32 s6, exec_lo, s7
; %bb.125:
	v_add_nc_u32_e32 v39, v0, v42
	ds_read_u8 v39, v39 offset:1
; %bb.126:
	s_or_saveexec_b32 s6, s6
	v_mov_b32_e32 v41, v40
	s_xor_b32 exec_lo, exec_lo, s6
	s_cbranch_execz .LBB141_128
; %bb.127:
	s_waitcnt lgkmcnt(0)
	v_add_nc_u32_e32 v39, v0, v43
	ds_read_u8 v41, v39 offset:1
	v_mov_b32_e32 v39, v38
.LBB141_128:
	s_or_b32 exec_lo, exec_lo, s6
	v_add_nc_u32_e32 v44, 1, v43
	v_add_nc_u32_e32 v45, 1, v42
	v_cndmask_b32_e64 v38, v38, v40, s5
	v_cndmask_b32_sdwa v34, v34, v35, vcc_lo dst_sel:BYTE_1 dst_unused:UNUSED_PAD src0_sel:DWORD src1_sel:DWORD
	v_cndmask_b32_e32 v35, v36, v37, vcc_lo
	v_cndmask_b32_e64 v40, v43, v44, s5
	v_cndmask_b32_e64 v44, v45, v42, s5
	;; [unrolled: 1-line block ×4, first 2 shown]
	s_waitcnt lgkmcnt(0)
	v_cmp_lt_u16_sdwa s2, v41, v39 src0_sel:BYTE_0 src1_sel:BYTE_0
	v_perm_b32 v9, v9, v10, 0xc0c0004
	v_cmp_ge_i32_e32 vcc_lo, v44, v13
	v_perm_b32 v10, v11, v12, 0xc0c0004
	v_perm_b32 v5, v5, v6, 0xc0c0004
	;; [unrolled: 1-line block ×3, first 2 shown]
	v_cndmask_b32_e64 v18, v18, v19, s1
	v_cndmask_b32_e64 v19, v20, v21, s1
	v_cmp_lt_i32_e64 s1, v40, v2
	v_cndmask_b32_e64 v2, v14, v15, s0
	v_cndmask_b32_e64 v16, v16, v17, s0
	s_or_b32 s0, vcc_lo, s2
	v_lshl_or_b32 v6, v10, 16, v9
	v_lshl_or_b32 v5, v7, 16, v5
	v_cndmask_b32_e64 v28, v28, v29, s4
	v_cndmask_b32_e64 v29, v30, v31, s4
	s_and_b32 vcc_lo, s1, s0
	v_cndmask_b32_e64 v42, v42, v43, s5
	v_cndmask_b32_e64 v32, v32, v33, s3
	v_cndmask_b32_e32 v7, v44, v40, vcc_lo
	v_add_nc_u32_e32 v2, v0, v2
	; wave barrier
	ds_write_b64 v1, v[5:6]
	v_add_nc_u32_e32 v6, v0, v19
	v_add_nc_u32_e32 v8, v0, v24
	;; [unrolled: 1-line block ×6, first 2 shown]
	; wave barrier
	v_add_nc_u32_e32 v14, v0, v7
	ds_read_u8 v5, v2
	ds_read_u8 v6, v6
	;; [unrolled: 1-line block ×8, first 2 shown]
	v_cndmask_b32_e32 v13, v39, v41, vcc_lo
	v_lshlrev_b16 v14, 8, v18
	v_and_b32_e32 v2, 0xf8, v4
	v_lshlrev_b16 v4, 8, v28
	v_cndmask_b32_e64 v15, v23, v25, s3
	v_lshlrev_b16 v13, 8, v13
	v_or_b32_sdwa v14, v16, v14 dst_sel:DWORD dst_unused:UNUSED_PAD src0_sel:BYTE_0 src1_sel:DWORD
	v_add_nc_u32_e32 v16, 0xffffff80, v2
	v_or_b32_sdwa v17, v22, v4 dst_sel:WORD_1 dst_unused:UNUSED_PAD src0_sel:BYTE_0 src1_sel:DWORD
	v_or_b32_sdwa v15, v15, v34 dst_sel:DWORD dst_unused:UNUSED_PAD src0_sel:BYTE_0 src1_sel:DWORD
	v_or_b32_sdwa v18, v38, v13 dst_sel:WORD_1 dst_unused:UNUSED_PAD src0_sel:BYTE_0 src1_sel:DWORD
	v_cmp_lt_i32_e32 vcc_lo, 0x7f, v2
	v_min_i32_e32 v13, 0x80, v2
	v_or_b32_sdwa v14, v14, v17 dst_sel:DWORD dst_unused:UNUSED_PAD src0_sel:WORD_0 src1_sel:DWORD
	s_mov_b32 s0, exec_lo
	v_or_b32_sdwa v15, v15, v18 dst_sel:DWORD dst_unused:UNUSED_PAD src0_sel:WORD_0 src1_sel:DWORD
	v_cndmask_b32_e32 v4, 0, v16, vcc_lo
	; wave barrier
	ds_write_b64 v1, v[14:15]
	; wave barrier
	v_cmpx_lt_i32_e64 v4, v13
	s_cbranch_execz .LBB141_132
; %bb.129:
	v_add3_u32 v14, 0x80, v0, v2
	s_mov_b32 s1, 0
	.p2align	6
.LBB141_130:                            ; =>This Inner Loop Header: Depth=1
	v_sub_nc_u32_e32 v15, v13, v4
	v_lshrrev_b32_e32 v15, 1, v15
	v_add_nc_u32_e32 v15, v15, v4
	v_add_nc_u32_e32 v16, v0, v15
	v_xad_u32 v17, v15, -1, v14
	v_add_nc_u32_e32 v18, 1, v15
	ds_read_u8 v16, v16
	ds_read_u8 v17, v17
	s_waitcnt lgkmcnt(0)
	v_cmp_lt_u16_e32 vcc_lo, v17, v16
	v_cndmask_b32_e32 v13, v13, v15, vcc_lo
	v_cndmask_b32_e32 v4, v18, v4, vcc_lo
	v_cmp_ge_i32_e32 vcc_lo, v4, v13
	s_or_b32 s1, vcc_lo, s1
	s_andn2_b32 exec_lo, exec_lo, s1
	s_cbranch_execnz .LBB141_130
; %bb.131:
	s_or_b32 exec_lo, exec_lo, s1
.LBB141_132:
	s_or_b32 exec_lo, exec_lo, s0
	v_add_nc_u32_e32 v13, 0x80, v2
	v_add_nc_u32_e32 v17, v0, v4
	v_cmp_le_i32_e32 vcc_lo, 0x80, v4
                                        ; implicit-def: $vgpr16
	v_sub_nc_u32_e32 v13, v13, v4
	v_add_nc_u32_e32 v18, v0, v13
	v_cmp_gt_i32_e64 s0, 0x100, v13
	ds_read_u8 v14, v17
	ds_read_u8 v15, v18
	s_waitcnt lgkmcnt(0)
	v_cmp_lt_u16_sdwa s1, v15, v14 src0_sel:BYTE_0 src1_sel:BYTE_0
	s_or_b32 s1, vcc_lo, s1
	s_and_b32 s0, s0, s1
	s_xor_b32 s1, s0, -1
	s_and_saveexec_b32 s2, s1
	s_xor_b32 s1, exec_lo, s2
; %bb.133:
	ds_read_u8 v16, v17 offset:1
                                        ; implicit-def: $vgpr18
; %bb.134:
	s_or_saveexec_b32 s1, s1
	v_mov_b32_e32 v17, v15
	s_xor_b32 exec_lo, exec_lo, s1
	s_cbranch_execz .LBB141_136
; %bb.135:
	ds_read_u8 v17, v18 offset:1
	s_waitcnt lgkmcnt(1)
	v_mov_b32_e32 v16, v14
.LBB141_136:
	s_or_b32 exec_lo, exec_lo, s1
	v_add_nc_u32_e32 v18, 1, v4
	v_add_nc_u32_e32 v19, 1, v13
	s_waitcnt lgkmcnt(0)
	v_cmp_lt_u16_sdwa s2, v17, v16 src0_sel:BYTE_0 src1_sel:BYTE_0
                                        ; implicit-def: $vgpr20
	v_cndmask_b32_e64 v18, v18, v4, s0
	v_cndmask_b32_e64 v19, v13, v19, s0
	v_cmp_le_i32_e32 vcc_lo, 0x80, v18
	v_cmp_gt_i32_e64 s1, 0x100, v19
	s_or_b32 s2, vcc_lo, s2
	s_and_b32 s1, s1, s2
	s_xor_b32 s2, s1, -1
	s_and_saveexec_b32 s3, s2
	s_xor_b32 s2, exec_lo, s3
; %bb.137:
	v_add_nc_u32_e32 v20, v0, v18
	ds_read_u8 v20, v20 offset:1
; %bb.138:
	s_or_saveexec_b32 s2, s2
	v_mov_b32_e32 v21, v17
	s_xor_b32 exec_lo, exec_lo, s2
	s_cbranch_execz .LBB141_140
; %bb.139:
	s_waitcnt lgkmcnt(0)
	v_add_nc_u32_e32 v20, v0, v19
	ds_read_u8 v21, v20 offset:1
	v_mov_b32_e32 v20, v16
.LBB141_140:
	s_or_b32 exec_lo, exec_lo, s2
	v_add_nc_u32_e32 v22, 1, v18
	v_add_nc_u32_e32 v24, 1, v19
	s_waitcnt lgkmcnt(0)
	v_cmp_lt_u16_sdwa s3, v21, v20 src0_sel:BYTE_0 src1_sel:BYTE_0
                                        ; implicit-def: $vgpr26
	v_cndmask_b32_e64 v23, v22, v18, s1
	v_cndmask_b32_e64 v24, v19, v24, s1
	v_cmp_le_i32_e32 vcc_lo, 0x80, v23
	v_cmp_gt_i32_e64 s2, 0x100, v24
	s_or_b32 s3, vcc_lo, s3
	s_and_b32 s2, s2, s3
	s_xor_b32 s3, s2, -1
	s_and_saveexec_b32 s4, s3
	s_xor_b32 s3, exec_lo, s4
; %bb.141:
	v_add_nc_u32_e32 v22, v0, v23
	ds_read_u8 v26, v22 offset:1
; %bb.142:
	s_or_saveexec_b32 s3, s3
	v_mov_b32_e32 v27, v21
	s_xor_b32 exec_lo, exec_lo, s3
	s_cbranch_execz .LBB141_144
; %bb.143:
	v_add_nc_u32_e32 v22, v0, v24
	s_waitcnt lgkmcnt(0)
	v_mov_b32_e32 v26, v20
	ds_read_u8 v27, v22 offset:1
.LBB141_144:
	s_or_b32 exec_lo, exec_lo, s3
	v_add_nc_u32_e32 v22, 1, v23
	v_add_nc_u32_e32 v25, 1, v24
	s_waitcnt lgkmcnt(0)
	v_cmp_lt_u16_sdwa s4, v27, v26 src0_sel:BYTE_0 src1_sel:BYTE_0
	v_cndmask_b32_e64 v28, v22, v23, s2
	v_cndmask_b32_e64 v29, v24, v25, s2
                                        ; implicit-def: $vgpr22
	v_cmp_le_i32_e32 vcc_lo, 0x80, v28
	v_cmp_gt_i32_e64 s3, 0x100, v29
	s_or_b32 s4, vcc_lo, s4
	s_and_b32 s4, s3, s4
	s_xor_b32 s3, s4, -1
	s_and_saveexec_b32 s5, s3
	s_xor_b32 s3, exec_lo, s5
; %bb.145:
	v_add_nc_u32_e32 v22, v0, v28
	ds_read_u8 v22, v22 offset:1
; %bb.146:
	s_or_saveexec_b32 s3, s3
	v_mov_b32_e32 v25, v27
	s_xor_b32 exec_lo, exec_lo, s3
	s_cbranch_execz .LBB141_148
; %bb.147:
	s_waitcnt lgkmcnt(0)
	v_add_nc_u32_e32 v22, v0, v29
	ds_read_u8 v25, v22 offset:1
	v_mov_b32_e32 v22, v26
.LBB141_148:
	s_or_b32 exec_lo, exec_lo, s3
	v_add_nc_u32_e32 v30, 1, v28
	v_add_nc_u32_e32 v31, 1, v29
	s_waitcnt lgkmcnt(0)
	v_cmp_lt_u16_sdwa s5, v25, v22 src0_sel:BYTE_0 src1_sel:BYTE_0
                                        ; implicit-def: $vgpr32
	v_cndmask_b32_e64 v30, v30, v28, s4
	v_cndmask_b32_e64 v31, v29, v31, s4
	v_cmp_le_i32_e32 vcc_lo, 0x80, v30
	v_cmp_gt_i32_e64 s3, 0x100, v31
	s_or_b32 s5, vcc_lo, s5
	s_and_b32 s3, s3, s5
	s_xor_b32 s5, s3, -1
	s_and_saveexec_b32 s6, s5
	s_xor_b32 s5, exec_lo, s6
; %bb.149:
	v_add_nc_u32_e32 v32, v0, v30
	ds_read_u8 v32, v32 offset:1
; %bb.150:
	s_or_saveexec_b32 s5, s5
	v_mov_b32_e32 v33, v25
	s_xor_b32 exec_lo, exec_lo, s5
	s_cbranch_execz .LBB141_152
; %bb.151:
	s_waitcnt lgkmcnt(0)
	v_add_nc_u32_e32 v32, v0, v31
	ds_read_u8 v33, v32 offset:1
	v_mov_b32_e32 v32, v22
.LBB141_152:
	s_or_b32 exec_lo, exec_lo, s5
	v_add_nc_u32_e32 v34, 1, v30
	v_add_nc_u32_e32 v35, 1, v31
	s_waitcnt lgkmcnt(0)
	v_cmp_lt_u16_sdwa s6, v33, v32 src0_sel:BYTE_0 src1_sel:BYTE_0
                                        ; implicit-def: $vgpr36
	v_cndmask_b32_e64 v34, v34, v30, s3
	v_cndmask_b32_e64 v35, v31, v35, s3
	v_cmp_le_i32_e32 vcc_lo, 0x80, v34
	v_cmp_gt_i32_e64 s5, 0x100, v35
	s_or_b32 s6, vcc_lo, s6
	s_and_b32 vcc_lo, s5, s6
	s_xor_b32 s5, vcc_lo, -1
	s_and_saveexec_b32 s6, s5
	s_xor_b32 s5, exec_lo, s6
; %bb.153:
	v_add_nc_u32_e32 v36, v0, v34
	ds_read_u8 v36, v36 offset:1
; %bb.154:
	s_or_saveexec_b32 s5, s5
	v_mov_b32_e32 v38, v33
	s_xor_b32 exec_lo, exec_lo, s5
	s_cbranch_execz .LBB141_156
; %bb.155:
	s_waitcnt lgkmcnt(0)
	v_add_nc_u32_e32 v36, v0, v35
	ds_read_u8 v38, v36 offset:1
	v_mov_b32_e32 v36, v32
.LBB141_156:
	s_or_b32 exec_lo, exec_lo, s5
	v_add_nc_u32_e32 v37, 1, v34
	v_add_nc_u32_e32 v39, 1, v35
	s_waitcnt lgkmcnt(0)
	v_cmp_lt_u16_sdwa s7, v38, v36 src0_sel:BYTE_0 src1_sel:BYTE_0
	v_cndmask_b32_e32 v40, v37, v34, vcc_lo
	v_cndmask_b32_e32 v41, v35, v39, vcc_lo
                                        ; implicit-def: $vgpr37
	v_cmp_le_i32_e64 s5, 0x80, v40
	v_cmp_gt_i32_e64 s6, 0x100, v41
	s_or_b32 s5, s5, s7
	s_and_b32 s5, s6, s5
	s_xor_b32 s6, s5, -1
	s_and_saveexec_b32 s7, s6
	s_xor_b32 s6, exec_lo, s7
; %bb.157:
	v_add_nc_u32_e32 v37, v0, v40
	ds_read_u8 v37, v37 offset:1
; %bb.158:
	s_or_saveexec_b32 s6, s6
	v_mov_b32_e32 v39, v38
	s_xor_b32 exec_lo, exec_lo, s6
	s_cbranch_execz .LBB141_160
; %bb.159:
	s_waitcnt lgkmcnt(0)
	v_add_nc_u32_e32 v37, v0, v41
	ds_read_u8 v39, v37 offset:1
	v_mov_b32_e32 v37, v36
.LBB141_160:
	s_or_b32 exec_lo, exec_lo, s6
	v_add_nc_u32_e32 v42, 1, v41
	v_add_nc_u32_e32 v43, 1, v40
	v_cndmask_b32_e64 v36, v36, v38, s5
	v_perm_b32 v9, v9, v10, 0xc0c0004
	v_perm_b32 v10, v11, v12, 0xc0c0004
	v_cndmask_b32_e64 v38, v41, v42, s5
	v_cndmask_b32_e64 v42, v43, v40, s5
	v_perm_b32 v6, v5, v6, 0xc0c0004
	v_perm_b32 v7, v7, v8, 0xc0c0004
	v_cndmask_b32_sdwa v32, v32, v33, vcc_lo dst_sel:BYTE_1 dst_unused:UNUSED_PAD src0_sel:DWORD src1_sel:DWORD
	v_cndmask_b32_e32 v33, v34, v35, vcc_lo
	v_cndmask_b32_e64 v20, v20, v21, s2
	v_cndmask_b32_e64 v21, v23, v24, s2
	v_cmp_le_i32_e32 vcc_lo, 0x80, v42
	s_waitcnt lgkmcnt(0)
	v_cmp_lt_u16_sdwa s2, v39, v37 src0_sel:BYTE_0 src1_sel:BYTE_0
	v_cndmask_b32_e64 v16, v16, v17, s1
	v_cndmask_b32_e64 v17, v18, v19, s1
	v_cmp_gt_i32_e64 s1, 0x100, v38
	v_cndmask_b32_e64 v8, v4, v13, s0
	v_lshl_or_b32 v5, v10, 16, v9
	v_lshl_or_b32 v4, v7, 16, v6
	v_cndmask_b32_e64 v14, v14, v15, s0
	s_or_b32 s0, vcc_lo, s2
	v_cndmask_b32_e64 v26, v26, v27, s4
	v_cndmask_b32_e64 v27, v28, v29, s4
	s_and_b32 vcc_lo, s1, s0
	v_cndmask_b32_e64 v40, v40, v41, s5
	v_cndmask_b32_e64 v30, v30, v31, s3
	v_cndmask_b32_e32 v6, v42, v38, vcc_lo
	; wave barrier
	ds_write_b64 v1, v[4:5]
	v_add_nc_u32_e32 v4, v0, v8
	v_add_nc_u32_e32 v5, v0, v17
	;; [unrolled: 1-line block ×7, first 2 shown]
	; wave barrier
	v_add_nc_u32_e32 v13, v0, v6
	ds_read_u8 v4, v4
	ds_read_u8 v5, v5
	;; [unrolled: 1-line block ×8, first 2 shown]
	v_cndmask_b32_e32 v12, v37, v39, vcc_lo
	v_lshlrev_b16 v15, 8, v16
	v_lshlrev_b16 v16, 8, v26
	v_cndmask_b32_e64 v13, v22, v25, s3
	v_cmp_lt_i32_e32 vcc_lo, 0xff, v2
	v_lshlrev_b16 v12, 8, v12
	v_or_b32_sdwa v14, v14, v15 dst_sel:DWORD dst_unused:UNUSED_PAD src0_sel:BYTE_0 src1_sel:DWORD
	v_or_b32_sdwa v15, v20, v16 dst_sel:WORD_1 dst_unused:UNUSED_PAD src0_sel:BYTE_0 src1_sel:DWORD
	v_or_b32_e32 v16, 0xffffff00, v2
	v_or_b32_sdwa v17, v13, v32 dst_sel:DWORD dst_unused:UNUSED_PAD src0_sel:BYTE_0 src1_sel:DWORD
	v_or_b32_sdwa v18, v36, v12 dst_sel:WORD_1 dst_unused:UNUSED_PAD src0_sel:BYTE_0 src1_sel:DWORD
	s_mov_b32 s0, exec_lo
	v_or_b32_sdwa v13, v14, v15 dst_sel:DWORD dst_unused:UNUSED_PAD src0_sel:WORD_0 src1_sel:DWORD
	v_cndmask_b32_e32 v12, 0, v16, vcc_lo
	v_or_b32_sdwa v14, v17, v18 dst_sel:DWORD dst_unused:UNUSED_PAD src0_sel:WORD_0 src1_sel:DWORD
	; wave barrier
	ds_write_b64 v1, v[13:14]
	; wave barrier
	v_cmpx_lt_i32_e64 v12, v2
	s_cbranch_execz .LBB141_164
; %bb.161:
	v_add3_u32 v13, 0x100, v0, v2
	v_mov_b32_e32 v14, v2
	s_mov_b32 s1, 0
	.p2align	6
.LBB141_162:                            ; =>This Inner Loop Header: Depth=1
	v_sub_nc_u32_e32 v15, v14, v12
	v_lshrrev_b32_e32 v15, 1, v15
	v_add_nc_u32_e32 v15, v15, v12
	v_add_nc_u32_e32 v16, v0, v15
	v_xad_u32 v17, v15, -1, v13
	v_add_nc_u32_e32 v18, 1, v15
	ds_read_u8 v16, v16
	ds_read_u8 v17, v17
	s_waitcnt lgkmcnt(0)
	v_cmp_lt_u16_e32 vcc_lo, v17, v16
	v_cndmask_b32_e32 v14, v14, v15, vcc_lo
	v_cndmask_b32_e32 v12, v18, v12, vcc_lo
	v_cmp_ge_i32_e32 vcc_lo, v12, v14
	s_or_b32 s1, vcc_lo, s1
	s_andn2_b32 exec_lo, exec_lo, s1
	s_cbranch_execnz .LBB141_162
; %bb.163:
	s_or_b32 exec_lo, exec_lo, s1
.LBB141_164:
	s_or_b32 exec_lo, exec_lo, s0
	v_add_nc_u32_e32 v2, 0x100, v2
	v_add_nc_u32_e32 v15, v0, v12
	v_cmp_le_i32_e32 vcc_lo, 0x100, v12
                                        ; implicit-def: $vgpr14
	v_sub_nc_u32_e32 v16, v2, v12
	v_add_nc_u32_e32 v17, v0, v16
	v_cmp_gt_i32_e64 s0, 0x200, v16
	ds_read_u8 v2, v15
	ds_read_u8 v13, v17
	s_waitcnt lgkmcnt(0)
	v_cmp_lt_u16_sdwa s1, v13, v2 src0_sel:BYTE_0 src1_sel:BYTE_0
	s_or_b32 s1, vcc_lo, s1
	s_and_b32 vcc_lo, s0, s1
	s_xor_b32 s0, vcc_lo, -1
	s_and_saveexec_b32 s1, s0
	s_xor_b32 s0, exec_lo, s1
; %bb.165:
	ds_read_u8 v14, v15 offset:1
                                        ; implicit-def: $vgpr17
; %bb.166:
	s_or_saveexec_b32 s0, s0
	v_mov_b32_e32 v15, v13
	s_xor_b32 exec_lo, exec_lo, s0
	s_cbranch_execz .LBB141_168
; %bb.167:
	ds_read_u8 v15, v17 offset:1
	s_waitcnt lgkmcnt(1)
	v_mov_b32_e32 v14, v2
.LBB141_168:
	s_or_b32 exec_lo, exec_lo, s0
	v_add_nc_u32_e32 v17, 1, v12
	v_add_nc_u32_e32 v18, 1, v16
	s_waitcnt lgkmcnt(0)
	v_cmp_lt_u16_sdwa s2, v15, v14 src0_sel:BYTE_0 src1_sel:BYTE_0
	v_cndmask_b32_e32 v20, v17, v12, vcc_lo
	v_cndmask_b32_e32 v21, v16, v18, vcc_lo
                                        ; implicit-def: $vgpr17
	v_cmp_le_i32_e64 s0, 0x100, v20
	v_cmp_gt_i32_e64 s1, 0x200, v21
	s_or_b32 s0, s0, s2
	s_and_b32 s0, s1, s0
	s_xor_b32 s1, s0, -1
	s_and_saveexec_b32 s2, s1
	s_xor_b32 s1, exec_lo, s2
; %bb.169:
	v_add_nc_u32_e32 v17, v0, v20
	ds_read_u8 v17, v17 offset:1
; %bb.170:
	s_or_saveexec_b32 s1, s1
	v_mov_b32_e32 v18, v15
	s_xor_b32 exec_lo, exec_lo, s1
	s_cbranch_execz .LBB141_172
; %bb.171:
	s_waitcnt lgkmcnt(0)
	v_add_nc_u32_e32 v17, v0, v21
	ds_read_u8 v18, v17 offset:1
	v_mov_b32_e32 v17, v14
.LBB141_172:
	s_or_b32 exec_lo, exec_lo, s1
	v_add_nc_u32_e32 v19, 1, v20
	v_add_nc_u32_e32 v22, 1, v21
	s_waitcnt lgkmcnt(0)
	v_cmp_lt_u16_sdwa s3, v18, v17 src0_sel:BYTE_0 src1_sel:BYTE_0
	v_cndmask_b32_e64 v24, v19, v20, s0
	v_cndmask_b32_e64 v25, v21, v22, s0
                                        ; implicit-def: $vgpr19
	v_cmp_le_i32_e64 s1, 0x100, v24
	v_cmp_gt_i32_e64 s2, 0x200, v25
	s_or_b32 s1, s1, s3
	s_and_b32 s1, s2, s1
	s_xor_b32 s2, s1, -1
	s_and_saveexec_b32 s3, s2
	s_xor_b32 s2, exec_lo, s3
; %bb.173:
	v_add_nc_u32_e32 v19, v0, v24
	ds_read_u8 v19, v19 offset:1
; %bb.174:
	s_or_saveexec_b32 s2, s2
	v_mov_b32_e32 v22, v18
	s_xor_b32 exec_lo, exec_lo, s2
	s_cbranch_execz .LBB141_176
; %bb.175:
	s_waitcnt lgkmcnt(0)
	v_add_nc_u32_e32 v19, v0, v25
	ds_read_u8 v22, v19 offset:1
	v_mov_b32_e32 v19, v17
.LBB141_176:
	s_or_b32 exec_lo, exec_lo, s2
	v_add_nc_u32_e32 v23, 1, v24
	v_add_nc_u32_e32 v26, 1, v25
	s_waitcnt lgkmcnt(0)
	v_cmp_lt_u16_sdwa s4, v22, v19 src0_sel:BYTE_0 src1_sel:BYTE_0
	v_cndmask_b32_e64 v28, v23, v24, s1
	v_cndmask_b32_e64 v29, v25, v26, s1
                                        ; implicit-def: $vgpr23
	v_cmp_le_i32_e64 s2, 0x100, v28
	v_cmp_gt_i32_e64 s3, 0x200, v29
	s_or_b32 s2, s2, s4
	s_and_b32 s2, s3, s2
	s_xor_b32 s3, s2, -1
	s_and_saveexec_b32 s4, s3
	s_xor_b32 s3, exec_lo, s4
; %bb.177:
	v_add_nc_u32_e32 v23, v0, v28
	ds_read_u8 v23, v23 offset:1
; %bb.178:
	s_or_saveexec_b32 s3, s3
	v_mov_b32_e32 v26, v22
	s_xor_b32 exec_lo, exec_lo, s3
	s_cbranch_execz .LBB141_180
; %bb.179:
	s_waitcnt lgkmcnt(0)
	v_add_nc_u32_e32 v23, v0, v29
	ds_read_u8 v26, v23 offset:1
	v_mov_b32_e32 v23, v19
.LBB141_180:
	s_or_b32 exec_lo, exec_lo, s3
	v_add_nc_u32_e32 v27, 1, v28
	v_add_nc_u32_e32 v30, 1, v29
	s_waitcnt lgkmcnt(0)
	v_cmp_lt_u16_sdwa s5, v26, v23 src0_sel:BYTE_0 src1_sel:BYTE_0
	v_cndmask_b32_e64 v31, v27, v28, s2
	v_cndmask_b32_e64 v32, v29, v30, s2
                                        ; implicit-def: $vgpr27
	v_cmp_le_i32_e64 s3, 0x100, v31
	v_cmp_gt_i32_e64 s4, 0x200, v32
	s_or_b32 s3, s3, s5
	s_and_b32 s3, s4, s3
	s_xor_b32 s4, s3, -1
	s_and_saveexec_b32 s5, s4
	s_xor_b32 s4, exec_lo, s5
; %bb.181:
	v_add_nc_u32_e32 v27, v0, v31
	ds_read_u8 v27, v27 offset:1
; %bb.182:
	s_or_saveexec_b32 s4, s4
	v_mov_b32_e32 v30, v26
	s_xor_b32 exec_lo, exec_lo, s4
	s_cbranch_execz .LBB141_184
; %bb.183:
	s_waitcnt lgkmcnt(0)
	v_add_nc_u32_e32 v27, v0, v32
	ds_read_u8 v30, v27 offset:1
	v_mov_b32_e32 v27, v23
.LBB141_184:
	s_or_b32 exec_lo, exec_lo, s4
	v_add_nc_u32_e32 v33, 1, v31
	v_add_nc_u32_e32 v34, 1, v32
	s_waitcnt lgkmcnt(0)
	v_cmp_lt_u16_sdwa s6, v30, v27 src0_sel:BYTE_0 src1_sel:BYTE_0
                                        ; implicit-def: $vgpr39
	v_cndmask_b32_e64 v33, v33, v31, s3
	v_cndmask_b32_e64 v34, v32, v34, s3
	v_cmp_le_i32_e64 s4, 0x100, v33
	v_cmp_gt_i32_e64 s5, 0x200, v34
	s_or_b32 s4, s4, s6
	s_and_b32 s4, s5, s4
	s_xor_b32 s5, s4, -1
	s_and_saveexec_b32 s6, s5
	s_xor_b32 s5, exec_lo, s6
; %bb.185:
	v_add_nc_u32_e32 v35, v0, v33
	ds_read_u8 v39, v35 offset:1
; %bb.186:
	s_or_saveexec_b32 s5, s5
	v_mov_b32_e32 v36, v30
	s_xor_b32 exec_lo, exec_lo, s5
	s_cbranch_execz .LBB141_188
; %bb.187:
	v_add_nc_u32_e32 v35, v0, v34
	s_waitcnt lgkmcnt(0)
	v_mov_b32_e32 v39, v27
	ds_read_u8 v36, v35 offset:1
.LBB141_188:
	s_or_b32 exec_lo, exec_lo, s5
	v_add_nc_u32_e32 v35, 1, v33
	v_add_nc_u32_e32 v37, 1, v34
	s_waitcnt lgkmcnt(0)
	v_cmp_ge_u16_sdwa s7, v36, v39 src0_sel:BYTE_0 src1_sel:BYTE_0
                                        ; implicit-def: $vgpr41
                                        ; implicit-def: $vgpr40
	v_cndmask_b32_e64 v42, v35, v33, s4
	v_cndmask_b32_e64 v37, v34, v37, s4
	v_cmp_gt_i32_e64 s5, 0x100, v42
	v_cmp_le_i32_e64 s6, 0x200, v37
	s_and_b32 s5, s5, s7
	s_or_b32 s5, s6, s5
	s_and_saveexec_b32 s6, s5
	s_xor_b32 s5, exec_lo, s6
; %bb.189:
	v_add_nc_u32_e32 v35, v0, v42
	v_add_nc_u32_e32 v40, 1, v42
	ds_read_u8 v41, v35 offset:1
; %bb.190:
	s_or_saveexec_b32 s5, s5
	v_mov_b32_e32 v35, v39
	v_mov_b32_e32 v38, v42
	s_xor_b32 exec_lo, exec_lo, s5
	s_cbranch_execz .LBB141_192
; %bb.191:
	v_add_nc_u32_e32 v35, v0, v37
	s_waitcnt lgkmcnt(0)
	v_add_nc_u32_e32 v41, 1, v37
	v_mov_b32_e32 v38, v37
	v_mov_b32_e32 v40, v42
	ds_read_u8 v43, v35 offset:1
	v_mov_b32_e32 v35, v36
	v_mov_b32_e32 v37, v41
	;; [unrolled: 1-line block ×3, first 2 shown]
	s_waitcnt lgkmcnt(0)
	v_mov_b32_e32 v36, v43
.LBB141_192:
	s_or_b32 exec_lo, exec_lo, s5
	v_cmp_le_i32_e64 s5, 0x100, v40
	s_waitcnt lgkmcnt(0)
	v_cmp_lt_u16_sdwa s7, v36, v41 src0_sel:BYTE_0 src1_sel:BYTE_0
	v_perm_b32 v8, v8, v9, 0xc0c0004
	v_perm_b32 v9, v10, v11, 0xc0c0004
	;; [unrolled: 1-line block ×4, first 2 shown]
	v_cmp_gt_i32_e64 s6, 0x200, v37
	v_cndmask_b32_e32 v7, v12, v16, vcc_lo
	s_or_b32 s5, s5, s7
	v_lshl_or_b32 v5, v9, 16, v8
	v_lshl_or_b32 v4, v6, 16, v4
	v_cndmask_b32_e64 v20, v20, v21, s0
	v_cndmask_b32_e64 v24, v24, v25, s1
	s_and_b32 s5, s6, s5
	v_cndmask_b32_e64 v28, v28, v29, s2
	v_cndmask_b32_e64 v33, v33, v34, s4
	;; [unrolled: 1-line block ×4, first 2 shown]
	; wave barrier
	ds_write_b64 v1, v[4:5]
	v_add_nc_u32_e32 v1, v0, v7
	v_add_nc_u32_e32 v4, v0, v20
	;; [unrolled: 1-line block ×8, first 2 shown]
	; wave barrier
	ds_read_u8 v1, v1
	ds_read_u8 v4, v4
	;; [unrolled: 1-line block ×8, first 2 shown]
	v_cndmask_b32_e64 v6, v41, v36, s5
	v_cndmask_b32_e64 v11, v27, v30, s4
	v_cndmask_b32_e32 v2, v2, v13, vcc_lo
	v_cndmask_b32_e64 v12, v14, v15, s0
	v_cndmask_b32_e64 v13, v17, v18, s1
	;; [unrolled: 1-line block ×4, first 2 shown]
	s_add_u32 s0, s38, s40
	s_addc_u32 s1, s39, 0
	s_waitcnt lgkmcnt(7)
	v_add_nc_u16 v1, v1, v2
	s_waitcnt lgkmcnt(6)
	v_add_nc_u16 v2, v4, v12
	;; [unrolled: 2-line block ×8, first 2 shown]
	v_lshlrev_b16 v2, 8, v2
	v_lshlrev_b16 v5, 8, v5
	;; [unrolled: 1-line block ×4, first 2 shown]
	v_or_b32_sdwa v2, v1, v2 dst_sel:DWORD dst_unused:UNUSED_PAD src0_sel:BYTE_0 src1_sel:DWORD
	v_or_b32_sdwa v4, v4, v5 dst_sel:WORD_1 dst_unused:UNUSED_PAD src0_sel:BYTE_0 src1_sel:DWORD
	v_or_b32_sdwa v5, v7, v6 dst_sel:DWORD dst_unused:UNUSED_PAD src0_sel:BYTE_0 src1_sel:DWORD
	v_or_b32_sdwa v6, v9, v0 dst_sel:WORD_1 dst_unused:UNUSED_PAD src0_sel:BYTE_0 src1_sel:DWORD
	v_add_co_u32 v0, s0, s0, v3
	v_add_co_ci_u32_e64 v1, null, s1, 0, s0
	v_or_b32_sdwa v2, v2, v4 dst_sel:DWORD dst_unused:UNUSED_PAD src0_sel:WORD_0 src1_sel:DWORD
	v_or_b32_sdwa v3, v5, v6 dst_sel:DWORD dst_unused:UNUSED_PAD src0_sel:WORD_0 src1_sel:DWORD
	global_store_dwordx2 v[0:1], v[2:3], off
	s_endpgm
	.section	.rodata,"a",@progbits
	.p2align	6, 0x0
	.amdhsa_kernel _Z10sort_pairsILj256ELj64ELj8EhN10test_utils4lessEEvPKT2_PS2_T3_
		.amdhsa_group_segment_fixed_size 2052
		.amdhsa_private_segment_fixed_size 0
		.amdhsa_kernarg_size 20
		.amdhsa_user_sgpr_count 6
		.amdhsa_user_sgpr_private_segment_buffer 1
		.amdhsa_user_sgpr_dispatch_ptr 0
		.amdhsa_user_sgpr_queue_ptr 0
		.amdhsa_user_sgpr_kernarg_segment_ptr 1
		.amdhsa_user_sgpr_dispatch_id 0
		.amdhsa_user_sgpr_flat_scratch_init 0
		.amdhsa_user_sgpr_private_segment_size 0
		.amdhsa_wavefront_size32 1
		.amdhsa_uses_dynamic_stack 0
		.amdhsa_system_sgpr_private_segment_wavefront_offset 0
		.amdhsa_system_sgpr_workgroup_id_x 1
		.amdhsa_system_sgpr_workgroup_id_y 0
		.amdhsa_system_sgpr_workgroup_id_z 0
		.amdhsa_system_sgpr_workgroup_info 0
		.amdhsa_system_vgpr_workitem_id 0
		.amdhsa_next_free_vgpr 46
		.amdhsa_next_free_sgpr 41
		.amdhsa_reserve_vcc 1
		.amdhsa_reserve_flat_scratch 0
		.amdhsa_float_round_mode_32 0
		.amdhsa_float_round_mode_16_64 0
		.amdhsa_float_denorm_mode_32 3
		.amdhsa_float_denorm_mode_16_64 3
		.amdhsa_dx10_clamp 1
		.amdhsa_ieee_mode 1
		.amdhsa_fp16_overflow 0
		.amdhsa_workgroup_processor_mode 1
		.amdhsa_memory_ordered 1
		.amdhsa_forward_progress 1
		.amdhsa_shared_vgpr_count 0
		.amdhsa_exception_fp_ieee_invalid_op 0
		.amdhsa_exception_fp_denorm_src 0
		.amdhsa_exception_fp_ieee_div_zero 0
		.amdhsa_exception_fp_ieee_overflow 0
		.amdhsa_exception_fp_ieee_underflow 0
		.amdhsa_exception_fp_ieee_inexact 0
		.amdhsa_exception_int_div_zero 0
	.end_amdhsa_kernel
	.section	.text._Z10sort_pairsILj256ELj64ELj8EhN10test_utils4lessEEvPKT2_PS2_T3_,"axG",@progbits,_Z10sort_pairsILj256ELj64ELj8EhN10test_utils4lessEEvPKT2_PS2_T3_,comdat
.Lfunc_end141:
	.size	_Z10sort_pairsILj256ELj64ELj8EhN10test_utils4lessEEvPKT2_PS2_T3_, .Lfunc_end141-_Z10sort_pairsILj256ELj64ELj8EhN10test_utils4lessEEvPKT2_PS2_T3_
                                        ; -- End function
	.set _Z10sort_pairsILj256ELj64ELj8EhN10test_utils4lessEEvPKT2_PS2_T3_.num_vgpr, 46
	.set _Z10sort_pairsILj256ELj64ELj8EhN10test_utils4lessEEvPKT2_PS2_T3_.num_agpr, 0
	.set _Z10sort_pairsILj256ELj64ELj8EhN10test_utils4lessEEvPKT2_PS2_T3_.numbered_sgpr, 41
	.set _Z10sort_pairsILj256ELj64ELj8EhN10test_utils4lessEEvPKT2_PS2_T3_.num_named_barrier, 0
	.set _Z10sort_pairsILj256ELj64ELj8EhN10test_utils4lessEEvPKT2_PS2_T3_.private_seg_size, 0
	.set _Z10sort_pairsILj256ELj64ELj8EhN10test_utils4lessEEvPKT2_PS2_T3_.uses_vcc, 1
	.set _Z10sort_pairsILj256ELj64ELj8EhN10test_utils4lessEEvPKT2_PS2_T3_.uses_flat_scratch, 0
	.set _Z10sort_pairsILj256ELj64ELj8EhN10test_utils4lessEEvPKT2_PS2_T3_.has_dyn_sized_stack, 0
	.set _Z10sort_pairsILj256ELj64ELj8EhN10test_utils4lessEEvPKT2_PS2_T3_.has_recursion, 0
	.set _Z10sort_pairsILj256ELj64ELj8EhN10test_utils4lessEEvPKT2_PS2_T3_.has_indirect_call, 0
	.section	.AMDGPU.csdata,"",@progbits
; Kernel info:
; codeLenInByte = 11352
; TotalNumSgprs: 43
; NumVgprs: 46
; ScratchSize: 0
; MemoryBound: 0
; FloatMode: 240
; IeeeMode: 1
; LDSByteSize: 2052 bytes/workgroup (compile time only)
; SGPRBlocks: 0
; VGPRBlocks: 5
; NumSGPRsForWavesPerEU: 43
; NumVGPRsForWavesPerEU: 46
; Occupancy: 16
; WaveLimiterHint : 0
; COMPUTE_PGM_RSRC2:SCRATCH_EN: 0
; COMPUTE_PGM_RSRC2:USER_SGPR: 6
; COMPUTE_PGM_RSRC2:TRAP_HANDLER: 0
; COMPUTE_PGM_RSRC2:TGID_X_EN: 1
; COMPUTE_PGM_RSRC2:TGID_Y_EN: 0
; COMPUTE_PGM_RSRC2:TGID_Z_EN: 0
; COMPUTE_PGM_RSRC2:TIDIG_COMP_CNT: 0
	.section	.text._Z19sort_keys_segmentedILj256ELj64ELj8EhN10test_utils4lessEEvPKT2_PS2_PKjT3_,"axG",@progbits,_Z19sort_keys_segmentedILj256ELj64ELj8EhN10test_utils4lessEEvPKT2_PS2_PKjT3_,comdat
	.protected	_Z19sort_keys_segmentedILj256ELj64ELj8EhN10test_utils4lessEEvPKT2_PS2_PKjT3_ ; -- Begin function _Z19sort_keys_segmentedILj256ELj64ELj8EhN10test_utils4lessEEvPKT2_PS2_PKjT3_
	.globl	_Z19sort_keys_segmentedILj256ELj64ELj8EhN10test_utils4lessEEvPKT2_PS2_PKjT3_
	.p2align	8
	.type	_Z19sort_keys_segmentedILj256ELj64ELj8EhN10test_utils4lessEEvPKT2_PS2_PKjT3_,@function
_Z19sort_keys_segmentedILj256ELj64ELj8EhN10test_utils4lessEEvPKT2_PS2_PKjT3_: ; @_Z19sort_keys_segmentedILj256ELj64ELj8EhN10test_utils4lessEEvPKT2_PS2_PKjT3_
; %bb.0:
	s_clause 0x1
	s_load_dwordx2 s[0:1], s[4:5], 0x10
	s_load_dwordx4 s[16:19], s[4:5], 0x0
	v_lshrrev_b32_e32 v7, 6, v0
	v_mov_b32_e32 v1, 0
	v_mov_b32_e32 v8, 0
	v_mov_b32_e32 v11, 0
	v_mov_b32_e32 v9, 0
	v_lshl_or_b32 v0, s6, 2, v7
	v_mov_b32_e32 v10, 0
	v_mov_b32_e32 v12, 0
	v_lshlrev_b64 v[2:3], 2, v[0:1]
	v_lshlrev_b32_e32 v4, 9, v0
	v_mov_b32_e32 v0, 0
	s_waitcnt lgkmcnt(0)
	v_add_co_u32 v2, vcc_lo, s0, v2
	v_add_co_ci_u32_e64 v3, null, s1, v3, vcc_lo
	global_load_dword v6, v[2:3], off
	v_mbcnt_lo_u32_b32 v2, -1, 0
	v_lshlrev_b32_e32 v5, 3, v2
	v_add_co_u32 v2, s0, s16, v4
	v_add_co_ci_u32_e64 v3, null, s17, 0, s0
	v_add_co_u32 v2, vcc_lo, v2, v5
	v_add_co_ci_u32_e64 v3, null, 0, v3, vcc_lo
	s_waitcnt vmcnt(0)
	v_cmp_lt_u32_e64 s0, v5, v6
	s_and_saveexec_b32 s1, s0
	s_cbranch_execz .LBB142_2
; %bb.1:
	global_load_ubyte v8, v[2:3], off
	v_mov_b32_e32 v11, 0
	v_mov_b32_e32 v0, 0
	;; [unrolled: 1-line block ×5, first 2 shown]
.LBB142_2:
	s_or_b32 exec_lo, exec_lo, s1
	v_or_b32_e32 v13, 1, v5
	v_mov_b32_e32 v14, v1
	v_cmp_lt_u32_e64 s1, v13, v6
	s_and_saveexec_b32 s2, s1
	s_cbranch_execz .LBB142_4
; %bb.3:
	global_load_ubyte v14, v[2:3], off offset:1
.LBB142_4:
	s_or_b32 exec_lo, exec_lo, s2
	v_or_b32_e32 v15, 2, v5
	v_cmp_lt_u32_e64 s2, v15, v6
	s_and_saveexec_b32 s3, s2
	s_cbranch_execz .LBB142_6
; %bb.5:
	global_load_ubyte v1, v[2:3], off offset:2
.LBB142_6:
	s_or_b32 exec_lo, exec_lo, s3
	v_or_b32_e32 v16, 3, v5
	;; [unrolled: 8-line block ×6, first 2 shown]
	v_cmp_lt_u32_e64 s7, v20, v6
	s_and_saveexec_b32 s8, s7
	s_cbranch_execz .LBB142_16
; %bb.15:
	global_load_ubyte v12, v[2:3], off offset:7
.LBB142_16:
	s_or_b32 exec_lo, exec_lo, s8
	s_waitcnt vmcnt(0)
	v_perm_b32 v1, v1, v11, 0xc0c0004
	v_perm_b32 v2, v8, v14, 0xc0c0004
	v_or_b32_e32 v3, 0xffffff00, v8
	v_cmp_lt_i32_e32 vcc_lo, v13, v6
	v_perm_b32 v0, v0, v9, 0xc0c0004
	v_lshlrev_b32_e32 v1, 16, v1
	v_cmp_lt_i32_e64 s8, v16, v6
	s_mov_b32 s9, exec_lo
	v_or_b32_e32 v9, 0xff, v0
	v_or_b32_e32 v8, v2, v1
	v_or_b32_sdwa v1, v3, v1 dst_sel:DWORD dst_unused:UNUSED_PAD src0_sel:WORD_0 src1_sel:DWORD
	v_mov_b32_e32 v3, 0xff
	v_perm_b32 v2, v10, v12, 0xc0c0004
	v_and_b32_e32 v9, 0xffff, v9
	v_cndmask_b32_e32 v1, v1, v8, vcc_lo
	v_cmp_lt_i32_e32 vcc_lo, v15, v6
	v_lshl_or_b32 v0, v2, 16, v0
	v_mov_b32_e32 v2, 0xffffff00
	v_or_b32_sdwa v10, v1, v3 dst_sel:WORD_1 dst_unused:UNUSED_PAD src0_sel:WORD_1 src1_sel:DWORD
	v_and_or_b32 v9, 0xffff0000, v0, v9
	v_and_or_b32 v1, 0xffff, v1, v10
	v_cndmask_b32_e32 v1, v1, v8, vcc_lo
	v_cmp_lt_i32_e32 vcc_lo, v17, v6
	v_or_b32_sdwa v10, v1, v2 dst_sel:WORD_1 dst_unused:UNUSED_PAD src0_sel:WORD_1 src1_sel:DWORD
	v_cndmask_b32_e32 v9, v9, v0, vcc_lo
	v_and_or_b32 v1, 0xffff, v1, v10
	v_or_b32_e32 v11, 0xffffff00, v9
	v_cndmask_b32_e64 v1, v1, v8, s8
	v_and_b32_e32 v10, 0xffff, v11
	v_cmp_lt_i32_e64 s8, v20, v6
	v_cndmask_b32_e32 v1, v1, v8, vcc_lo
	v_and_or_b32 v9, 0xffff0000, v9, v10
	v_cmp_lt_i32_e32 vcc_lo, v18, v6
	v_cndmask_b32_e32 v10, v1, v8, vcc_lo
	v_cndmask_b32_e32 v1, v9, v0, vcc_lo
	v_cmp_lt_i32_e32 vcc_lo, v19, v6
	v_or_b32_sdwa v3, v1, v3 dst_sel:WORD_1 dst_unused:UNUSED_PAD src0_sel:WORD_1 src1_sel:DWORD
	v_and_or_b32 v1, 0xffff, v1, v3
	v_cndmask_b32_e32 v1, v1, v0, vcc_lo
	v_cndmask_b32_e32 v0, v10, v8, vcc_lo
	v_cmpx_ge_i32_e64 v20, v6
; %bb.17:
	v_or_b32_sdwa v2, v1, v2 dst_sel:WORD_1 dst_unused:UNUSED_PAD src0_sel:WORD_1 src1_sel:DWORD
	v_cmp_lt_i32_e32 vcc_lo, v5, v6
	s_andn2_b32 s8, s8, exec_lo
	v_and_or_b32 v1, 0xffff, v1, v2
	s_and_b32 s10, vcc_lo, exec_lo
	s_or_b32 s8, s8, s10
; %bb.18:
	s_or_b32 exec_lo, exec_lo, s9
	s_and_saveexec_b32 s10, s8
	s_cbranch_execz .LBB142_22
; %bb.19:
	v_lshrrev_b32_e32 v2, 8, v0
	v_perm_b32 v3, 0, v0, 0xc0c0001
	v_and_b32_e32 v8, 0xff, v0
	v_lshrrev_b32_e32 v11, 8, v1
	v_and_b32_e32 v14, 0xff, v1
	v_and_b32_e32 v9, 0xff, v2
	v_and_or_b32 v2, 0xffff0000, v0, v3
	v_perm_b32 v10, v1, v1, 0x7060405
	v_and_b32_e32 v11, 0xff, v11
	v_cmp_lt_u16_e32 vcc_lo, v9, v8
	v_cndmask_b32_e32 v0, v0, v2, vcc_lo
	v_lshrrev_b32_e32 v2, 16, v0
	v_lshrrev_b32_e32 v12, 24, v0
	v_perm_b32 v3, 0, v2, 0xc0c0001
	v_and_b32_e32 v13, 0xff, v2
	v_mov_b32_e32 v2, 0xffffff00
	v_lshlrev_b32_e32 v3, 16, v3
	v_cmp_lt_u16_e32 vcc_lo, v12, v13
	v_min_u16 v15, v12, v13
	v_max_u16 v12, v12, v13
	v_and_or_b32 v3, 0xffff, v0, v3
	v_lshlrev_b16 v16, 8, v15
	v_cndmask_b32_e32 v0, v0, v3, vcc_lo
	v_cmp_lt_u16_e32 vcc_lo, v11, v14
	v_mov_b32_e32 v3, 0xff
	v_and_b32_sdwa v17, v0, v2 dst_sel:DWORD dst_unused:UNUSED_PAD src0_sel:WORD_1 src1_sel:DWORD
	v_cndmask_b32_e32 v1, v1, v10, vcc_lo
	v_max_u16 v10, v9, v8
	v_or_b32_sdwa v16, v0, v16 dst_sel:DWORD dst_unused:UNUSED_PAD src0_sel:BYTE_0 src1_sel:DWORD
	v_min_u16 v8, v9, v8
	v_lshrrev_b32_e32 v18, 24, v1
	v_and_b32_sdwa v19, v1, v3 dst_sel:DWORD dst_unused:UNUSED_PAD src0_sel:WORD_1 src1_sel:DWORD
	v_perm_b32 v20, v1, v1, 0x6070504
	v_or_b32_sdwa v17, v10, v17 dst_sel:WORD_1 dst_unused:UNUSED_PAD src0_sel:DWORD src1_sel:DWORD
	v_min_u16 v22, v15, v10
	v_cmp_lt_u16_e32 vcc_lo, v18, v19
	v_or_b32_sdwa v16, v16, v17 dst_sel:DWORD dst_unused:UNUSED_PAD src0_sel:WORD_0 src1_sel:DWORD
	v_min_u16 v17, v11, v14
	v_max_u16 v11, v11, v14
	v_cndmask_b32_e32 v1, v1, v20, vcc_lo
	v_cmp_lt_u16_e32 vcc_lo, v15, v10
	v_lshlrev_b16 v14, 8, v8
	v_lshlrev_b16 v9, 8, v17
	v_min_u16 v20, v18, v19
	v_and_b32_e32 v13, 0xffffff00, v1
	v_cndmask_b32_e32 v0, v0, v16, vcc_lo
	v_cmp_lt_u16_e32 vcc_lo, v17, v12
	v_or_b32_e32 v14, v22, v14
	v_max_u16 v10, v15, v10
	v_or_b32_e32 v13, v12, v13
	v_and_b32_sdwa v16, v0, v3 dst_sel:DWORD dst_unused:UNUSED_PAD src0_sel:WORD_1 src1_sel:DWORD
	v_max_u16 v23, v17, v12
	v_max_u16 v21, v20, v11
	v_cmp_lt_u16_e64 s8, v20, v11
	v_and_b32_e32 v13, 0xffff, v13
	v_or_b32_sdwa v9, v16, v9 dst_sel:WORD_1 dst_unused:UNUSED_PAD src0_sel:DWORD src1_sel:DWORD
	v_lshlrev_b16 v16, 8, v20
	v_lshlrev_b16 v24, 8, v23
	v_and_or_b32 v13, 0xffff0000, v1, v13
	v_and_or_b32 v9, 0xffff, v0, v9
	v_cndmask_b32_e32 v1, v1, v13, vcc_lo
	v_cndmask_b32_e32 v0, v0, v9, vcc_lo
	v_min_u16 v9, v17, v12
	v_and_b32_e32 v13, 0xffff, v14
	v_lshlrev_b16 v12, 8, v10
	v_and_b32_sdwa v17, v1, v2 dst_sel:DWORD dst_unused:UNUSED_PAD src0_sel:WORD_1 src1_sel:DWORD
	v_min_u16 v14, v20, v11
	v_or_b32_sdwa v16, v1, v16 dst_sel:DWORD dst_unused:UNUSED_PAD src0_sel:BYTE_0 src1_sel:DWORD
	v_and_or_b32 v13, 0xffff0000, v0, v13
	v_cmp_lt_u16_e32 vcc_lo, v15, v8
	v_or_b32_sdwa v17, v11, v17 dst_sel:WORD_1 dst_unused:UNUSED_PAD src0_sel:DWORD src1_sel:DWORD
	v_or_b32_sdwa v12, v9, v12 dst_sel:WORD_1 dst_unused:UNUSED_PAD src0_sel:DWORD src1_sel:DWORD
	v_or_b32_e32 v24, v14, v24
	v_cndmask_b32_e32 v0, v0, v13, vcc_lo
	v_or_b32_sdwa v15, v16, v17 dst_sel:DWORD dst_unused:UNUSED_PAD src0_sel:WORD_0 src1_sel:DWORD
	v_max_u16 v13, v18, v19
	v_lshlrev_b16 v16, 8, v21
	v_and_b32_e32 v17, 0xffff, v24
	v_and_or_b32 v12, 0xffff, v0, v12
	v_cndmask_b32_e64 v1, v1, v15, s8
	v_cmp_lt_u16_e64 s8, v9, v10
	v_min_u16 v15, v9, v10
	v_cndmask_b32_e32 v18, v22, v8, vcc_lo
	v_max_u16 v9, v9, v10
	v_cndmask_b32_e32 v8, v8, v22, vcc_lo
	v_cndmask_b32_e64 v0, v0, v12, s8
	v_or_b32_sdwa v12, v13, v16 dst_sel:WORD_1 dst_unused:UNUSED_PAD src0_sel:DWORD src1_sel:DWORD
	v_and_or_b32 v16, 0xffff0000, v1, v17
	v_cmp_lt_u16_e64 s8, v14, v23
	v_lshlrev_b16 v17, 8, v15
	v_and_b32_sdwa v19, v0, v2 dst_sel:DWORD dst_unused:UNUSED_PAD src0_sel:WORD_1 src1_sel:DWORD
	v_cmp_lt_u16_e64 s9, v15, v18
	v_min_u16 v20, v15, v18
	v_cndmask_b32_e64 v1, v1, v16, s8
	v_cmp_gt_u16_e64 s8, v11, v13
	v_or_b32_sdwa v16, v0, v17 dst_sel:DWORD dst_unused:UNUSED_PAD src0_sel:BYTE_0 src1_sel:DWORD
	v_or_b32_sdwa v17, v18, v19 dst_sel:WORD_1 dst_unused:UNUSED_PAD src0_sel:DWORD src1_sel:DWORD
	v_min_u16 v11, v14, v23
	v_and_or_b32 v12, 0xffff, v1, v12
	v_lshlrev_b16 v22, 8, v8
	v_or_b32_sdwa v16, v16, v17 dst_sel:DWORD dst_unused:UNUSED_PAD src0_sel:WORD_0 src1_sel:DWORD
	v_max_u16 v17, v11, v9
	v_cndmask_b32_e64 v1, v1, v12, s8
	v_max_u16 v12, v14, v23
	v_lshlrev_b16 v14, 8, v11
	v_cndmask_b32_e64 v0, v0, v16, s9
	v_min_u16 v19, v11, v9
	v_and_b32_e32 v10, 0xffffff00, v1
	v_cmp_lt_u16_e32 vcc_lo, v11, v9
	v_or_b32_e32 v11, v20, v22
	v_and_b32_sdwa v16, v0, v3 dst_sel:DWORD dst_unused:UNUSED_PAD src0_sel:WORD_1 src1_sel:DWORD
	v_or_b32_e32 v10, v9, v10
	v_and_b32_e32 v11, 0xffff, v11
	v_or_b32_sdwa v14, v16, v14 dst_sel:WORD_1 dst_unused:UNUSED_PAD src0_sel:DWORD src1_sel:DWORD
	v_lshlrev_b16 v16, 8, v17
	v_and_b32_e32 v10, 0xffff, v10
	v_and_or_b32 v14, 0xffff, v0, v14
	v_and_or_b32 v9, 0xffff0000, v1, v10
	v_max_u16 v10, v15, v18
	v_cndmask_b32_e64 v15, v21, v13, s8
	v_cndmask_b32_e32 v0, v0, v14, vcc_lo
	v_cndmask_b32_e32 v1, v1, v9, vcc_lo
	v_lshlrev_b16 v9, 8, v10
	v_lshlrev_b16 v18, 8, v15
	v_min_u16 v23, v15, v12
	v_and_or_b32 v11, 0xffff0000, v0, v11
	v_and_b32_sdwa v22, v1, v2 dst_sel:DWORD dst_unused:UNUSED_PAD src0_sel:WORD_1 src1_sel:DWORD
	v_cmp_lt_u16_e32 vcc_lo, v20, v8
	v_or_b32_sdwa v18, v1, v18 dst_sel:DWORD dst_unused:UNUSED_PAD src0_sel:BYTE_0 src1_sel:DWORD
	v_or_b32_sdwa v9, v19, v9 dst_sel:WORD_1 dst_unused:UNUSED_PAD src0_sel:DWORD src1_sel:DWORD
	v_or_b32_e32 v16, v23, v16
	v_or_b32_sdwa v22, v12, v22 dst_sel:WORD_1 dst_unused:UNUSED_PAD src0_sel:DWORD src1_sel:DWORD
	v_cndmask_b32_e32 v0, v0, v11, vcc_lo
	v_cndmask_b32_e64 v11, v13, v21, s8
	v_cmp_lt_u16_e32 vcc_lo, v15, v12
	v_and_b32_e32 v16, 0xffff, v16
	v_or_b32_sdwa v13, v18, v22 dst_sel:DWORD dst_unused:UNUSED_PAD src0_sel:WORD_0 src1_sel:DWORD
	v_max_u16 v18, v15, v12
	v_and_or_b32 v9, 0xffff, v0, v9
	v_min_u16 v14, v19, v10
	v_cndmask_b32_e32 v1, v1, v13, vcc_lo
	v_cmp_lt_u16_e32 vcc_lo, v19, v10
	v_lshlrev_b16 v12, 8, v18
	v_lshlrev_b16 v15, 8, v14
	v_max_u16 v10, v19, v10
	v_and_or_b32 v13, 0xffff0000, v1, v16
	v_cndmask_b32_e32 v0, v0, v9, vcc_lo
	v_cmp_lt_u16_e32 vcc_lo, v23, v17
	v_or_b32_sdwa v12, v11, v12 dst_sel:WORD_1 dst_unused:UNUSED_PAD src0_sel:DWORD src1_sel:DWORD
	v_max_u16 v9, v20, v8
	v_min_u16 v8, v20, v8
	v_and_b32_sdwa v16, v0, v2 dst_sel:DWORD dst_unused:UNUSED_PAD src0_sel:WORD_1 src1_sel:DWORD
	v_cndmask_b32_e32 v1, v1, v13, vcc_lo
	v_cmp_lt_u16_e32 vcc_lo, v11, v18
	v_or_b32_sdwa v13, v0, v15 dst_sel:DWORD dst_unused:UNUSED_PAD src0_sel:BYTE_0 src1_sel:DWORD
	v_min_u16 v21, v11, v18
	v_or_b32_sdwa v15, v9, v16 dst_sel:WORD_1 dst_unused:UNUSED_PAD src0_sel:DWORD src1_sel:DWORD
	v_and_or_b32 v12, 0xffff, v1, v12
	v_lshlrev_b16 v16, 8, v8
	v_max_u16 v11, v11, v18
	v_or_b32_sdwa v13, v13, v15 dst_sel:DWORD dst_unused:UNUSED_PAD src0_sel:WORD_0 src1_sel:DWORD
	v_cndmask_b32_e32 v1, v1, v12, vcc_lo
	v_cmp_lt_u16_e32 vcc_lo, v14, v9
	v_min_u16 v12, v23, v17
	v_max_u16 v17, v23, v17
	v_and_b32_e32 v15, 0xffffff00, v1
	v_cndmask_b32_e32 v0, v0, v13, vcc_lo
	v_lshlrev_b16 v19, 8, v12
	v_min_u16 v13, v14, v9
	v_cmp_lt_u16_e32 vcc_lo, v12, v10
	v_or_b32_e32 v15, v10, v15
	v_and_b32_sdwa v20, v0, v3 dst_sel:DWORD dst_unused:UNUSED_PAD src0_sel:WORD_1 src1_sel:DWORD
	v_max_u16 v9, v14, v9
	v_or_b32_e32 v16, v13, v16
	v_max_u16 v22, v12, v10
	v_and_b32_e32 v15, 0xffff, v15
	v_or_b32_sdwa v19, v20, v19 dst_sel:WORD_1 dst_unused:UNUSED_PAD src0_sel:DWORD src1_sel:DWORD
	v_min_u16 v10, v12, v10
	v_and_b32_e32 v16, 0xffff, v16
	v_lshlrev_b16 v12, 8, v21
	v_and_or_b32 v15, 0xffff0000, v1, v15
	v_and_or_b32 v19, 0xffff, v0, v19
	v_lshlrev_b16 v20, 8, v9
	v_lshlrev_b16 v24, 8, v22
	v_cmp_lt_u16_e64 s8, v21, v17
	v_cndmask_b32_e32 v1, v1, v15, vcc_lo
	v_cndmask_b32_e32 v0, v0, v19, vcc_lo
	v_min_u16 v19, v21, v17
	v_cmp_lt_u16_e32 vcc_lo, v14, v8
	v_or_b32_sdwa v20, v10, v20 dst_sel:WORD_1 dst_unused:UNUSED_PAD src0_sel:DWORD src1_sel:DWORD
	v_and_b32_sdwa v23, v1, v2 dst_sel:DWORD dst_unused:UNUSED_PAD src0_sel:WORD_1 src1_sel:DWORD
	v_and_or_b32 v16, 0xffff0000, v0, v16
	v_or_b32_sdwa v12, v1, v12 dst_sel:DWORD dst_unused:UNUSED_PAD src0_sel:BYTE_0 src1_sel:DWORD
	v_or_b32_e32 v24, v19, v24
	v_max_u16 v15, v21, v17
	v_or_b32_sdwa v23, v17, v23 dst_sel:WORD_1 dst_unused:UNUSED_PAD src0_sel:DWORD src1_sel:DWORD
	v_cndmask_b32_e32 v0, v0, v16, vcc_lo
	v_cndmask_b32_e32 v8, v13, v8, vcc_lo
	v_and_b32_e32 v16, 0xffff, v24
	v_lshlrev_b16 v14, 8, v15
	v_or_b32_sdwa v12, v12, v23 dst_sel:DWORD dst_unused:UNUSED_PAD src0_sel:WORD_0 src1_sel:DWORD
	v_and_or_b32 v18, 0xffff, v0, v20
	v_cmp_lt_u16_e32 vcc_lo, v19, v22
	v_or_b32_sdwa v14, v11, v14 dst_sel:WORD_1 dst_unused:UNUSED_PAD src0_sel:DWORD src1_sel:DWORD
	v_cndmask_b32_e64 v1, v1, v12, s8
	v_cmp_lt_u16_e64 s8, v10, v9
	v_min_u16 v12, v10, v9
	v_and_or_b32 v16, 0xffff0000, v1, v16
	v_cndmask_b32_e64 v0, v0, v18, s8
	v_lshlrev_b16 v18, 8, v12
	v_cmp_lt_u16_e64 s8, v12, v8
	v_cndmask_b32_e32 v1, v1, v16, vcc_lo
	v_and_b32_sdwa v13, v0, v2 dst_sel:DWORD dst_unused:UNUSED_PAD src0_sel:WORD_1 src1_sel:DWORD
	v_or_b32_sdwa v16, v0, v18 dst_sel:DWORD dst_unused:UNUSED_PAD src0_sel:BYTE_0 src1_sel:DWORD
	v_cmp_gt_u16_e32 vcc_lo, v17, v11
	v_and_or_b32 v14, 0xffff, v1, v14
	v_or_b32_sdwa v13, v8, v13 dst_sel:WORD_1 dst_unused:UNUSED_PAD src0_sel:DWORD src1_sel:DWORD
	v_max_u16 v8, v10, v9
	v_cndmask_b32_e32 v1, v1, v14, vcc_lo
	v_or_b32_sdwa v13, v16, v13 dst_sel:DWORD dst_unused:UNUSED_PAD src0_sel:WORD_0 src1_sel:DWORD
	v_min_u16 v14, v19, v22
	v_and_b32_e32 v9, 0xffffff00, v1
	v_cndmask_b32_e64 v0, v0, v13, s8
	v_lshlrev_b16 v10, 8, v14
	v_cmp_lt_u16_e64 s8, v14, v8
	v_or_b32_e32 v9, v8, v9
	v_and_b32_sdwa v3, v0, v3 dst_sel:DWORD dst_unused:UNUSED_PAD src0_sel:WORD_1 src1_sel:DWORD
	v_cndmask_b32_e32 v8, v15, v11, vcc_lo
	v_and_b32_e32 v9, 0xffff, v9
	v_or_b32_sdwa v10, v3, v10 dst_sel:WORD_1 dst_unused:UNUSED_PAD src0_sel:DWORD src1_sel:DWORD
	v_max_u16 v3, v19, v22
	v_and_or_b32 v9, 0xffff0000, v1, v9
	v_and_or_b32 v10, 0xffff, v0, v10
	v_cndmask_b32_e64 v1, v1, v9, s8
	v_cndmask_b32_e64 v0, v0, v10, s8
	s_mov_b32 s8, exec_lo
	v_cmpx_lt_u16_e64 v8, v3
; %bb.20:
	v_and_b32_sdwa v2, v1, v2 dst_sel:DWORD dst_unused:UNUSED_PAD src0_sel:WORD_1 src1_sel:DWORD
	v_lshlrev_b16 v8, 8, v8
	v_or_b32_sdwa v2, v3, v2 dst_sel:WORD_1 dst_unused:UNUSED_PAD src0_sel:BYTE_0 src1_sel:DWORD
	v_or_b32_sdwa v1, v1, v8 dst_sel:DWORD dst_unused:UNUSED_PAD src0_sel:BYTE_0 src1_sel:DWORD
	v_or_b32_sdwa v1, v1, v2 dst_sel:DWORD dst_unused:UNUSED_PAD src0_sel:WORD_0 src1_sel:DWORD
; %bb.21:
	s_or_b32 exec_lo, exec_lo, s8
.LBB142_22:
	s_or_b32 exec_lo, exec_lo, s10
	v_and_b32_e32 v2, 0xf0, v5
	v_and_b32_e32 v10, 8, v5
	v_mad_u32_u24 v13, 0x201, v7, v5
	s_mov_b32 s9, 0
	s_mov_b32 s8, exec_lo
	v_min_i32_e32 v9, v6, v2
	v_min_i32_e32 v10, v6, v10
	; wave barrier
	ds_write_b64 v13, v[0:1]
	v_add_nc_u32_e32 v2, 8, v9
	; wave barrier
	v_min_i32_e32 v3, v6, v2
	v_add_nc_u32_e32 v2, 8, v3
	v_sub_nc_u32_e32 v12, v3, v9
	v_min_i32_e32 v8, v6, v2
	v_min_i32_e32 v12, v10, v12
	v_sub_nc_u32_e32 v2, v8, v3
	v_sub_nc_u32_e32 v11, v10, v2
	v_cmp_ge_i32_e32 vcc_lo, v10, v2
	v_mul_u32_u24_e32 v2, 0x201, v7
	v_cndmask_b32_e32 v11, 0, v11, vcc_lo
	v_cmpx_lt_i32_e64 v11, v12
	s_cbranch_execz .LBB142_26
; %bb.23:
	v_add_nc_u32_e32 v0, v2, v9
	v_add3_u32 v1, v2, v3, v10
	.p2align	6
.LBB142_24:                             ; =>This Inner Loop Header: Depth=1
	v_sub_nc_u32_e32 v7, v12, v11
	v_lshrrev_b32_e32 v7, 1, v7
	v_add_nc_u32_e32 v7, v7, v11
	v_add_nc_u32_e32 v13, v0, v7
	v_xad_u32 v14, v7, -1, v1
	v_add_nc_u32_e32 v15, 1, v7
	ds_read_u8 v13, v13
	ds_read_u8 v14, v14
	s_waitcnt lgkmcnt(0)
	v_cmp_lt_u16_e32 vcc_lo, v14, v13
	v_cndmask_b32_e32 v12, v12, v7, vcc_lo
	v_cndmask_b32_e32 v11, v15, v11, vcc_lo
	v_cmp_ge_i32_e32 vcc_lo, v11, v12
	s_or_b32 s9, vcc_lo, s9
	s_andn2_b32 exec_lo, exec_lo, s9
	s_cbranch_execnz .LBB142_24
; %bb.25:
	s_or_b32 exec_lo, exec_lo, s9
.LBB142_26:
	s_or_b32 exec_lo, exec_lo, s8
	v_add_nc_u32_e32 v0, v3, v10
	v_add_nc_u32_e32 v10, v11, v9
                                        ; implicit-def: $vgpr7
	v_sub_nc_u32_e32 v11, v0, v11
	v_add_nc_u32_e32 v9, v2, v10
	v_cmp_le_i32_e32 vcc_lo, v3, v10
	v_add_nc_u32_e32 v12, v2, v11
	v_cmp_gt_i32_e64 s8, v8, v11
	ds_read_u8 v0, v9
	ds_read_u8 v1, v12
	s_waitcnt lgkmcnt(0)
	v_cmp_lt_u16_sdwa s9, v1, v0 src0_sel:BYTE_0 src1_sel:BYTE_0
	s_or_b32 s9, vcc_lo, s9
	s_and_b32 s8, s8, s9
	s_xor_b32 s9, s8, -1
	s_and_saveexec_b32 s10, s9
	s_xor_b32 s9, exec_lo, s10
; %bb.27:
	ds_read_u8 v7, v9 offset:1
                                        ; implicit-def: $vgpr12
; %bb.28:
	s_or_saveexec_b32 s9, s9
	v_mov_b32_e32 v9, v1
	s_xor_b32 exec_lo, exec_lo, s9
	s_cbranch_execz .LBB142_30
; %bb.29:
	ds_read_u8 v9, v12 offset:1
	s_waitcnt lgkmcnt(1)
	v_mov_b32_e32 v7, v0
.LBB142_30:
	s_or_b32 exec_lo, exec_lo, s9
	v_add_nc_u32_e32 v12, 1, v10
	v_add_nc_u32_e32 v14, 1, v11
	s_waitcnt lgkmcnt(0)
	v_cmp_lt_u16_sdwa s10, v9, v7 src0_sel:BYTE_0 src1_sel:BYTE_0
	v_cndmask_b32_e64 v13, v12, v10, s8
	v_cndmask_b32_e64 v12, v11, v14, s8
                                        ; implicit-def: $vgpr10
	v_cmp_ge_i32_e32 vcc_lo, v13, v3
	v_cmp_lt_i32_e64 s9, v12, v8
	s_or_b32 s10, vcc_lo, s10
	s_and_b32 s9, s9, s10
	s_xor_b32 s10, s9, -1
	s_and_saveexec_b32 s11, s10
	s_xor_b32 s10, exec_lo, s11
; %bb.31:
	v_add_nc_u32_e32 v10, v2, v13
	ds_read_u8 v10, v10 offset:1
; %bb.32:
	s_or_saveexec_b32 s10, s10
	v_mov_b32_e32 v11, v9
	s_xor_b32 exec_lo, exec_lo, s10
	s_cbranch_execz .LBB142_34
; %bb.33:
	s_waitcnt lgkmcnt(0)
	v_add_nc_u32_e32 v10, v2, v12
	ds_read_u8 v11, v10 offset:1
	v_mov_b32_e32 v10, v7
.LBB142_34:
	s_or_b32 exec_lo, exec_lo, s10
	v_add_nc_u32_e32 v14, 1, v13
	v_add_nc_u32_e32 v16, 1, v12
	s_waitcnt lgkmcnt(0)
	v_cmp_lt_u16_sdwa s11, v11, v10 src0_sel:BYTE_0 src1_sel:BYTE_0
	v_cndmask_b32_e64 v15, v14, v13, s9
	v_cndmask_b32_e64 v14, v12, v16, s9
                                        ; implicit-def: $vgpr12
	v_cmp_ge_i32_e32 vcc_lo, v15, v3
	v_cmp_lt_i32_e64 s10, v14, v8
	s_or_b32 s11, vcc_lo, s11
	s_and_b32 s10, s10, s11
	s_xor_b32 s11, s10, -1
	s_and_saveexec_b32 s12, s11
	s_xor_b32 s11, exec_lo, s12
; %bb.35:
	v_add_nc_u32_e32 v12, v2, v15
	ds_read_u8 v12, v12 offset:1
; %bb.36:
	s_or_saveexec_b32 s11, s11
	v_mov_b32_e32 v13, v11
	s_xor_b32 exec_lo, exec_lo, s11
	s_cbranch_execz .LBB142_38
; %bb.37:
	s_waitcnt lgkmcnt(0)
	v_add_nc_u32_e32 v12, v2, v14
	ds_read_u8 v13, v12 offset:1
	v_mov_b32_e32 v12, v10
.LBB142_38:
	s_or_b32 exec_lo, exec_lo, s11
	v_add_nc_u32_e32 v16, 1, v15
	v_add_nc_u32_e32 v18, 1, v14
	s_waitcnt lgkmcnt(0)
	v_cmp_lt_u16_sdwa s12, v13, v12 src0_sel:BYTE_0 src1_sel:BYTE_0
	v_cndmask_b32_e64 v17, v16, v15, s10
	v_cndmask_b32_e64 v16, v14, v18, s10
                                        ; implicit-def: $vgpr14
	v_cmp_ge_i32_e32 vcc_lo, v17, v3
	v_cmp_lt_i32_e64 s11, v16, v8
	s_or_b32 s12, vcc_lo, s12
	s_and_b32 s11, s11, s12
	s_xor_b32 s12, s11, -1
	s_and_saveexec_b32 s13, s12
	s_xor_b32 s12, exec_lo, s13
; %bb.39:
	v_add_nc_u32_e32 v14, v2, v17
	ds_read_u8 v14, v14 offset:1
; %bb.40:
	s_or_saveexec_b32 s12, s12
	v_mov_b32_e32 v15, v13
	s_xor_b32 exec_lo, exec_lo, s12
	s_cbranch_execz .LBB142_42
; %bb.41:
	s_waitcnt lgkmcnt(0)
	v_add_nc_u32_e32 v14, v2, v16
	ds_read_u8 v15, v14 offset:1
	v_mov_b32_e32 v14, v12
.LBB142_42:
	s_or_b32 exec_lo, exec_lo, s12
	v_add_nc_u32_e32 v18, 1, v17
	v_add_nc_u32_e32 v20, 1, v16
	s_waitcnt lgkmcnt(0)
	v_cmp_lt_u16_sdwa s13, v15, v14 src0_sel:BYTE_0 src1_sel:BYTE_0
	v_cndmask_b32_e64 v19, v18, v17, s11
	v_cndmask_b32_e64 v18, v16, v20, s11
                                        ; implicit-def: $vgpr16
	v_cmp_ge_i32_e32 vcc_lo, v19, v3
	v_cmp_lt_i32_e64 s12, v18, v8
	s_or_b32 s13, vcc_lo, s13
	s_and_b32 s12, s12, s13
	s_xor_b32 s13, s12, -1
	s_and_saveexec_b32 s14, s13
	s_xor_b32 s13, exec_lo, s14
; %bb.43:
	v_add_nc_u32_e32 v16, v2, v19
	ds_read_u8 v16, v16 offset:1
; %bb.44:
	s_or_saveexec_b32 s13, s13
	v_mov_b32_e32 v17, v15
	s_xor_b32 exec_lo, exec_lo, s13
	s_cbranch_execz .LBB142_46
; %bb.45:
	s_waitcnt lgkmcnt(0)
	v_add_nc_u32_e32 v16, v2, v18
	ds_read_u8 v17, v16 offset:1
	v_mov_b32_e32 v16, v14
.LBB142_46:
	s_or_b32 exec_lo, exec_lo, s13
	v_add_nc_u32_e32 v20, 1, v19
	v_add_nc_u32_e32 v21, 1, v18
	s_waitcnt lgkmcnt(0)
	v_cmp_lt_u16_sdwa s14, v17, v16 src0_sel:BYTE_0 src1_sel:BYTE_0
	v_cndmask_b32_e64 v20, v20, v19, s12
	v_cndmask_b32_e64 v21, v18, v21, s12
                                        ; implicit-def: $vgpr18
	v_cmp_ge_i32_e32 vcc_lo, v20, v3
	v_cmp_lt_i32_e64 s13, v21, v8
	s_or_b32 s14, vcc_lo, s14
	s_and_b32 vcc_lo, s13, s14
	s_xor_b32 s13, vcc_lo, -1
	s_and_saveexec_b32 s14, s13
	s_xor_b32 s13, exec_lo, s14
; %bb.47:
	v_add_nc_u32_e32 v18, v2, v20
	ds_read_u8 v18, v18 offset:1
; %bb.48:
	s_or_saveexec_b32 s13, s13
	v_mov_b32_e32 v19, v17
	s_xor_b32 exec_lo, exec_lo, s13
	s_cbranch_execz .LBB142_50
; %bb.49:
	s_waitcnt lgkmcnt(0)
	v_add_nc_u32_e32 v18, v2, v21
	ds_read_u8 v19, v18 offset:1
	v_mov_b32_e32 v18, v16
.LBB142_50:
	s_or_b32 exec_lo, exec_lo, s13
	v_add_nc_u32_e32 v22, 1, v20
	v_add_nc_u32_e32 v23, 1, v21
	s_waitcnt lgkmcnt(0)
	v_cmp_lt_u16_sdwa s15, v19, v18 src0_sel:BYTE_0 src1_sel:BYTE_0
	v_cndmask_b32_e32 v20, v22, v20, vcc_lo
	v_cndmask_b32_e32 v21, v21, v23, vcc_lo
                                        ; implicit-def: $vgpr22
	v_cmp_ge_i32_e64 s13, v20, v3
	v_cmp_lt_i32_e64 s14, v21, v8
	s_or_b32 s13, s13, s15
	s_and_b32 s13, s14, s13
	s_xor_b32 s14, s13, -1
	s_and_saveexec_b32 s15, s14
	s_xor_b32 s14, exec_lo, s15
; %bb.51:
	v_add_nc_u32_e32 v22, v2, v20
	ds_read_u8 v22, v22 offset:1
; %bb.52:
	s_or_saveexec_b32 s14, s14
	v_mov_b32_e32 v23, v19
	s_xor_b32 exec_lo, exec_lo, s14
	s_cbranch_execz .LBB142_54
; %bb.53:
	s_waitcnt lgkmcnt(0)
	v_add_nc_u32_e32 v22, v2, v21
	ds_read_u8 v23, v22 offset:1
	v_mov_b32_e32 v22, v18
.LBB142_54:
	s_or_b32 exec_lo, exec_lo, s14
	v_and_b32_e32 v24, 0xe0, v5
	v_cndmask_b32_e64 v19, v18, v19, s13
	v_add_nc_u32_e32 v26, 1, v20
	v_add_nc_u32_e32 v25, 1, v21
	v_cndmask_b32_e64 v10, v10, v11, s10
	v_min_i32_e32 v18, v6, v24
	v_cndmask_b32_e64 v11, v0, v1, s8
	v_cndmask_b32_e64 v14, v14, v15, s12
	;; [unrolled: 1-line block ×4, first 2 shown]
	v_add_nc_u32_e32 v1, 16, v18
	v_cndmask_b32_e64 v7, v21, v25, s13
	s_waitcnt lgkmcnt(0)
	v_cmp_lt_u16_sdwa s10, v23, v22 src0_sel:BYTE_0 src1_sel:BYTE_0
	v_cmp_ge_i32_e64 s9, v15, v3
	v_cndmask_b32_sdwa v16, v16, v17, vcc_lo dst_sel:BYTE_1 dst_unused:UNUSED_PAD src0_sel:DWORD src1_sel:DWORD
	v_min_i32_e32 v1, v6, v1
	v_cmp_lt_i32_e64 s8, v7, v8
	s_mov_b32 vcc_lo, s11
	s_or_b32 s9, s9, s10
	v_cndmask_b32_sdwa v8, v12, v13, vcc_lo dst_sel:BYTE_1 dst_unused:UNUSED_PAD src0_sel:DWORD src1_sel:DWORD
	v_add_nc_u32_e32 v3, 16, v1
	s_and_b32 vcc_lo, s8, s9
	v_and_b32_e32 v20, 24, v5
	v_cndmask_b32_e32 v12, v22, v23, vcc_lo
	v_lshlrev_b16 v9, 8, v9
	v_min_i32_e32 v7, v6, v3
	v_or_b32_sdwa v8, v10, v8 dst_sel:WORD_1 dst_unused:UNUSED_PAD src0_sel:BYTE_0 src1_sel:DWORD
	v_min_i32_e32 v3, v6, v20
	v_lshlrev_b16 v10, 8, v12
	v_or_b32_sdwa v9, v11, v9 dst_sel:DWORD dst_unused:UNUSED_PAD src0_sel:BYTE_0 src1_sel:DWORD
	v_sub_nc_u32_e32 v13, v7, v1
	v_or_b32_sdwa v11, v14, v16 dst_sel:DWORD dst_unused:UNUSED_PAD src0_sel:BYTE_0 src1_sel:DWORD
	v_sub_nc_u32_e32 v14, v1, v18
	v_or_b32_sdwa v15, v19, v10 dst_sel:WORD_1 dst_unused:UNUSED_PAD src0_sel:BYTE_0 src1_sel:DWORD
	v_add_nc_u32_e32 v0, v2, v5
	v_sub_nc_u32_e32 v12, v3, v13
	v_cmp_ge_i32_e32 vcc_lo, v3, v13
	v_or_b32_sdwa v10, v9, v8 dst_sel:DWORD dst_unused:UNUSED_PAD src0_sel:WORD_0 src1_sel:DWORD
	v_min_i32_e32 v9, v3, v14
	v_or_b32_sdwa v11, v11, v15 dst_sel:DWORD dst_unused:UNUSED_PAD src0_sel:WORD_0 src1_sel:DWORD
	s_mov_b32 s9, 0
	v_cndmask_b32_e32 v8, 0, v12, vcc_lo
	s_mov_b32 s8, exec_lo
	; wave barrier
	ds_write_b64 v0, v[10:11]
	; wave barrier
	v_cmpx_lt_i32_e64 v8, v9
	s_cbranch_execz .LBB142_58
; %bb.55:
	v_add_nc_u32_e32 v10, v2, v18
	v_add3_u32 v11, v2, v1, v3
	.p2align	6
.LBB142_56:                             ; =>This Inner Loop Header: Depth=1
	v_sub_nc_u32_e32 v12, v9, v8
	v_lshrrev_b32_e32 v12, 1, v12
	v_add_nc_u32_e32 v12, v12, v8
	v_add_nc_u32_e32 v13, v10, v12
	v_xad_u32 v14, v12, -1, v11
	v_add_nc_u32_e32 v15, 1, v12
	ds_read_u8 v13, v13
	ds_read_u8 v14, v14
	s_waitcnt lgkmcnt(0)
	v_cmp_lt_u16_e32 vcc_lo, v14, v13
	v_cndmask_b32_e32 v9, v9, v12, vcc_lo
	v_cndmask_b32_e32 v8, v15, v8, vcc_lo
	v_cmp_ge_i32_e32 vcc_lo, v8, v9
	s_or_b32 s9, vcc_lo, s9
	s_andn2_b32 exec_lo, exec_lo, s9
	s_cbranch_execnz .LBB142_56
; %bb.57:
	s_or_b32 exec_lo, exec_lo, s9
.LBB142_58:
	s_or_b32 exec_lo, exec_lo, s8
	v_add_nc_u32_e32 v3, v1, v3
	v_add_nc_u32_e32 v11, v8, v18
                                        ; implicit-def: $vgpr9
	v_sub_nc_u32_e32 v12, v3, v8
	v_add_nc_u32_e32 v10, v2, v11
	v_cmp_le_i32_e32 vcc_lo, v1, v11
	v_add_nc_u32_e32 v13, v2, v12
	v_cmp_gt_i32_e64 s8, v7, v12
	ds_read_u8 v3, v10
	ds_read_u8 v8, v13
	s_waitcnt lgkmcnt(0)
	v_cmp_lt_u16_sdwa s9, v8, v3 src0_sel:BYTE_0 src1_sel:BYTE_0
	s_or_b32 s9, vcc_lo, s9
	s_and_b32 s8, s8, s9
	s_xor_b32 s9, s8, -1
	s_and_saveexec_b32 s10, s9
	s_xor_b32 s9, exec_lo, s10
; %bb.59:
	ds_read_u8 v9, v10 offset:1
                                        ; implicit-def: $vgpr13
; %bb.60:
	s_or_saveexec_b32 s9, s9
	v_mov_b32_e32 v10, v8
	s_xor_b32 exec_lo, exec_lo, s9
	s_cbranch_execz .LBB142_62
; %bb.61:
	ds_read_u8 v10, v13 offset:1
	s_waitcnt lgkmcnt(1)
	v_mov_b32_e32 v9, v3
.LBB142_62:
	s_or_b32 exec_lo, exec_lo, s9
	v_add_nc_u32_e32 v13, 1, v11
	v_add_nc_u32_e32 v15, 1, v12
	s_waitcnt lgkmcnt(0)
	v_cmp_lt_u16_sdwa s10, v10, v9 src0_sel:BYTE_0 src1_sel:BYTE_0
	v_cndmask_b32_e64 v14, v13, v11, s8
	v_cndmask_b32_e64 v13, v12, v15, s8
                                        ; implicit-def: $vgpr11
	v_cmp_ge_i32_e32 vcc_lo, v14, v1
	v_cmp_lt_i32_e64 s9, v13, v7
	s_or_b32 s10, vcc_lo, s10
	s_and_b32 s9, s9, s10
	s_xor_b32 s10, s9, -1
	s_and_saveexec_b32 s11, s10
	s_xor_b32 s10, exec_lo, s11
; %bb.63:
	v_add_nc_u32_e32 v11, v2, v14
	ds_read_u8 v11, v11 offset:1
; %bb.64:
	s_or_saveexec_b32 s10, s10
	v_mov_b32_e32 v12, v10
	s_xor_b32 exec_lo, exec_lo, s10
	s_cbranch_execz .LBB142_66
; %bb.65:
	s_waitcnt lgkmcnt(0)
	v_add_nc_u32_e32 v11, v2, v13
	ds_read_u8 v12, v11 offset:1
	v_mov_b32_e32 v11, v9
.LBB142_66:
	s_or_b32 exec_lo, exec_lo, s10
	v_add_nc_u32_e32 v15, 1, v14
	v_add_nc_u32_e32 v17, 1, v13
	s_waitcnt lgkmcnt(0)
	v_cmp_lt_u16_sdwa s11, v12, v11 src0_sel:BYTE_0 src1_sel:BYTE_0
	v_cndmask_b32_e64 v16, v15, v14, s9
	v_cndmask_b32_e64 v15, v13, v17, s9
                                        ; implicit-def: $vgpr13
	v_cmp_ge_i32_e32 vcc_lo, v16, v1
	v_cmp_lt_i32_e64 s10, v15, v7
	s_or_b32 s11, vcc_lo, s11
	s_and_b32 s10, s10, s11
	s_xor_b32 s11, s10, -1
	s_and_saveexec_b32 s12, s11
	s_xor_b32 s11, exec_lo, s12
; %bb.67:
	v_add_nc_u32_e32 v13, v2, v16
	ds_read_u8 v13, v13 offset:1
; %bb.68:
	s_or_saveexec_b32 s11, s11
	v_mov_b32_e32 v14, v12
	s_xor_b32 exec_lo, exec_lo, s11
	s_cbranch_execz .LBB142_70
; %bb.69:
	s_waitcnt lgkmcnt(0)
	v_add_nc_u32_e32 v13, v2, v15
	ds_read_u8 v14, v13 offset:1
	v_mov_b32_e32 v13, v11
.LBB142_70:
	s_or_b32 exec_lo, exec_lo, s11
	v_add_nc_u32_e32 v17, 1, v16
	v_add_nc_u32_e32 v19, 1, v15
	s_waitcnt lgkmcnt(0)
	v_cmp_lt_u16_sdwa s12, v14, v13 src0_sel:BYTE_0 src1_sel:BYTE_0
	v_cndmask_b32_e64 v18, v17, v16, s10
	v_cndmask_b32_e64 v17, v15, v19, s10
                                        ; implicit-def: $vgpr15
	v_cmp_ge_i32_e32 vcc_lo, v18, v1
	v_cmp_lt_i32_e64 s11, v17, v7
	s_or_b32 s12, vcc_lo, s12
	s_and_b32 s11, s11, s12
	s_xor_b32 s12, s11, -1
	s_and_saveexec_b32 s13, s12
	s_xor_b32 s12, exec_lo, s13
; %bb.71:
	v_add_nc_u32_e32 v15, v2, v18
	ds_read_u8 v15, v15 offset:1
; %bb.72:
	s_or_saveexec_b32 s12, s12
	v_mov_b32_e32 v16, v14
	s_xor_b32 exec_lo, exec_lo, s12
	s_cbranch_execz .LBB142_74
; %bb.73:
	s_waitcnt lgkmcnt(0)
	v_add_nc_u32_e32 v15, v2, v17
	ds_read_u8 v16, v15 offset:1
	v_mov_b32_e32 v15, v13
.LBB142_74:
	s_or_b32 exec_lo, exec_lo, s12
	v_add_nc_u32_e32 v19, 1, v18
	v_add_nc_u32_e32 v21, 1, v17
	s_waitcnt lgkmcnt(0)
	v_cmp_lt_u16_sdwa s13, v16, v15 src0_sel:BYTE_0 src1_sel:BYTE_0
	v_cndmask_b32_e64 v20, v19, v18, s11
	v_cndmask_b32_e64 v19, v17, v21, s11
                                        ; implicit-def: $vgpr17
	v_cmp_ge_i32_e32 vcc_lo, v20, v1
	v_cmp_lt_i32_e64 s12, v19, v7
	s_or_b32 s13, vcc_lo, s13
	s_and_b32 s12, s12, s13
	s_xor_b32 s13, s12, -1
	s_and_saveexec_b32 s14, s13
	s_xor_b32 s13, exec_lo, s14
; %bb.75:
	v_add_nc_u32_e32 v17, v2, v20
	ds_read_u8 v17, v17 offset:1
; %bb.76:
	s_or_saveexec_b32 s13, s13
	v_mov_b32_e32 v18, v16
	s_xor_b32 exec_lo, exec_lo, s13
	s_cbranch_execz .LBB142_78
; %bb.77:
	s_waitcnt lgkmcnt(0)
	v_add_nc_u32_e32 v17, v2, v19
	ds_read_u8 v18, v17 offset:1
	v_mov_b32_e32 v17, v15
.LBB142_78:
	s_or_b32 exec_lo, exec_lo, s13
	v_add_nc_u32_e32 v21, 1, v20
	v_add_nc_u32_e32 v22, 1, v19
	s_waitcnt lgkmcnt(0)
	v_cmp_lt_u16_sdwa s14, v18, v17 src0_sel:BYTE_0 src1_sel:BYTE_0
	v_cndmask_b32_e64 v21, v21, v20, s12
	v_cndmask_b32_e64 v22, v19, v22, s12
                                        ; implicit-def: $vgpr19
	v_cmp_ge_i32_e32 vcc_lo, v21, v1
	v_cmp_lt_i32_e64 s13, v22, v7
	s_or_b32 s14, vcc_lo, s14
	s_and_b32 vcc_lo, s13, s14
	s_xor_b32 s13, vcc_lo, -1
	s_and_saveexec_b32 s14, s13
	s_xor_b32 s13, exec_lo, s14
; %bb.79:
	v_add_nc_u32_e32 v19, v2, v21
	ds_read_u8 v19, v19 offset:1
; %bb.80:
	s_or_saveexec_b32 s13, s13
	v_mov_b32_e32 v20, v18
	s_xor_b32 exec_lo, exec_lo, s13
	s_cbranch_execz .LBB142_82
; %bb.81:
	s_waitcnt lgkmcnt(0)
	v_add_nc_u32_e32 v19, v2, v22
	ds_read_u8 v20, v19 offset:1
	v_mov_b32_e32 v19, v17
.LBB142_82:
	s_or_b32 exec_lo, exec_lo, s13
	v_add_nc_u32_e32 v23, 1, v21
	v_add_nc_u32_e32 v24, 1, v22
	s_waitcnt lgkmcnt(0)
	v_cmp_lt_u16_sdwa s15, v20, v19 src0_sel:BYTE_0 src1_sel:BYTE_0
	v_cndmask_b32_e32 v21, v23, v21, vcc_lo
	v_cndmask_b32_e32 v22, v22, v24, vcc_lo
                                        ; implicit-def: $vgpr23
	v_cmp_ge_i32_e64 s13, v21, v1
	v_cmp_lt_i32_e64 s14, v22, v7
	s_or_b32 s13, s13, s15
	s_and_b32 s13, s14, s13
	s_xor_b32 s14, s13, -1
	s_and_saveexec_b32 s15, s14
	s_xor_b32 s14, exec_lo, s15
; %bb.83:
	v_add_nc_u32_e32 v23, v2, v21
	ds_read_u8 v23, v23 offset:1
; %bb.84:
	s_or_saveexec_b32 s14, s14
	v_mov_b32_e32 v24, v20
	s_xor_b32 exec_lo, exec_lo, s14
	s_cbranch_execz .LBB142_86
; %bb.85:
	s_waitcnt lgkmcnt(0)
	v_add_nc_u32_e32 v23, v2, v22
	ds_read_u8 v24, v23 offset:1
	v_mov_b32_e32 v23, v19
.LBB142_86:
	s_or_b32 exec_lo, exec_lo, s14
	v_and_b32_e32 v25, 0xc0, v5
	v_cndmask_b32_e64 v20, v19, v20, s13
	v_add_nc_u32_e32 v26, 1, v22
	v_cndmask_b32_e64 v9, v9, v10, s9
	v_cndmask_b32_e64 v15, v15, v16, s12
	v_min_i32_e32 v19, v6, v25
	v_add_nc_u32_e32 v25, 1, v21
	v_cndmask_b32_e64 v11, v11, v12, s10
	v_cndmask_b32_e64 v12, v22, v26, s13
	;; [unrolled: 1-line block ×3, first 2 shown]
	v_add_nc_u32_e32 v10, 32, v19
	v_cndmask_b32_e64 v16, v25, v21, s13
	s_waitcnt lgkmcnt(0)
	v_cmp_lt_u16_sdwa s10, v24, v23 src0_sel:BYTE_0 src1_sel:BYTE_0
	v_cmp_lt_i32_e64 s8, v12, v7
	v_cndmask_b32_sdwa v17, v17, v18, vcc_lo dst_sel:BYTE_1 dst_unused:UNUSED_PAD src0_sel:DWORD src1_sel:DWORD
	v_min_i32_e32 v3, v6, v10
	v_cmp_ge_i32_e64 s9, v16, v1
	s_mov_b32 vcc_lo, s11
	v_and_b32_e32 v10, 56, v5
	v_cndmask_b32_sdwa v12, v13, v14, vcc_lo dst_sel:BYTE_1 dst_unused:UNUSED_PAD src0_sel:DWORD src1_sel:DWORD
	v_add_nc_u32_e32 v1, 32, v3
	s_or_b32 s9, s9, s10
	v_lshlrev_b16 v9, 8, v9
	s_and_b32 vcc_lo, s8, s9
	v_min_i32_e32 v7, v6, v10
	v_min_i32_e32 v1, v6, v1
	v_cndmask_b32_e32 v13, v23, v24, vcc_lo
	v_or_b32_sdwa v10, v11, v12 dst_sel:WORD_1 dst_unused:UNUSED_PAD src0_sel:BYTE_0 src1_sel:DWORD
	v_or_b32_sdwa v8, v8, v9 dst_sel:DWORD dst_unused:UNUSED_PAD src0_sel:BYTE_0 src1_sel:DWORD
	v_or_b32_sdwa v12, v15, v17 dst_sel:DWORD dst_unused:UNUSED_PAD src0_sel:BYTE_0 src1_sel:DWORD
	v_sub_nc_u32_e32 v14, v1, v3
	v_lshlrev_b16 v11, 8, v13
	v_sub_nc_u32_e32 v13, v3, v19
	v_or_b32_sdwa v10, v8, v10 dst_sel:DWORD dst_unused:UNUSED_PAD src0_sel:WORD_0 src1_sel:DWORD
	s_mov_b32 s9, 0
	v_sub_nc_u32_e32 v9, v7, v14
	v_or_b32_sdwa v11, v20, v11 dst_sel:WORD_1 dst_unused:UNUSED_PAD src0_sel:BYTE_0 src1_sel:DWORD
	v_cmp_ge_i32_e32 vcc_lo, v7, v14
	s_mov_b32 s8, exec_lo
	; wave barrier
	v_or_b32_sdwa v11, v12, v11 dst_sel:DWORD dst_unused:UNUSED_PAD src0_sel:WORD_0 src1_sel:DWORD
	v_cndmask_b32_e32 v8, 0, v9, vcc_lo
	v_min_i32_e32 v9, v7, v13
	ds_write_b64 v0, v[10:11]
	; wave barrier
	v_cmpx_lt_i32_e64 v8, v9
	s_cbranch_execz .LBB142_90
; %bb.87:
	v_add_nc_u32_e32 v10, v2, v19
	v_add3_u32 v11, v2, v3, v7
	.p2align	6
.LBB142_88:                             ; =>This Inner Loop Header: Depth=1
	v_sub_nc_u32_e32 v12, v9, v8
	v_lshrrev_b32_e32 v12, 1, v12
	v_add_nc_u32_e32 v12, v12, v8
	v_add_nc_u32_e32 v13, v10, v12
	v_xad_u32 v14, v12, -1, v11
	v_add_nc_u32_e32 v15, 1, v12
	ds_read_u8 v13, v13
	ds_read_u8 v14, v14
	s_waitcnt lgkmcnt(0)
	v_cmp_lt_u16_e32 vcc_lo, v14, v13
	v_cndmask_b32_e32 v9, v9, v12, vcc_lo
	v_cndmask_b32_e32 v8, v15, v8, vcc_lo
	v_cmp_ge_i32_e32 vcc_lo, v8, v9
	s_or_b32 s9, vcc_lo, s9
	s_andn2_b32 exec_lo, exec_lo, s9
	s_cbranch_execnz .LBB142_88
; %bb.89:
	s_or_b32 exec_lo, exec_lo, s9
.LBB142_90:
	s_or_b32 exec_lo, exec_lo, s8
	v_add_nc_u32_e32 v7, v3, v7
	v_add_nc_u32_e32 v11, v8, v19
                                        ; implicit-def: $vgpr9
	v_sub_nc_u32_e32 v12, v7, v8
	v_add_nc_u32_e32 v10, v2, v11
	v_cmp_le_i32_e32 vcc_lo, v3, v11
	v_add_nc_u32_e32 v13, v2, v12
	v_cmp_gt_i32_e64 s8, v1, v12
	ds_read_u8 v7, v10
	ds_read_u8 v8, v13
	s_waitcnt lgkmcnt(0)
	v_cmp_lt_u16_sdwa s9, v8, v7 src0_sel:BYTE_0 src1_sel:BYTE_0
	s_or_b32 s9, vcc_lo, s9
	s_and_b32 s8, s8, s9
	s_xor_b32 s9, s8, -1
	s_and_saveexec_b32 s10, s9
	s_xor_b32 s9, exec_lo, s10
; %bb.91:
	ds_read_u8 v9, v10 offset:1
                                        ; implicit-def: $vgpr13
; %bb.92:
	s_or_saveexec_b32 s9, s9
	v_mov_b32_e32 v10, v8
	s_xor_b32 exec_lo, exec_lo, s9
	s_cbranch_execz .LBB142_94
; %bb.93:
	ds_read_u8 v10, v13 offset:1
	s_waitcnt lgkmcnt(1)
	v_mov_b32_e32 v9, v7
.LBB142_94:
	s_or_b32 exec_lo, exec_lo, s9
	v_add_nc_u32_e32 v13, 1, v11
	v_add_nc_u32_e32 v15, 1, v12
	s_waitcnt lgkmcnt(0)
	v_cmp_lt_u16_sdwa s10, v10, v9 src0_sel:BYTE_0 src1_sel:BYTE_0
	v_cndmask_b32_e64 v14, v13, v11, s8
	v_cndmask_b32_e64 v13, v12, v15, s8
                                        ; implicit-def: $vgpr11
	v_cmp_ge_i32_e32 vcc_lo, v14, v3
	v_cmp_lt_i32_e64 s9, v13, v1
	s_or_b32 s10, vcc_lo, s10
	s_and_b32 s9, s9, s10
	s_xor_b32 s10, s9, -1
	s_and_saveexec_b32 s11, s10
	s_xor_b32 s10, exec_lo, s11
; %bb.95:
	v_add_nc_u32_e32 v11, v2, v14
	ds_read_u8 v11, v11 offset:1
; %bb.96:
	s_or_saveexec_b32 s10, s10
	v_mov_b32_e32 v12, v10
	s_xor_b32 exec_lo, exec_lo, s10
	s_cbranch_execz .LBB142_98
; %bb.97:
	s_waitcnt lgkmcnt(0)
	v_add_nc_u32_e32 v11, v2, v13
	ds_read_u8 v12, v11 offset:1
	v_mov_b32_e32 v11, v9
.LBB142_98:
	s_or_b32 exec_lo, exec_lo, s10
	v_add_nc_u32_e32 v15, 1, v14
	v_add_nc_u32_e32 v17, 1, v13
	s_waitcnt lgkmcnt(0)
	v_cmp_lt_u16_sdwa s11, v12, v11 src0_sel:BYTE_0 src1_sel:BYTE_0
	v_cndmask_b32_e64 v16, v15, v14, s9
	v_cndmask_b32_e64 v15, v13, v17, s9
                                        ; implicit-def: $vgpr13
	v_cmp_ge_i32_e32 vcc_lo, v16, v3
	v_cmp_lt_i32_e64 s10, v15, v1
	s_or_b32 s11, vcc_lo, s11
	s_and_b32 s10, s10, s11
	s_xor_b32 s11, s10, -1
	s_and_saveexec_b32 s12, s11
	s_xor_b32 s11, exec_lo, s12
; %bb.99:
	v_add_nc_u32_e32 v13, v2, v16
	ds_read_u8 v13, v13 offset:1
; %bb.100:
	s_or_saveexec_b32 s11, s11
	v_mov_b32_e32 v14, v12
	s_xor_b32 exec_lo, exec_lo, s11
	s_cbranch_execz .LBB142_102
; %bb.101:
	s_waitcnt lgkmcnt(0)
	v_add_nc_u32_e32 v13, v2, v15
	ds_read_u8 v14, v13 offset:1
	v_mov_b32_e32 v13, v11
.LBB142_102:
	s_or_b32 exec_lo, exec_lo, s11
	v_add_nc_u32_e32 v17, 1, v16
	v_add_nc_u32_e32 v19, 1, v15
	s_waitcnt lgkmcnt(0)
	v_cmp_lt_u16_sdwa s12, v14, v13 src0_sel:BYTE_0 src1_sel:BYTE_0
	v_cndmask_b32_e64 v18, v17, v16, s10
	v_cndmask_b32_e64 v17, v15, v19, s10
                                        ; implicit-def: $vgpr15
	v_cmp_ge_i32_e32 vcc_lo, v18, v3
	v_cmp_lt_i32_e64 s11, v17, v1
	s_or_b32 s12, vcc_lo, s12
	s_and_b32 s11, s11, s12
	s_xor_b32 s12, s11, -1
	s_and_saveexec_b32 s13, s12
	s_xor_b32 s12, exec_lo, s13
; %bb.103:
	v_add_nc_u32_e32 v15, v2, v18
	ds_read_u8 v15, v15 offset:1
; %bb.104:
	s_or_saveexec_b32 s12, s12
	v_mov_b32_e32 v16, v14
	s_xor_b32 exec_lo, exec_lo, s12
	s_cbranch_execz .LBB142_106
; %bb.105:
	s_waitcnt lgkmcnt(0)
	v_add_nc_u32_e32 v15, v2, v17
	ds_read_u8 v16, v15 offset:1
	v_mov_b32_e32 v15, v13
.LBB142_106:
	s_or_b32 exec_lo, exec_lo, s12
	v_add_nc_u32_e32 v19, 1, v18
	v_add_nc_u32_e32 v21, 1, v17
	s_waitcnt lgkmcnt(0)
	v_cmp_lt_u16_sdwa s13, v16, v15 src0_sel:BYTE_0 src1_sel:BYTE_0
	v_cndmask_b32_e64 v20, v19, v18, s11
	v_cndmask_b32_e64 v19, v17, v21, s11
                                        ; implicit-def: $vgpr17
	v_cmp_ge_i32_e32 vcc_lo, v20, v3
	v_cmp_lt_i32_e64 s12, v19, v1
	s_or_b32 s13, vcc_lo, s13
	s_and_b32 s12, s12, s13
	s_xor_b32 s13, s12, -1
	s_and_saveexec_b32 s14, s13
	s_xor_b32 s13, exec_lo, s14
; %bb.107:
	v_add_nc_u32_e32 v17, v2, v20
	ds_read_u8 v17, v17 offset:1
; %bb.108:
	s_or_saveexec_b32 s13, s13
	v_mov_b32_e32 v18, v16
	s_xor_b32 exec_lo, exec_lo, s13
	s_cbranch_execz .LBB142_110
; %bb.109:
	s_waitcnt lgkmcnt(0)
	v_add_nc_u32_e32 v17, v2, v19
	ds_read_u8 v18, v17 offset:1
	v_mov_b32_e32 v17, v15
.LBB142_110:
	s_or_b32 exec_lo, exec_lo, s13
	v_add_nc_u32_e32 v21, 1, v20
	v_add_nc_u32_e32 v22, 1, v19
	s_waitcnt lgkmcnt(0)
	v_cmp_lt_u16_sdwa s14, v18, v17 src0_sel:BYTE_0 src1_sel:BYTE_0
	v_cndmask_b32_e64 v21, v21, v20, s12
	v_cndmask_b32_e64 v22, v19, v22, s12
                                        ; implicit-def: $vgpr19
	v_cmp_ge_i32_e32 vcc_lo, v21, v3
	v_cmp_lt_i32_e64 s13, v22, v1
	s_or_b32 s14, vcc_lo, s14
	s_and_b32 vcc_lo, s13, s14
	s_xor_b32 s13, vcc_lo, -1
	s_and_saveexec_b32 s14, s13
	s_xor_b32 s13, exec_lo, s14
; %bb.111:
	v_add_nc_u32_e32 v19, v2, v21
	ds_read_u8 v19, v19 offset:1
; %bb.112:
	s_or_saveexec_b32 s13, s13
	v_mov_b32_e32 v20, v18
	s_xor_b32 exec_lo, exec_lo, s13
	s_cbranch_execz .LBB142_114
; %bb.113:
	s_waitcnt lgkmcnt(0)
	v_add_nc_u32_e32 v19, v2, v22
	ds_read_u8 v20, v19 offset:1
	v_mov_b32_e32 v19, v17
.LBB142_114:
	s_or_b32 exec_lo, exec_lo, s13
	v_add_nc_u32_e32 v23, 1, v21
	v_add_nc_u32_e32 v24, 1, v22
	s_waitcnt lgkmcnt(0)
	v_cmp_lt_u16_sdwa s15, v20, v19 src0_sel:BYTE_0 src1_sel:BYTE_0
	v_cndmask_b32_e32 v21, v23, v21, vcc_lo
	v_cndmask_b32_e32 v22, v22, v24, vcc_lo
                                        ; implicit-def: $vgpr23
	v_cmp_ge_i32_e64 s13, v21, v3
	v_cmp_lt_i32_e64 s14, v22, v1
	s_or_b32 s13, s13, s15
	s_and_b32 s13, s14, s13
	s_xor_b32 s14, s13, -1
	s_and_saveexec_b32 s15, s14
	s_xor_b32 s14, exec_lo, s15
; %bb.115:
	v_add_nc_u32_e32 v23, v2, v21
	ds_read_u8 v23, v23 offset:1
; %bb.116:
	s_or_saveexec_b32 s14, s14
	v_mov_b32_e32 v24, v20
	s_xor_b32 exec_lo, exec_lo, s14
	s_cbranch_execz .LBB142_118
; %bb.117:
	s_waitcnt lgkmcnt(0)
	v_add_nc_u32_e32 v23, v2, v22
	ds_read_u8 v24, v23 offset:1
	v_mov_b32_e32 v23, v19
.LBB142_118:
	s_or_b32 exec_lo, exec_lo, s14
	v_and_b32_e32 v25, 0x80, v5
	v_cndmask_b32_e64 v20, v19, v20, s13
	v_add_nc_u32_e32 v26, 1, v22
	v_cndmask_b32_e64 v9, v9, v10, s9
	v_cndmask_b32_e64 v15, v15, v16, s12
	v_min_i32_e32 v19, v6, v25
	v_add_nc_u32_e32 v25, 1, v21
	v_cndmask_b32_e64 v11, v11, v12, s10
	v_cndmask_b32_e64 v12, v22, v26, s13
	;; [unrolled: 1-line block ×3, first 2 shown]
	v_add_nc_u32_e32 v10, 64, v19
	v_cndmask_b32_e64 v16, v25, v21, s13
	s_waitcnt lgkmcnt(0)
	v_cmp_lt_u16_sdwa s10, v24, v23 src0_sel:BYTE_0 src1_sel:BYTE_0
	v_cmp_lt_i32_e64 s8, v12, v1
	v_cndmask_b32_sdwa v17, v17, v18, vcc_lo dst_sel:BYTE_1 dst_unused:UNUSED_PAD src0_sel:DWORD src1_sel:DWORD
	v_min_i32_e32 v7, v6, v10
	v_cmp_ge_i32_e64 s9, v16, v3
	s_mov_b32 vcc_lo, s11
	v_and_b32_e32 v10, 0x78, v5
	v_cndmask_b32_sdwa v12, v13, v14, vcc_lo dst_sel:BYTE_1 dst_unused:UNUSED_PAD src0_sel:DWORD src1_sel:DWORD
	v_add_nc_u32_e32 v1, 64, v7
	s_or_b32 s9, s9, s10
	v_lshlrev_b16 v9, 8, v9
	s_and_b32 vcc_lo, s8, s9
	s_mov_b32 s9, 0
	v_min_i32_e32 v3, v6, v1
	v_cndmask_b32_e32 v13, v23, v24, vcc_lo
	v_min_i32_e32 v1, v6, v10
	v_or_b32_sdwa v10, v11, v12 dst_sel:WORD_1 dst_unused:UNUSED_PAD src0_sel:BYTE_0 src1_sel:DWORD
	v_or_b32_sdwa v8, v8, v9 dst_sel:DWORD dst_unused:UNUSED_PAD src0_sel:BYTE_0 src1_sel:DWORD
	v_sub_nc_u32_e32 v14, v3, v7
	v_lshlrev_b16 v11, 8, v13
	v_or_b32_sdwa v12, v15, v17 dst_sel:DWORD dst_unused:UNUSED_PAD src0_sel:BYTE_0 src1_sel:DWORD
	v_sub_nc_u32_e32 v13, v7, v19
	v_or_b32_sdwa v10, v8, v10 dst_sel:DWORD dst_unused:UNUSED_PAD src0_sel:WORD_0 src1_sel:DWORD
	v_sub_nc_u32_e32 v9, v1, v14
	v_or_b32_sdwa v11, v20, v11 dst_sel:WORD_1 dst_unused:UNUSED_PAD src0_sel:BYTE_0 src1_sel:DWORD
	v_cmp_ge_i32_e32 vcc_lo, v1, v14
	s_mov_b32 s8, exec_lo
	; wave barrier
	v_or_b32_sdwa v11, v12, v11 dst_sel:DWORD dst_unused:UNUSED_PAD src0_sel:WORD_0 src1_sel:DWORD
	v_cndmask_b32_e32 v8, 0, v9, vcc_lo
	v_min_i32_e32 v9, v1, v13
	ds_write_b64 v0, v[10:11]
	; wave barrier
	v_cmpx_lt_i32_e64 v8, v9
	s_cbranch_execz .LBB142_122
; %bb.119:
	v_add_nc_u32_e32 v10, v2, v19
	v_add3_u32 v11, v2, v7, v1
	.p2align	6
.LBB142_120:                            ; =>This Inner Loop Header: Depth=1
	v_sub_nc_u32_e32 v12, v9, v8
	v_lshrrev_b32_e32 v12, 1, v12
	v_add_nc_u32_e32 v12, v12, v8
	v_add_nc_u32_e32 v13, v10, v12
	v_xad_u32 v14, v12, -1, v11
	v_add_nc_u32_e32 v15, 1, v12
	ds_read_u8 v13, v13
	ds_read_u8 v14, v14
	s_waitcnt lgkmcnt(0)
	v_cmp_lt_u16_e32 vcc_lo, v14, v13
	v_cndmask_b32_e32 v9, v9, v12, vcc_lo
	v_cndmask_b32_e32 v8, v15, v8, vcc_lo
	v_cmp_ge_i32_e32 vcc_lo, v8, v9
	s_or_b32 s9, vcc_lo, s9
	s_andn2_b32 exec_lo, exec_lo, s9
	s_cbranch_execnz .LBB142_120
; %bb.121:
	s_or_b32 exec_lo, exec_lo, s9
.LBB142_122:
	s_or_b32 exec_lo, exec_lo, s8
	v_add_nc_u32_e32 v9, v7, v1
	v_add_nc_u32_e32 v1, v8, v19
                                        ; implicit-def: $vgpr11
	v_sub_nc_u32_e32 v8, v9, v8
	v_add_nc_u32_e32 v12, v2, v1
	v_cmp_le_i32_e32 vcc_lo, v7, v1
	v_add_nc_u32_e32 v13, v2, v8
	v_cmp_gt_i32_e64 s8, v3, v8
	ds_read_u8 v9, v12
	ds_read_u8 v10, v13
	s_waitcnt lgkmcnt(0)
	v_cmp_lt_u16_sdwa s9, v10, v9 src0_sel:BYTE_0 src1_sel:BYTE_0
	s_or_b32 s9, vcc_lo, s9
	s_and_b32 s8, s8, s9
	s_xor_b32 s9, s8, -1
	s_and_saveexec_b32 s10, s9
	s_xor_b32 s9, exec_lo, s10
; %bb.123:
	ds_read_u8 v11, v12 offset:1
                                        ; implicit-def: $vgpr13
; %bb.124:
	s_or_saveexec_b32 s9, s9
	v_mov_b32_e32 v12, v10
	s_xor_b32 exec_lo, exec_lo, s9
	s_cbranch_execz .LBB142_126
; %bb.125:
	ds_read_u8 v12, v13 offset:1
	s_waitcnt lgkmcnt(1)
	v_mov_b32_e32 v11, v9
.LBB142_126:
	s_or_b32 exec_lo, exec_lo, s9
	v_add_nc_u32_e32 v13, 1, v1
	v_add_nc_u32_e32 v14, 1, v8
	s_waitcnt lgkmcnt(0)
	v_cmp_lt_u16_sdwa s10, v12, v11 src0_sel:BYTE_0 src1_sel:BYTE_0
	v_cndmask_b32_e64 v15, v13, v1, s8
	v_cndmask_b32_e64 v1, v8, v14, s8
                                        ; implicit-def: $vgpr13
	v_cmp_ge_i32_e32 vcc_lo, v15, v7
	v_cmp_lt_i32_e64 s9, v1, v3
	s_or_b32 s10, vcc_lo, s10
	s_and_b32 s9, s9, s10
	s_xor_b32 s10, s9, -1
	s_and_saveexec_b32 s11, s10
	s_xor_b32 s10, exec_lo, s11
; %bb.127:
	v_add_nc_u32_e32 v8, v2, v15
	ds_read_u8 v13, v8 offset:1
; %bb.128:
	s_or_saveexec_b32 s10, s10
	v_mov_b32_e32 v14, v12
	s_xor_b32 exec_lo, exec_lo, s10
	s_cbranch_execz .LBB142_130
; %bb.129:
	v_add_nc_u32_e32 v8, v2, v1
	s_waitcnt lgkmcnt(0)
	v_mov_b32_e32 v13, v11
	ds_read_u8 v14, v8 offset:1
.LBB142_130:
	s_or_b32 exec_lo, exec_lo, s10
	v_add_nc_u32_e32 v8, 1, v15
	v_add_nc_u32_e32 v17, 1, v1
	s_waitcnt lgkmcnt(0)
	v_cmp_lt_u16_sdwa s11, v14, v13 src0_sel:BYTE_0 src1_sel:BYTE_0
	v_cndmask_b32_e64 v16, v8, v15, s9
	v_cndmask_b32_e64 v1, v1, v17, s9
                                        ; implicit-def: $vgpr8
	v_cmp_ge_i32_e32 vcc_lo, v16, v7
	v_cmp_lt_i32_e64 s10, v1, v3
	s_or_b32 s11, vcc_lo, s11
	s_and_b32 s10, s10, s11
	s_xor_b32 s11, s10, -1
	s_and_saveexec_b32 s12, s11
	s_xor_b32 s11, exec_lo, s12
; %bb.131:
	v_add_nc_u32_e32 v8, v2, v16
	ds_read_u8 v8, v8 offset:1
; %bb.132:
	s_or_saveexec_b32 s11, s11
	v_mov_b32_e32 v15, v14
	s_xor_b32 exec_lo, exec_lo, s11
	s_cbranch_execz .LBB142_134
; %bb.133:
	s_waitcnt lgkmcnt(0)
	v_add_nc_u32_e32 v8, v2, v1
	ds_read_u8 v15, v8 offset:1
	v_mov_b32_e32 v8, v13
.LBB142_134:
	s_or_b32 exec_lo, exec_lo, s11
	v_add_nc_u32_e32 v17, 1, v16
	v_add_nc_u32_e32 v19, 1, v1
	s_waitcnt lgkmcnt(0)
	v_cmp_lt_u16_sdwa s12, v15, v8 src0_sel:BYTE_0 src1_sel:BYTE_0
	v_cndmask_b32_e64 v18, v17, v16, s10
	v_cndmask_b32_e64 v1, v1, v19, s10
                                        ; implicit-def: $vgpr16
	v_cmp_ge_i32_e32 vcc_lo, v18, v7
	v_cmp_lt_i32_e64 s11, v1, v3
	s_or_b32 s12, vcc_lo, s12
	s_and_b32 s11, s11, s12
	s_xor_b32 s12, s11, -1
	s_and_saveexec_b32 s13, s12
	s_xor_b32 s12, exec_lo, s13
; %bb.135:
	v_add_nc_u32_e32 v16, v2, v18
	ds_read_u8 v16, v16 offset:1
; %bb.136:
	s_or_saveexec_b32 s12, s12
	v_mov_b32_e32 v17, v15
	s_xor_b32 exec_lo, exec_lo, s12
	s_cbranch_execz .LBB142_138
; %bb.137:
	s_waitcnt lgkmcnt(0)
	v_add_nc_u32_e32 v16, v2, v1
	ds_read_u8 v17, v16 offset:1
	v_mov_b32_e32 v16, v8
.LBB142_138:
	s_or_b32 exec_lo, exec_lo, s12
	v_add_nc_u32_e32 v19, 1, v18
	v_add_nc_u32_e32 v21, 1, v1
	s_waitcnt lgkmcnt(0)
	v_cmp_lt_u16_sdwa s13, v17, v16 src0_sel:BYTE_0 src1_sel:BYTE_0
	v_cndmask_b32_e64 v20, v19, v18, s11
	v_cndmask_b32_e64 v1, v1, v21, s11
                                        ; implicit-def: $vgpr18
	v_cmp_ge_i32_e32 vcc_lo, v20, v7
	v_cmp_lt_i32_e64 s12, v1, v3
	s_or_b32 s13, vcc_lo, s13
	s_and_b32 s12, s12, s13
	s_xor_b32 s13, s12, -1
	s_and_saveexec_b32 s14, s13
	s_xor_b32 s13, exec_lo, s14
; %bb.139:
	v_add_nc_u32_e32 v18, v2, v20
	ds_read_u8 v18, v18 offset:1
; %bb.140:
	s_or_saveexec_b32 s13, s13
	v_mov_b32_e32 v19, v17
	s_xor_b32 exec_lo, exec_lo, s13
	s_cbranch_execz .LBB142_142
; %bb.141:
	s_waitcnt lgkmcnt(0)
	v_add_nc_u32_e32 v18, v2, v1
	ds_read_u8 v19, v18 offset:1
	v_mov_b32_e32 v18, v16
.LBB142_142:
	s_or_b32 exec_lo, exec_lo, s13
	v_add_nc_u32_e32 v21, 1, v20
	v_add_nc_u32_e32 v23, 1, v1
	s_waitcnt lgkmcnt(0)
	v_cmp_lt_u16_sdwa s14, v19, v18 src0_sel:BYTE_0 src1_sel:BYTE_0
	v_cndmask_b32_e64 v22, v21, v20, s12
	v_cndmask_b32_e64 v1, v1, v23, s12
                                        ; implicit-def: $vgpr20
	v_cmp_ge_i32_e32 vcc_lo, v22, v7
	v_cmp_lt_i32_e64 s13, v1, v3
	s_or_b32 s14, vcc_lo, s14
	s_and_b32 vcc_lo, s13, s14
	s_xor_b32 s13, vcc_lo, -1
	s_and_saveexec_b32 s14, s13
	s_xor_b32 s13, exec_lo, s14
; %bb.143:
	v_add_nc_u32_e32 v20, v2, v22
	ds_read_u8 v20, v20 offset:1
; %bb.144:
	s_or_saveexec_b32 s13, s13
	v_mov_b32_e32 v21, v19
	s_xor_b32 exec_lo, exec_lo, s13
	s_cbranch_execz .LBB142_146
; %bb.145:
	s_waitcnt lgkmcnt(0)
	v_add_nc_u32_e32 v20, v2, v1
	ds_read_u8 v21, v20 offset:1
	v_mov_b32_e32 v20, v18
.LBB142_146:
	s_or_b32 exec_lo, exec_lo, s13
	v_add_nc_u32_e32 v23, 1, v22
	v_add_nc_u32_e32 v24, 1, v1
	s_waitcnt lgkmcnt(0)
	v_cmp_lt_u16_sdwa s15, v21, v20 src0_sel:BYTE_0 src1_sel:BYTE_0
	v_cndmask_b32_e32 v23, v23, v22, vcc_lo
	v_cndmask_b32_e32 v24, v1, v24, vcc_lo
                                        ; implicit-def: $vgpr22
	v_cmp_ge_i32_e64 s13, v23, v7
	v_cmp_lt_i32_e64 s14, v24, v3
	s_or_b32 s13, s13, s15
	s_and_b32 s13, s14, s13
	s_xor_b32 s14, s13, -1
	s_and_saveexec_b32 s15, s14
	s_xor_b32 s14, exec_lo, s15
; %bb.147:
	v_add_nc_u32_e32 v1, v2, v23
	ds_read_u8 v22, v1 offset:1
; %bb.148:
	s_or_saveexec_b32 s14, s14
	v_mov_b32_e32 v25, v21
	s_xor_b32 exec_lo, exec_lo, s14
	s_cbranch_execz .LBB142_150
; %bb.149:
	v_add_nc_u32_e32 v1, v2, v24
	s_waitcnt lgkmcnt(0)
	v_mov_b32_e32 v22, v20
	ds_read_u8 v25, v1 offset:1
.LBB142_150:
	s_or_b32 exec_lo, exec_lo, s14
	v_min_i32_e32 v1, 0, v6
	v_add_nc_u32_e32 v27, 1, v23
	v_add_nc_u32_e32 v26, 1, v24
	v_cndmask_b32_sdwa v18, v18, v19, vcc_lo dst_sel:BYTE_1 dst_unused:UNUSED_PAD src0_sel:DWORD src1_sel:DWORD
	v_cndmask_b32_e64 v20, v20, v21, s13
	v_add_nc_u32_e32 v19, 0x80, v1
	v_cndmask_b32_e64 v23, v27, v23, s13
	v_cndmask_b32_e64 v21, v24, v26, s13
	s_mov_b32 vcc_lo, s11
	s_waitcnt lgkmcnt(0)
	v_cmp_lt_u16_sdwa s11, v25, v22 src0_sel:BYTE_0 src1_sel:BYTE_0
	v_cndmask_b32_sdwa v15, v8, v15, vcc_lo dst_sel:BYTE_1 dst_unused:UNUSED_PAD src0_sel:DWORD src1_sel:DWORD
	v_min_i32_e32 v8, v6, v19
	v_cmp_ge_i32_e32 vcc_lo, v23, v7
	v_cndmask_b32_e64 v10, v9, v10, s8
	v_cmp_lt_i32_e64 s8, v21, v3
	v_cndmask_b32_e64 v7, v11, v12, s9
	v_add_nc_u32_e32 v9, 0x80, v8
	s_or_b32 s9, vcc_lo, s11
	v_and_b32_e32 v3, 0xf8, v5
	s_and_b32 vcc_lo, s8, s9
	v_lshlrev_b16 v7, 8, v7
	v_min_i32_e32 v9, v6, v9
	v_cndmask_b32_e32 v11, v22, v25, vcc_lo
	v_cndmask_b32_e64 v16, v16, v17, s12
	v_cndmask_b32_e64 v12, v13, v14, s10
	v_min_i32_e32 v3, v6, v3
	v_sub_nc_u32_e32 v13, v9, v8
	v_or_b32_sdwa v7, v10, v7 dst_sel:DWORD dst_unused:UNUSED_PAD src0_sel:BYTE_0 src1_sel:DWORD
	v_lshlrev_b16 v10, 8, v11
	v_or_b32_sdwa v11, v12, v15 dst_sel:WORD_1 dst_unused:UNUSED_PAD src0_sel:BYTE_0 src1_sel:DWORD
	v_or_b32_sdwa v12, v16, v18 dst_sel:DWORD dst_unused:UNUSED_PAD src0_sel:BYTE_0 src1_sel:DWORD
	v_sub_nc_u32_e32 v14, v3, v13
	v_sub_nc_u32_e32 v15, v8, v1
	v_or_b32_sdwa v16, v20, v10 dst_sel:WORD_1 dst_unused:UNUSED_PAD src0_sel:BYTE_0 src1_sel:DWORD
	v_cmp_ge_i32_e32 vcc_lo, v3, v13
	v_or_b32_sdwa v11, v7, v11 dst_sel:DWORD dst_unused:UNUSED_PAD src0_sel:WORD_0 src1_sel:DWORD
	s_mov_b32 s9, 0
	v_min_i32_e32 v10, v3, v15
	v_or_b32_sdwa v12, v12, v16 dst_sel:DWORD dst_unused:UNUSED_PAD src0_sel:WORD_0 src1_sel:DWORD
	v_cndmask_b32_e32 v7, 0, v14, vcc_lo
	s_mov_b32 s8, exec_lo
	; wave barrier
	ds_write_b64 v0, v[11:12]
	; wave barrier
	v_cmpx_lt_i32_e64 v7, v10
	s_cbranch_execz .LBB142_154
; %bb.151:
	v_add_nc_u32_e32 v11, v2, v1
	v_add3_u32 v12, v2, v8, v3
	.p2align	6
.LBB142_152:                            ; =>This Inner Loop Header: Depth=1
	v_sub_nc_u32_e32 v13, v10, v7
	v_lshrrev_b32_e32 v13, 1, v13
	v_add_nc_u32_e32 v13, v13, v7
	v_add_nc_u32_e32 v14, v11, v13
	v_xad_u32 v15, v13, -1, v12
	v_add_nc_u32_e32 v16, 1, v13
	ds_read_u8 v14, v14
	ds_read_u8 v15, v15
	s_waitcnt lgkmcnt(0)
	v_cmp_lt_u16_e32 vcc_lo, v15, v14
	v_cndmask_b32_e32 v10, v10, v13, vcc_lo
	v_cndmask_b32_e32 v7, v16, v7, vcc_lo
	v_cmp_ge_i32_e32 vcc_lo, v7, v10
	s_or_b32 s9, vcc_lo, s9
	s_andn2_b32 exec_lo, exec_lo, s9
	s_cbranch_execnz .LBB142_152
; %bb.153:
	s_or_b32 exec_lo, exec_lo, s9
.LBB142_154:
	s_or_b32 exec_lo, exec_lo, s8
	v_add_nc_u32_e32 v10, v8, v3
	v_add_nc_u32_e32 v14, v7, v1
                                        ; implicit-def: $vgpr12
	v_sub_nc_u32_e32 v7, v10, v7
	v_add_nc_u32_e32 v13, v2, v14
	v_cmp_le_i32_e32 vcc_lo, v8, v14
	v_add_nc_u32_e32 v15, v2, v7
	v_cmp_gt_i32_e64 s8, v9, v7
	ds_read_u8 v10, v13
	ds_read_u8 v11, v15
	s_waitcnt lgkmcnt(0)
	v_cmp_lt_u16_sdwa s9, v11, v10 src0_sel:BYTE_0 src1_sel:BYTE_0
	s_or_b32 s9, vcc_lo, s9
	s_and_b32 s8, s8, s9
	s_xor_b32 s9, s8, -1
	s_and_saveexec_b32 s10, s9
	s_xor_b32 s9, exec_lo, s10
; %bb.155:
	ds_read_u8 v12, v13 offset:1
                                        ; implicit-def: $vgpr15
; %bb.156:
	s_or_saveexec_b32 s9, s9
	v_mov_b32_e32 v13, v11
	s_xor_b32 exec_lo, exec_lo, s9
	s_cbranch_execz .LBB142_158
; %bb.157:
	ds_read_u8 v13, v15 offset:1
	s_waitcnt lgkmcnt(1)
	v_mov_b32_e32 v12, v10
.LBB142_158:
	s_or_b32 exec_lo, exec_lo, s9
	v_add_nc_u32_e32 v15, 1, v14
	v_add_nc_u32_e32 v17, 1, v7
	s_waitcnt lgkmcnt(0)
	v_cmp_lt_u16_sdwa s10, v13, v12 src0_sel:BYTE_0 src1_sel:BYTE_0
	v_cndmask_b32_e64 v16, v15, v14, s8
	v_cndmask_b32_e64 v7, v7, v17, s8
                                        ; implicit-def: $vgpr14
	v_cmp_ge_i32_e32 vcc_lo, v16, v8
	v_cmp_lt_i32_e64 s9, v7, v9
	s_or_b32 s10, vcc_lo, s10
	s_and_b32 s9, s9, s10
	s_xor_b32 s10, s9, -1
	s_and_saveexec_b32 s11, s10
	s_xor_b32 s10, exec_lo, s11
; %bb.159:
	v_add_nc_u32_e32 v14, v2, v16
	ds_read_u8 v14, v14 offset:1
; %bb.160:
	s_or_saveexec_b32 s10, s10
	v_mov_b32_e32 v15, v13
	s_xor_b32 exec_lo, exec_lo, s10
	s_cbranch_execz .LBB142_162
; %bb.161:
	s_waitcnt lgkmcnt(0)
	v_add_nc_u32_e32 v14, v2, v7
	ds_read_u8 v15, v14 offset:1
	v_mov_b32_e32 v14, v12
.LBB142_162:
	s_or_b32 exec_lo, exec_lo, s10
	v_add_nc_u32_e32 v17, 1, v16
	v_add_nc_u32_e32 v19, 1, v7
	s_waitcnt lgkmcnt(0)
	v_cmp_lt_u16_sdwa s11, v15, v14 src0_sel:BYTE_0 src1_sel:BYTE_0
	v_cndmask_b32_e64 v18, v17, v16, s9
	v_cndmask_b32_e64 v7, v7, v19, s9
                                        ; implicit-def: $vgpr16
	v_cmp_ge_i32_e32 vcc_lo, v18, v8
	v_cmp_lt_i32_e64 s10, v7, v9
	s_or_b32 s11, vcc_lo, s11
	s_and_b32 s10, s10, s11
	s_xor_b32 s11, s10, -1
	s_and_saveexec_b32 s12, s11
	s_xor_b32 s11, exec_lo, s12
; %bb.163:
	v_add_nc_u32_e32 v16, v2, v18
	ds_read_u8 v16, v16 offset:1
; %bb.164:
	s_or_saveexec_b32 s11, s11
	v_mov_b32_e32 v17, v15
	s_xor_b32 exec_lo, exec_lo, s11
	s_cbranch_execz .LBB142_166
; %bb.165:
	s_waitcnt lgkmcnt(0)
	v_add_nc_u32_e32 v16, v2, v7
	ds_read_u8 v17, v16 offset:1
	v_mov_b32_e32 v16, v14
.LBB142_166:
	s_or_b32 exec_lo, exec_lo, s11
	v_add_nc_u32_e32 v19, 1, v18
	v_add_nc_u32_e32 v21, 1, v7
	s_waitcnt lgkmcnt(0)
	v_cmp_lt_u16_sdwa s12, v17, v16 src0_sel:BYTE_0 src1_sel:BYTE_0
	v_cndmask_b32_e64 v20, v19, v18, s10
	v_cndmask_b32_e64 v7, v7, v21, s10
                                        ; implicit-def: $vgpr18
	v_cmp_ge_i32_e32 vcc_lo, v20, v8
	v_cmp_lt_i32_e64 s11, v7, v9
	s_or_b32 s12, vcc_lo, s12
	s_and_b32 s11, s11, s12
	s_xor_b32 s12, s11, -1
	s_and_saveexec_b32 s13, s12
	s_xor_b32 s12, exec_lo, s13
; %bb.167:
	v_add_nc_u32_e32 v18, v2, v20
	ds_read_u8 v18, v18 offset:1
; %bb.168:
	s_or_saveexec_b32 s12, s12
	v_mov_b32_e32 v19, v17
	s_xor_b32 exec_lo, exec_lo, s12
	s_cbranch_execz .LBB142_170
; %bb.169:
	s_waitcnt lgkmcnt(0)
	v_add_nc_u32_e32 v18, v2, v7
	ds_read_u8 v19, v18 offset:1
	v_mov_b32_e32 v18, v16
.LBB142_170:
	s_or_b32 exec_lo, exec_lo, s12
	v_add_nc_u32_e32 v21, 1, v20
	v_add_nc_u32_e32 v23, 1, v7
	s_waitcnt lgkmcnt(0)
	v_cmp_lt_u16_sdwa s13, v19, v18 src0_sel:BYTE_0 src1_sel:BYTE_0
	v_cndmask_b32_e64 v22, v21, v20, s11
	v_cndmask_b32_e64 v21, v7, v23, s11
                                        ; implicit-def: $vgpr7
	v_cmp_ge_i32_e32 vcc_lo, v22, v8
	v_cmp_lt_i32_e64 s12, v21, v9
	s_or_b32 s13, vcc_lo, s13
	s_and_b32 s12, s12, s13
	s_xor_b32 s13, s12, -1
	s_and_saveexec_b32 s14, s13
	s_xor_b32 s13, exec_lo, s14
; %bb.171:
	v_add_nc_u32_e32 v7, v2, v22
	ds_read_u8 v7, v7 offset:1
; %bb.172:
	s_or_saveexec_b32 s13, s13
	v_mov_b32_e32 v20, v19
	s_xor_b32 exec_lo, exec_lo, s13
	s_cbranch_execz .LBB142_174
; %bb.173:
	s_waitcnt lgkmcnt(0)
	v_add_nc_u32_e32 v7, v2, v21
	ds_read_u8 v20, v7 offset:1
	v_mov_b32_e32 v7, v18
.LBB142_174:
	s_or_b32 exec_lo, exec_lo, s13
	v_add_nc_u32_e32 v23, 1, v22
	v_add_nc_u32_e32 v25, 1, v21
	s_waitcnt lgkmcnt(0)
	v_cmp_lt_u16_sdwa s14, v20, v7 src0_sel:BYTE_0 src1_sel:BYTE_0
	v_cndmask_b32_e64 v24, v23, v22, s12
	v_cndmask_b32_e64 v23, v21, v25, s12
                                        ; implicit-def: $vgpr21
	v_cmp_ge_i32_e32 vcc_lo, v24, v8
	v_cmp_lt_i32_e64 s13, v23, v9
	s_or_b32 s14, vcc_lo, s14
	s_and_b32 vcc_lo, s13, s14
	s_xor_b32 s13, vcc_lo, -1
	s_and_saveexec_b32 s14, s13
	s_xor_b32 s13, exec_lo, s14
; %bb.175:
	v_add_nc_u32_e32 v21, v2, v24
	ds_read_u8 v21, v21 offset:1
; %bb.176:
	s_or_saveexec_b32 s13, s13
	v_mov_b32_e32 v22, v20
	s_xor_b32 exec_lo, exec_lo, s13
	s_cbranch_execz .LBB142_178
; %bb.177:
	s_waitcnt lgkmcnt(0)
	v_add_nc_u32_e32 v21, v2, v23
	ds_read_u8 v22, v21 offset:1
	v_mov_b32_e32 v21, v7
.LBB142_178:
	s_or_b32 exec_lo, exec_lo, s13
	v_add_nc_u32_e32 v25, 1, v24
	v_add_nc_u32_e32 v26, 1, v23
	s_waitcnt lgkmcnt(0)
	v_cmp_lt_u16_sdwa s15, v22, v21 src0_sel:BYTE_0 src1_sel:BYTE_0
	v_cndmask_b32_e32 v24, v25, v24, vcc_lo
	v_cndmask_b32_e32 v25, v23, v26, vcc_lo
                                        ; implicit-def: $vgpr23
	v_cmp_ge_i32_e64 s13, v24, v8
	v_cmp_lt_i32_e64 s14, v25, v9
	s_or_b32 s13, s13, s15
	s_and_b32 s13, s14, s13
	s_xor_b32 s14, s13, -1
	s_and_saveexec_b32 s15, s14
	s_xor_b32 s14, exec_lo, s15
; %bb.179:
	v_add_nc_u32_e32 v23, v2, v24
	ds_read_u8 v23, v23 offset:1
; %bb.180:
	s_or_saveexec_b32 s14, s14
	v_mov_b32_e32 v26, v22
	s_xor_b32 exec_lo, exec_lo, s14
	s_cbranch_execz .LBB142_182
; %bb.181:
	s_waitcnt lgkmcnt(0)
	v_add_nc_u32_e32 v23, v2, v25
	ds_read_u8 v26, v23 offset:1
	v_mov_b32_e32 v23, v21
.LBB142_182:
	s_or_b32 exec_lo, exec_lo, s14
	v_add_nc_u32_e32 v28, 1, v24
	v_add_nc_u32_e32 v27, 1, v25
	;; [unrolled: 1-line block ×3, first 2 shown]
	v_cndmask_b32_e64 v21, v21, v22, s13
	v_cndmask_b32_sdwa v20, v7, v20, vcc_lo dst_sel:BYTE_1 dst_unused:UNUSED_PAD src0_sel:DWORD src1_sel:DWORD
	v_cndmask_b32_e64 v24, v28, v24, s13
	v_cndmask_b32_e64 v22, v25, v27, s13
	s_mov_b32 vcc_lo, s11
	v_min_i32_e32 v7, v6, v29
	v_cndmask_b32_sdwa v16, v16, v17, vcc_lo dst_sel:BYTE_1 dst_unused:UNUSED_PAD src0_sel:DWORD src1_sel:DWORD
	v_cmp_ge_i32_e32 vcc_lo, v24, v8
	s_waitcnt lgkmcnt(0)
	v_cmp_lt_u16_sdwa s11, v26, v23 src0_sel:BYTE_0 src1_sel:BYTE_0
	v_cndmask_b32_e64 v8, v12, v13, s9
	v_cmp_lt_i32_e64 s9, v22, v9
	v_add_nc_u32_e32 v12, 0x100, v7
	v_cndmask_b32_e64 v9, v10, v11, s8
	s_or_b32 s8, vcc_lo, s11
	v_lshlrev_b16 v8, 8, v8
	s_and_b32 vcc_lo, s9, s8
	v_min_i32_e32 v6, v6, v12
	v_cndmask_b32_e32 v10, v23, v26, vcc_lo
	v_cndmask_b32_e64 v11, v14, v15, s10
	v_cndmask_b32_e64 v12, v18, v19, s12
	v_or_b32_sdwa v8, v9, v8 dst_sel:DWORD dst_unused:UNUSED_PAD src0_sel:BYTE_0 src1_sel:DWORD
	v_sub_nc_u32_e32 v13, v6, v7
	v_lshlrev_b16 v9, 8, v10
	v_or_b32_sdwa v10, v11, v16 dst_sel:WORD_1 dst_unused:UNUSED_PAD src0_sel:BYTE_0 src1_sel:DWORD
	v_or_b32_sdwa v11, v12, v20 dst_sel:DWORD dst_unused:UNUSED_PAD src0_sel:BYTE_0 src1_sel:DWORD
	v_sub_nc_u32_e32 v14, v7, v1
	v_sub_nc_u32_e32 v12, v3, v13
	v_or_b32_sdwa v15, v21, v9 dst_sel:WORD_1 dst_unused:UNUSED_PAD src0_sel:BYTE_0 src1_sel:DWORD
	v_cmp_ge_i32_e32 vcc_lo, v3, v13
	v_or_b32_sdwa v10, v8, v10 dst_sel:DWORD dst_unused:UNUSED_PAD src0_sel:WORD_0 src1_sel:DWORD
	v_min_i32_e32 v9, v3, v14
	s_mov_b32 s9, 0
	v_or_b32_sdwa v11, v11, v15 dst_sel:DWORD dst_unused:UNUSED_PAD src0_sel:WORD_0 src1_sel:DWORD
	v_cndmask_b32_e32 v8, 0, v12, vcc_lo
	s_mov_b32 s8, exec_lo
	; wave barrier
	ds_write_b64 v0, v[10:11]
	; wave barrier
	v_cmpx_lt_i32_e64 v8, v9
	s_cbranch_execz .LBB142_186
; %bb.183:
	v_add_nc_u32_e32 v0, v2, v1
	v_add3_u32 v10, v2, v7, v3
	.p2align	6
.LBB142_184:                            ; =>This Inner Loop Header: Depth=1
	v_sub_nc_u32_e32 v11, v9, v8
	v_lshrrev_b32_e32 v11, 1, v11
	v_add_nc_u32_e32 v11, v11, v8
	v_add_nc_u32_e32 v12, v0, v11
	v_xad_u32 v13, v11, -1, v10
	v_add_nc_u32_e32 v14, 1, v11
	ds_read_u8 v12, v12
	ds_read_u8 v13, v13
	s_waitcnt lgkmcnt(0)
	v_cmp_lt_u16_e32 vcc_lo, v13, v12
	v_cndmask_b32_e32 v9, v9, v11, vcc_lo
	v_cndmask_b32_e32 v8, v14, v8, vcc_lo
	v_cmp_ge_i32_e32 vcc_lo, v8, v9
	s_or_b32 s9, vcc_lo, s9
	s_andn2_b32 exec_lo, exec_lo, s9
	s_cbranch_execnz .LBB142_184
; %bb.185:
	s_or_b32 exec_lo, exec_lo, s9
.LBB142_186:
	s_or_b32 exec_lo, exec_lo, s8
	v_add_nc_u32_e32 v3, v7, v3
	v_add_nc_u32_e32 v0, v8, v1
                                        ; implicit-def: $vgpr9
	v_sub_nc_u32_e32 v1, v3, v8
	v_add_nc_u32_e32 v10, v2, v0
	v_cmp_le_i32_e32 vcc_lo, v7, v0
	v_add_nc_u32_e32 v11, v2, v1
	v_cmp_gt_i32_e64 s8, v6, v1
	ds_read_u8 v3, v10
	ds_read_u8 v8, v11
	s_waitcnt lgkmcnt(0)
	v_cmp_lt_u16_sdwa s9, v8, v3 src0_sel:BYTE_0 src1_sel:BYTE_0
	s_or_b32 s9, vcc_lo, s9
	s_and_b32 vcc_lo, s8, s9
	s_xor_b32 s8, vcc_lo, -1
	s_and_saveexec_b32 s9, s8
	s_xor_b32 s8, exec_lo, s9
; %bb.187:
	ds_read_u8 v9, v10 offset:1
                                        ; implicit-def: $vgpr11
; %bb.188:
	s_or_saveexec_b32 s8, s8
	v_mov_b32_e32 v10, v8
	s_xor_b32 exec_lo, exec_lo, s8
	s_cbranch_execz .LBB142_190
; %bb.189:
	ds_read_u8 v10, v11 offset:1
	s_waitcnt lgkmcnt(1)
	v_mov_b32_e32 v9, v3
.LBB142_190:
	s_or_b32 exec_lo, exec_lo, s8
	v_add_nc_u32_e32 v11, 1, v0
	v_add_nc_u32_e32 v12, 1, v1
	s_waitcnt lgkmcnt(0)
	v_cmp_lt_u16_sdwa s10, v10, v9 src0_sel:BYTE_0 src1_sel:BYTE_0
	v_cndmask_b32_e32 v13, v11, v0, vcc_lo
	v_cndmask_b32_e32 v0, v1, v12, vcc_lo
                                        ; implicit-def: $vgpr11
	v_cmp_ge_i32_e64 s8, v13, v7
	v_cmp_lt_i32_e64 s9, v0, v6
	s_or_b32 s8, s8, s10
	s_and_b32 s8, s9, s8
	s_xor_b32 s9, s8, -1
	s_and_saveexec_b32 s10, s9
	s_xor_b32 s9, exec_lo, s10
; %bb.191:
	v_add_nc_u32_e32 v1, v2, v13
	ds_read_u8 v11, v1 offset:1
; %bb.192:
	s_or_saveexec_b32 s9, s9
	v_mov_b32_e32 v12, v10
	s_xor_b32 exec_lo, exec_lo, s9
	s_cbranch_execz .LBB142_194
; %bb.193:
	v_add_nc_u32_e32 v1, v2, v0
	s_waitcnt lgkmcnt(0)
	v_mov_b32_e32 v11, v9
	ds_read_u8 v12, v1 offset:1
.LBB142_194:
	s_or_b32 exec_lo, exec_lo, s9
	v_add_nc_u32_e32 v1, 1, v13
	v_add_nc_u32_e32 v14, 1, v0
	s_waitcnt lgkmcnt(0)
	v_cmp_lt_u16_sdwa s11, v12, v11 src0_sel:BYTE_0 src1_sel:BYTE_0
	v_cndmask_b32_e64 v1, v1, v13, s8
	v_cndmask_b32_e64 v0, v0, v14, s8
                                        ; implicit-def: $vgpr13
	v_cmp_ge_i32_e64 s9, v1, v7
	v_cmp_lt_i32_e64 s10, v0, v6
	s_or_b32 s9, s9, s11
	s_and_b32 s9, s10, s9
	s_xor_b32 s10, s9, -1
	s_and_saveexec_b32 s11, s10
	s_xor_b32 s10, exec_lo, s11
; %bb.195:
	v_add_nc_u32_e32 v13, v2, v1
	ds_read_u8 v13, v13 offset:1
; %bb.196:
	s_or_saveexec_b32 s10, s10
	v_mov_b32_e32 v14, v12
	s_xor_b32 exec_lo, exec_lo, s10
	s_cbranch_execz .LBB142_198
; %bb.197:
	s_waitcnt lgkmcnt(0)
	v_add_nc_u32_e32 v13, v2, v0
	ds_read_u8 v14, v13 offset:1
	v_mov_b32_e32 v13, v11
.LBB142_198:
	s_or_b32 exec_lo, exec_lo, s10
	v_add_nc_u32_e32 v15, 1, v1
	v_add_nc_u32_e32 v16, 1, v0
	s_waitcnt lgkmcnt(0)
	v_cmp_lt_u16_sdwa s12, v14, v13 src0_sel:BYTE_0 src1_sel:BYTE_0
	v_cndmask_b32_e64 v1, v15, v1, s9
	v_cndmask_b32_e64 v0, v0, v16, s9
                                        ; implicit-def: $vgpr15
	v_cmp_ge_i32_e64 s10, v1, v7
	v_cmp_lt_i32_e64 s11, v0, v6
	s_or_b32 s10, s10, s12
	s_and_b32 s10, s11, s10
	s_xor_b32 s11, s10, -1
	s_and_saveexec_b32 s12, s11
	s_xor_b32 s11, exec_lo, s12
; %bb.199:
	v_add_nc_u32_e32 v15, v2, v1
	ds_read_u8 v15, v15 offset:1
; %bb.200:
	s_or_saveexec_b32 s11, s11
	v_mov_b32_e32 v16, v14
	s_xor_b32 exec_lo, exec_lo, s11
	s_cbranch_execz .LBB142_202
; %bb.201:
	s_waitcnt lgkmcnt(0)
	v_add_nc_u32_e32 v15, v2, v0
	ds_read_u8 v16, v15 offset:1
	v_mov_b32_e32 v15, v13
.LBB142_202:
	s_or_b32 exec_lo, exec_lo, s11
	v_add_nc_u32_e32 v17, 1, v1
	v_add_nc_u32_e32 v18, 1, v0
	s_waitcnt lgkmcnt(0)
	v_cmp_lt_u16_sdwa s13, v16, v15 src0_sel:BYTE_0 src1_sel:BYTE_0
	v_cndmask_b32_e64 v1, v17, v1, s10
	v_cndmask_b32_e64 v0, v0, v18, s10
                                        ; implicit-def: $vgpr17
	v_cmp_ge_i32_e64 s11, v1, v7
	v_cmp_lt_i32_e64 s12, v0, v6
	s_or_b32 s11, s11, s13
	s_and_b32 s11, s12, s11
	s_xor_b32 s12, s11, -1
	s_and_saveexec_b32 s13, s12
	s_xor_b32 s12, exec_lo, s13
; %bb.203:
	v_add_nc_u32_e32 v17, v2, v1
	ds_read_u8 v17, v17 offset:1
; %bb.204:
	s_or_saveexec_b32 s12, s12
	v_mov_b32_e32 v18, v16
	s_xor_b32 exec_lo, exec_lo, s12
	s_cbranch_execz .LBB142_206
; %bb.205:
	s_waitcnt lgkmcnt(0)
	v_add_nc_u32_e32 v17, v2, v0
	ds_read_u8 v18, v17 offset:1
	v_mov_b32_e32 v17, v15
.LBB142_206:
	s_or_b32 exec_lo, exec_lo, s12
	v_add_nc_u32_e32 v19, 1, v1
	v_add_nc_u32_e32 v20, 1, v0
	s_waitcnt lgkmcnt(0)
	v_cmp_lt_u16_sdwa s14, v18, v17 src0_sel:BYTE_0 src1_sel:BYTE_0
	v_cndmask_b32_e64 v21, v19, v1, s11
	v_cndmask_b32_e64 v1, v0, v20, s11
                                        ; implicit-def: $vgpr19
	v_cmp_ge_i32_e64 s12, v21, v7
	v_cmp_lt_i32_e64 s13, v1, v6
	s_or_b32 s12, s12, s14
	s_and_b32 s12, s13, s12
	s_xor_b32 s13, s12, -1
	s_and_saveexec_b32 s14, s13
	s_xor_b32 s13, exec_lo, s14
; %bb.207:
	v_add_nc_u32_e32 v0, v2, v21
	ds_read_u8 v19, v0 offset:1
; %bb.208:
	s_or_saveexec_b32 s13, s13
	v_mov_b32_e32 v20, v18
	s_xor_b32 exec_lo, exec_lo, s13
	s_cbranch_execz .LBB142_210
; %bb.209:
	v_add_nc_u32_e32 v0, v2, v1
	s_waitcnt lgkmcnt(0)
	v_mov_b32_e32 v19, v17
	ds_read_u8 v20, v0 offset:1
.LBB142_210:
	s_or_b32 exec_lo, exec_lo, s13
	v_add_nc_u32_e32 v0, 1, v21
	v_add_nc_u32_e32 v22, 1, v1
	s_waitcnt lgkmcnt(0)
	v_cmp_lt_u16_sdwa s15, v20, v19 src0_sel:BYTE_0 src1_sel:BYTE_0
                                        ; implicit-def: $vgpr23
	v_cndmask_b32_e64 v0, v0, v21, s12
	v_cndmask_b32_e64 v21, v1, v22, s12
                                        ; implicit-def: $vgpr22
	v_cmp_ge_i32_e64 s13, v0, v7
	v_cmp_lt_i32_e64 s14, v21, v6
	s_or_b32 s13, s13, s15
	s_and_b32 s13, s14, s13
	s_xor_b32 s14, s13, -1
	s_and_saveexec_b32 s15, s14
	s_xor_b32 s14, exec_lo, s15
; %bb.211:
	v_add_nc_u32_e32 v1, v2, v0
	v_add_nc_u32_e32 v23, 1, v0
                                        ; implicit-def: $vgpr2
                                        ; implicit-def: $vgpr0
	ds_read_u8 v22, v1 offset:1
; %bb.212:
	s_or_saveexec_b32 s14, s14
	v_mov_b32_e32 v24, v20
	s_xor_b32 exec_lo, exec_lo, s14
	s_cbranch_execz .LBB142_214
; %bb.213:
	v_add_nc_u32_e32 v1, v2, v21
	v_add_nc_u32_e32 v21, 1, v21
	v_mov_b32_e32 v23, v0
	s_waitcnt lgkmcnt(0)
	v_mov_b32_e32 v22, v19
	ds_read_u8 v24, v1 offset:1
.LBB142_214:
	s_or_b32 exec_lo, exec_lo, s14
	v_add_co_u32 v0, s14, s18, v4
	v_add_co_ci_u32_e64 v1, null, s19, 0, s14
	v_add_co_u32 v0, s14, v0, v5
	v_add_co_ci_u32_e64 v1, null, 0, v1, s14
	s_and_saveexec_b32 s14, s0
	s_cbranch_execnz .LBB142_223
; %bb.215:
	s_or_b32 exec_lo, exec_lo, s14
	s_and_saveexec_b32 s0, s1
	s_cbranch_execnz .LBB142_224
.LBB142_216:
	s_or_b32 exec_lo, exec_lo, s0
	s_and_saveexec_b32 s0, s2
	s_cbranch_execnz .LBB142_225
.LBB142_217:
	s_or_b32 exec_lo, exec_lo, s0
	s_and_saveexec_b32 s0, s3
	s_cbranch_execnz .LBB142_226
.LBB142_218:
	s_or_b32 exec_lo, exec_lo, s0
	s_and_saveexec_b32 s0, s4
	s_cbranch_execnz .LBB142_227
.LBB142_219:
	s_or_b32 exec_lo, exec_lo, s0
	s_and_saveexec_b32 s0, s5
	s_cbranch_execnz .LBB142_228
.LBB142_220:
	s_or_b32 exec_lo, exec_lo, s0
	s_and_saveexec_b32 s0, s6
	s_cbranch_execnz .LBB142_229
.LBB142_221:
	s_or_b32 exec_lo, exec_lo, s0
	s_and_saveexec_b32 s0, s7
	s_cbranch_execnz .LBB142_230
.LBB142_222:
	s_endpgm
.LBB142_223:
	v_cndmask_b32_e32 v2, v3, v8, vcc_lo
	global_store_byte v[0:1], v2, off
	s_or_b32 exec_lo, exec_lo, s14
	s_and_saveexec_b32 s0, s1
	s_cbranch_execz .LBB142_216
.LBB142_224:
	v_cndmask_b32_e64 v2, v9, v10, s8
	global_store_byte v[0:1], v2, off offset:1
	s_or_b32 exec_lo, exec_lo, s0
	s_and_saveexec_b32 s0, s2
	s_cbranch_execz .LBB142_217
.LBB142_225:
	v_cndmask_b32_e64 v2, v11, v12, s9
	global_store_byte v[0:1], v2, off offset:2
	s_or_b32 exec_lo, exec_lo, s0
	s_and_saveexec_b32 s0, s3
	s_cbranch_execz .LBB142_218
.LBB142_226:
	v_cndmask_b32_e64 v2, v13, v14, s10
	global_store_byte v[0:1], v2, off offset:3
	s_or_b32 exec_lo, exec_lo, s0
	s_and_saveexec_b32 s0, s4
	s_cbranch_execz .LBB142_219
.LBB142_227:
	v_cndmask_b32_e64 v2, v15, v16, s11
	global_store_byte v[0:1], v2, off offset:4
	s_or_b32 exec_lo, exec_lo, s0
	s_and_saveexec_b32 s0, s5
	s_cbranch_execz .LBB142_220
.LBB142_228:
	v_cndmask_b32_e64 v2, v17, v18, s12
	global_store_byte v[0:1], v2, off offset:5
	s_or_b32 exec_lo, exec_lo, s0
	s_and_saveexec_b32 s0, s6
	s_cbranch_execz .LBB142_221
.LBB142_229:
	v_cndmask_b32_e64 v2, v19, v20, s13
	global_store_byte v[0:1], v2, off offset:6
	s_or_b32 exec_lo, exec_lo, s0
	s_and_saveexec_b32 s0, s7
	s_cbranch_execz .LBB142_222
.LBB142_230:
	v_cmp_ge_i32_e32 vcc_lo, v23, v7
	s_waitcnt lgkmcnt(0)
	v_cmp_lt_u16_sdwa s1, v24, v22 src0_sel:BYTE_0 src1_sel:BYTE_0
	v_cmp_lt_i32_e64 s0, v21, v6
	s_or_b32 s1, vcc_lo, s1
	s_and_b32 vcc_lo, s0, s1
	v_cndmask_b32_e32 v2, v22, v24, vcc_lo
	global_store_byte v[0:1], v2, off offset:7
	s_endpgm
	.section	.rodata,"a",@progbits
	.p2align	6, 0x0
	.amdhsa_kernel _Z19sort_keys_segmentedILj256ELj64ELj8EhN10test_utils4lessEEvPKT2_PS2_PKjT3_
		.amdhsa_group_segment_fixed_size 2052
		.amdhsa_private_segment_fixed_size 0
		.amdhsa_kernarg_size 28
		.amdhsa_user_sgpr_count 6
		.amdhsa_user_sgpr_private_segment_buffer 1
		.amdhsa_user_sgpr_dispatch_ptr 0
		.amdhsa_user_sgpr_queue_ptr 0
		.amdhsa_user_sgpr_kernarg_segment_ptr 1
		.amdhsa_user_sgpr_dispatch_id 0
		.amdhsa_user_sgpr_flat_scratch_init 0
		.amdhsa_user_sgpr_private_segment_size 0
		.amdhsa_wavefront_size32 1
		.amdhsa_uses_dynamic_stack 0
		.amdhsa_system_sgpr_private_segment_wavefront_offset 0
		.amdhsa_system_sgpr_workgroup_id_x 1
		.amdhsa_system_sgpr_workgroup_id_y 0
		.amdhsa_system_sgpr_workgroup_id_z 0
		.amdhsa_system_sgpr_workgroup_info 0
		.amdhsa_system_vgpr_workitem_id 0
		.amdhsa_next_free_vgpr 30
		.amdhsa_next_free_sgpr 20
		.amdhsa_reserve_vcc 1
		.amdhsa_reserve_flat_scratch 0
		.amdhsa_float_round_mode_32 0
		.amdhsa_float_round_mode_16_64 0
		.amdhsa_float_denorm_mode_32 3
		.amdhsa_float_denorm_mode_16_64 3
		.amdhsa_dx10_clamp 1
		.amdhsa_ieee_mode 1
		.amdhsa_fp16_overflow 0
		.amdhsa_workgroup_processor_mode 1
		.amdhsa_memory_ordered 1
		.amdhsa_forward_progress 1
		.amdhsa_shared_vgpr_count 0
		.amdhsa_exception_fp_ieee_invalid_op 0
		.amdhsa_exception_fp_denorm_src 0
		.amdhsa_exception_fp_ieee_div_zero 0
		.amdhsa_exception_fp_ieee_overflow 0
		.amdhsa_exception_fp_ieee_underflow 0
		.amdhsa_exception_fp_ieee_inexact 0
		.amdhsa_exception_int_div_zero 0
	.end_amdhsa_kernel
	.section	.text._Z19sort_keys_segmentedILj256ELj64ELj8EhN10test_utils4lessEEvPKT2_PS2_PKjT3_,"axG",@progbits,_Z19sort_keys_segmentedILj256ELj64ELj8EhN10test_utils4lessEEvPKT2_PS2_PKjT3_,comdat
.Lfunc_end142:
	.size	_Z19sort_keys_segmentedILj256ELj64ELj8EhN10test_utils4lessEEvPKT2_PS2_PKjT3_, .Lfunc_end142-_Z19sort_keys_segmentedILj256ELj64ELj8EhN10test_utils4lessEEvPKT2_PS2_PKjT3_
                                        ; -- End function
	.set _Z19sort_keys_segmentedILj256ELj64ELj8EhN10test_utils4lessEEvPKT2_PS2_PKjT3_.num_vgpr, 30
	.set _Z19sort_keys_segmentedILj256ELj64ELj8EhN10test_utils4lessEEvPKT2_PS2_PKjT3_.num_agpr, 0
	.set _Z19sort_keys_segmentedILj256ELj64ELj8EhN10test_utils4lessEEvPKT2_PS2_PKjT3_.numbered_sgpr, 20
	.set _Z19sort_keys_segmentedILj256ELj64ELj8EhN10test_utils4lessEEvPKT2_PS2_PKjT3_.num_named_barrier, 0
	.set _Z19sort_keys_segmentedILj256ELj64ELj8EhN10test_utils4lessEEvPKT2_PS2_PKjT3_.private_seg_size, 0
	.set _Z19sort_keys_segmentedILj256ELj64ELj8EhN10test_utils4lessEEvPKT2_PS2_PKjT3_.uses_vcc, 1
	.set _Z19sort_keys_segmentedILj256ELj64ELj8EhN10test_utils4lessEEvPKT2_PS2_PKjT3_.uses_flat_scratch, 0
	.set _Z19sort_keys_segmentedILj256ELj64ELj8EhN10test_utils4lessEEvPKT2_PS2_PKjT3_.has_dyn_sized_stack, 0
	.set _Z19sort_keys_segmentedILj256ELj64ELj8EhN10test_utils4lessEEvPKT2_PS2_PKjT3_.has_recursion, 0
	.set _Z19sort_keys_segmentedILj256ELj64ELj8EhN10test_utils4lessEEvPKT2_PS2_PKjT3_.has_indirect_call, 0
	.section	.AMDGPU.csdata,"",@progbits
; Kernel info:
; codeLenInByte = 10156
; TotalNumSgprs: 22
; NumVgprs: 30
; ScratchSize: 0
; MemoryBound: 0
; FloatMode: 240
; IeeeMode: 1
; LDSByteSize: 2052 bytes/workgroup (compile time only)
; SGPRBlocks: 0
; VGPRBlocks: 3
; NumSGPRsForWavesPerEU: 22
; NumVGPRsForWavesPerEU: 30
; Occupancy: 16
; WaveLimiterHint : 0
; COMPUTE_PGM_RSRC2:SCRATCH_EN: 0
; COMPUTE_PGM_RSRC2:USER_SGPR: 6
; COMPUTE_PGM_RSRC2:TRAP_HANDLER: 0
; COMPUTE_PGM_RSRC2:TGID_X_EN: 1
; COMPUTE_PGM_RSRC2:TGID_Y_EN: 0
; COMPUTE_PGM_RSRC2:TGID_Z_EN: 0
; COMPUTE_PGM_RSRC2:TIDIG_COMP_CNT: 0
	.section	.text._Z20sort_pairs_segmentedILj256ELj64ELj8EhN10test_utils4lessEEvPKT2_PS2_PKjT3_,"axG",@progbits,_Z20sort_pairs_segmentedILj256ELj64ELj8EhN10test_utils4lessEEvPKT2_PS2_PKjT3_,comdat
	.protected	_Z20sort_pairs_segmentedILj256ELj64ELj8EhN10test_utils4lessEEvPKT2_PS2_PKjT3_ ; -- Begin function _Z20sort_pairs_segmentedILj256ELj64ELj8EhN10test_utils4lessEEvPKT2_PS2_PKjT3_
	.globl	_Z20sort_pairs_segmentedILj256ELj64ELj8EhN10test_utils4lessEEvPKT2_PS2_PKjT3_
	.p2align	8
	.type	_Z20sort_pairs_segmentedILj256ELj64ELj8EhN10test_utils4lessEEvPKT2_PS2_PKjT3_,@function
_Z20sort_pairs_segmentedILj256ELj64ELj8EhN10test_utils4lessEEvPKT2_PS2_PKjT3_: ; @_Z20sort_pairs_segmentedILj256ELj64ELj8EhN10test_utils4lessEEvPKT2_PS2_PKjT3_
; %bb.0:
	s_clause 0x1
	s_load_dwordx2 s[0:1], s[4:5], 0x10
	s_load_dwordx4 s[16:19], s[4:5], 0x0
	v_lshrrev_b32_e32 v11, 6, v0
	v_mov_b32_e32 v1, 0
	v_mov_b32_e32 v6, 0
	;; [unrolled: 1-line block ×4, first 2 shown]
	v_lshl_or_b32 v0, s6, 2, v11
	v_mov_b32_e32 v12, 0
	v_mov_b32_e32 v4, 0
	v_lshlrev_b64 v[2:3], 2, v[0:1]
	v_lshlrev_b32_e32 v9, 9, v0
	s_waitcnt lgkmcnt(0)
	v_add_co_u32 v2, vcc_lo, s0, v2
	v_add_co_ci_u32_e64 v3, null, s1, v3, vcc_lo
	v_add_co_u32 v0, s0, s16, v9
	global_load_dword v10, v[2:3], off
	v_mbcnt_lo_u32_b32 v2, -1, 0
	v_add_co_ci_u32_e64 v3, null, s17, 0, s0
	v_lshlrev_b32_e32 v8, 3, v2
	v_add_co_u32 v2, vcc_lo, v0, v8
	v_add_co_ci_u32_e64 v3, null, 0, v3, vcc_lo
	v_mov_b32_e32 v0, 0
	s_waitcnt vmcnt(0)
	v_cmp_lt_u32_e64 s0, v8, v10
	s_and_saveexec_b32 s1, s0
	s_cbranch_execz .LBB143_2
; %bb.1:
	global_load_ubyte v6, v[2:3], off
	v_mov_b32_e32 v7, 0
	v_mov_b32_e32 v13, 0
	;; [unrolled: 1-line block ×5, first 2 shown]
.LBB143_2:
	s_or_b32 exec_lo, exec_lo, s1
	v_or_b32_e32 v5, 1, v8
	v_mov_b32_e32 v15, v1
	v_cmp_lt_u32_e64 s1, v5, v10
	s_and_saveexec_b32 s2, s1
	s_cbranch_execz .LBB143_4
; %bb.3:
	global_load_ubyte v15, v[2:3], off offset:1
.LBB143_4:
	s_or_b32 exec_lo, exec_lo, s2
	v_or_b32_e32 v14, 2, v8
	v_cmp_lt_u32_e64 s2, v14, v10
	s_and_saveexec_b32 s3, s2
	s_cbranch_execz .LBB143_6
; %bb.5:
	global_load_ubyte v1, v[2:3], off offset:2
.LBB143_6:
	s_or_b32 exec_lo, exec_lo, s3
	v_or_b32_e32 v16, 3, v8
	;; [unrolled: 8-line block ×6, first 2 shown]
	v_cmp_lt_u32_e64 s7, v20, v10
	s_and_saveexec_b32 s8, s7
	s_cbranch_execz .LBB143_16
; %bb.15:
	global_load_ubyte v0, v[2:3], off offset:7
.LBB143_16:
	s_or_b32 exec_lo, exec_lo, s8
	s_waitcnt vmcnt(0)
	v_add_nc_u16 v2, v6, 1
	v_mov_b32_e32 v3, 0xffff
	v_add_nc_u16 v21, v13, 1
	v_perm_b32 v13, v13, v12, 0xc0c0004
	v_lshlrev_b16 v22, 8, v15
	v_lshlrev_b16 v12, 8, v12
	v_and_b32_sdwa v2, v3, v2 dst_sel:DWORD dst_unused:UNUSED_PAD src0_sel:DWORD src1_sel:BYTE_0
	v_perm_b32 v3, v21, 0, 0x3020104
	v_perm_b32 v21, v4, v0, 0xc0c0004
	v_perm_b32 v23, v1, v7, 0xc0c0004
	v_perm_b32 v15, v6, v15, 0xc0c0004
	v_cndmask_b32_e64 v2, 0, v2, s0
	v_cndmask_b32_e64 v3, 0, v3, s4
	v_or_b32_e32 v6, 0xffffff00, v6
	v_lshlrev_b32_e32 v23, 16, v23
	v_lshl_or_b32 v21, v21, 16, v13
	v_or_b32_e32 v22, v22, v2
	v_or_b32_sdwa v12, v12, v3 dst_sel:DWORD dst_unused:UNUSED_PAD src0_sel:DWORD src1_sel:BYTE_0
	v_or_b32_e32 v13, 0xff, v13
	v_or_b32_e32 v15, v15, v23
	v_or_b32_sdwa v6, v6, v23 dst_sel:DWORD dst_unused:UNUSED_PAD src0_sel:WORD_0 src1_sel:DWORD
	v_add_nc_u16 v22, 0x100, v22
	v_add_nc_u16 v12, 0x100, v12
	v_and_b32_e32 v13, 0xffff, v13
	v_cmp_lt_i32_e32 vcc_lo, v5, v10
	v_add_nc_u16 v1, v1, 1
	v_and_b32_e32 v22, 0xffff, v22
	v_and_b32_e32 v12, 0xffff, v12
	v_mov_b32_e32 v24, 0xff
	v_cndmask_b32_e32 v5, v6, v15, vcc_lo
	v_and_or_b32 v6, 0xffff0000, v21, v13
	v_cndmask_b32_e64 v22, v2, v22, s1
	v_and_or_b32 v2, 0xffff0000, v3, v12
	v_cmp_lt_i32_e32 vcc_lo, v17, v10
	v_add_nc_u16 v4, v4, 1
	v_or_b32_sdwa v12, v5, v24 dst_sel:WORD_1 dst_unused:UNUSED_PAD src0_sel:WORD_1 src1_sel:DWORD
	v_perm_b32 v1, v1, v22, 0xc0c0304
	v_cndmask_b32_e64 v3, v3, v2, s5
	v_cndmask_b32_e32 v6, v6, v21, vcc_lo
	v_cmp_lt_i32_e64 s8, v14, v10
	v_and_or_b32 v5, 0xffff, v5, v12
	v_lshl_or_b32 v1, v1, 16, v22
	v_perm_b32 v4, v3, v4, 0x7000504
	v_or_b32_e32 v12, 0xffffff00, v6
	v_mov_b32_e32 v2, 0xffffff00
	v_lshlrev_b16 v7, 8, v7
	v_cndmask_b32_e64 v1, v22, v1, s2
	v_cndmask_b32_e64 v3, v3, v4, s6
	v_cndmask_b32_e64 v4, v5, v15, s8
	v_and_b32_e32 v5, 0xffff, v12
	v_lshlrev_b16 v0, 8, v0
	v_and_b32_sdwa v12, v1, v24 dst_sel:DWORD dst_unused:UNUSED_PAD src0_sel:WORD_1 src1_sel:DWORD
	v_and_b32_sdwa v13, v3, v24 dst_sel:DWORD dst_unused:UNUSED_PAD src0_sel:WORD_1 src1_sel:DWORD
	v_cmp_lt_i32_e64 s8, v18, v10
	v_and_or_b32 v5, 0xffff0000, v6, v5
	v_or_b32_sdwa v6, v4, v2 dst_sel:WORD_1 dst_unused:UNUSED_PAD src0_sel:WORD_1 src1_sel:DWORD
	v_or_b32_e32 v7, v7, v12
	v_or_b32_e32 v0, v0, v13
	v_cmp_lt_i32_e64 s9, v16, v10
	v_cndmask_b32_e64 v5, v5, v21, s8
	v_and_or_b32 v4, 0xffff, v4, v6
	v_add_nc_u16 v6, 0x100, v7
	v_add_nc_u16 v0, 0x100, v0
	v_or_b32_sdwa v7, v5, v24 dst_sel:WORD_1 dst_unused:UNUSED_PAD src0_sel:WORD_1 src1_sel:DWORD
	v_cndmask_b32_e64 v4, v4, v15, s9
	v_cmp_lt_i32_e64 s9, v19, v10
	v_lshlrev_b32_e32 v6, 16, v6
	v_lshlrev_b32_e32 v0, 16, v0
	v_and_or_b32 v5, 0xffff, v5, v7
	v_cndmask_b32_e32 v4, v4, v15, vcc_lo
	s_or_b32 vcc_lo, s9, s8
	v_and_or_b32 v6, 0xffff, v1, v6
	v_and_or_b32 v7, 0xffff, v3, v0
	v_cndmask_b32_e64 v5, v5, v21, s9
	v_cndmask_b32_e32 v4, v4, v15, vcc_lo
	v_cmp_lt_i32_e64 s8, v20, v10
	v_cndmask_b32_e64 v0, v1, v6, s3
	v_cndmask_b32_e64 v1, v3, v7, s7
	v_lshrrev_b32_e32 v14, 24, v5
	v_lshrrev_b64 v[6:7], 24, v[4:5]
	v_lshrrev_b32_e32 v12, 16, v5
	v_lshrrev_b32_e32 v13, 8, v5
	v_lshrrev_b32_e32 v15, 16, v4
	v_lshrrev_b32_e32 v7, 8, v4
	s_mov_b32 s9, exec_lo
                                        ; implicit-def: $vgpr3
	v_cmpx_ge_i32_e64 v20, v10
	s_cbranch_execz .LBB143_18
; %bb.17:
	v_lshrrev_b32_e32 v13, 8, v5
	v_lshrrev_b32_e32 v12, 16, v5
	;; [unrolled: 1-line block ×3, first 2 shown]
	v_cmp_lt_i32_e32 vcc_lo, v8, v10
	v_lshrrev_b32_e32 v7, 8, v4
	v_lshlrev_b16 v3, 8, v13
	v_or_b32_sdwa v14, v12, v2 dst_sel:WORD_1 dst_unused:UNUSED_PAD src0_sel:DWORD src1_sel:DWORD
	v_perm_b32 v2, v4, v15, 0x7000504
	s_andn2_b32 s8, s8, exec_lo
	s_and_b32 s10, vcc_lo, exec_lo
	v_or_b32_sdwa v3, v5, v3 dst_sel:DWORD dst_unused:UNUSED_PAD src0_sel:BYTE_0 src1_sel:DWORD
	s_or_b32 s8, s8, s10
	v_or_b32_sdwa v3, v3, v14 dst_sel:DWORD dst_unused:UNUSED_PAD src0_sel:WORD_0 src1_sel:DWORD
	v_mov_b32_e32 v14, 0xff
.LBB143_18:
	s_or_b32 exec_lo, exec_lo, s9
	s_and_saveexec_b32 s9, s8
	s_cbranch_execz .LBB143_22
; %bb.19:
	v_perm_b32 v2, v15, v6, 0xc0c0004
	v_perm_b32 v3, 0, v0, 0xc0c0001
	;; [unrolled: 1-line block ×4, first 2 shown]
	v_cmp_lt_u16_sdwa vcc_lo, v7, v4 src0_sel:BYTE_0 src1_sel:BYTE_0
	v_lshlrev_b32_e32 v2, 16, v2
	v_and_or_b32 v3, 0xffff0000, v0, v3
	v_perm_b32 v4, v12, v14, 0xc0c0004
	v_perm_b32 v12, v1, v1, 0x7060405
	v_or_b32_e32 v6, v6, v2
	v_or_b32_e32 v2, v15, v2
	v_cndmask_b32_e32 v0, v0, v3, vcc_lo
	v_perm_b32 v3, v5, v13, 0xc0c0004
	v_cndmask_b32_e32 v2, v2, v6, vcc_lo
	v_lshrrev_b32_e32 v5, 16, v0
	v_lshl_or_b32 v3, v4, 16, v3
	v_lshrrev_b32_e32 v6, 16, v2
	v_perm_b32 v4, 0, v5, 0xc0c0001
	v_lshrrev_b32_e32 v7, 8, v3
	v_perm_b32 v13, v3, v3, 0x7060405
	v_perm_b32 v5, 0, v6, 0xc0c0001
	v_lshlrev_b32_e32 v4, 16, v4
	v_cmp_lt_u16_sdwa vcc_lo, v7, v3 src0_sel:BYTE_0 src1_sel:BYTE_0
	v_cmp_lt_u16_sdwa s8, v2, v6 src0_sel:BYTE_3 src1_sel:BYTE_0
	v_mov_b32_e32 v6, 0xff
	v_lshlrev_b32_e32 v5, 16, v5
	v_and_or_b32 v4, 0xffff, v0, v4
	v_cndmask_b32_e32 v3, v3, v13, vcc_lo
	v_cndmask_b32_e32 v1, v1, v12, vcc_lo
	v_and_or_b32 v5, 0xffff, v2, v5
	v_cndmask_b32_e64 v0, v0, v4, s8
	v_and_b32_sdwa v4, v3, v6 dst_sel:DWORD dst_unused:UNUSED_PAD src0_sel:WORD_1 src1_sel:DWORD
	v_perm_b32 v13, v3, v3, 0x6070504
	v_cndmask_b32_e64 v2, v2, v5, s8
	v_perm_b32 v5, v1, v1, 0x6070504
	v_cmp_lt_u16_sdwa vcc_lo, v3, v4 src0_sel:BYTE_3 src1_sel:DWORD
	v_perm_b32 v4, v0, v0, 0x7050604
	v_and_b32_sdwa v7, v2, v6 dst_sel:DWORD dst_unused:UNUSED_PAD src0_sel:WORD_1 src1_sel:DWORD
	v_lshrrev_b32_e32 v12, 8, v2
	v_perm_b32 v14, v2, v2, 0x7050604
	v_cndmask_b32_e32 v3, v3, v13, vcc_lo
	v_cndmask_b32_e32 v1, v1, v5, vcc_lo
	v_cmp_lt_u16_sdwa s8, v7, v12 src0_sel:DWORD src1_sel:BYTE_0
	v_lshlrev_b16 v5, 8, v3
	v_cndmask_b32_e64 v2, v2, v14, s8
	v_cndmask_b32_e64 v0, v0, v4, s8
	v_lshlrev_b16 v4, 8, v1
	v_and_b32_sdwa v12, v2, v6 dst_sel:DWORD dst_unused:UNUSED_PAD src0_sel:WORD_1 src1_sel:DWORD
	v_and_b32_sdwa v7, v0, v6 dst_sel:DWORD dst_unused:UNUSED_PAD src0_sel:WORD_1 src1_sel:DWORD
	v_cmp_lt_u16_sdwa vcc_lo, v3, v2 src0_sel:BYTE_0 src1_sel:BYTE_3
	v_or_b32_sdwa v5, v12, v5 dst_sel:WORD_1 dst_unused:UNUSED_PAD src0_sel:DWORD src1_sel:DWORD
	v_or_b32_sdwa v4, v7, v4 dst_sel:WORD_1 dst_unused:UNUSED_PAD src0_sel:DWORD src1_sel:DWORD
	v_and_or_b32 v5, 0xffff, v2, v5
	v_and_or_b32 v4, 0xffff, v0, v4
	v_cndmask_b32_e32 v5, v2, v5, vcc_lo
	v_cndmask_b32_e32 v4, v0, v4, vcc_lo
	v_perm_b32 v2, v2, v3, 0x3020107
	v_perm_b32 v0, v0, v1, 0x3020107
	;; [unrolled: 1-line block ×3, first 2 shown]
	v_lshrrev_b32_e32 v13, 8, v5
	v_perm_b32 v7, 0, v4, 0xc0c0001
	v_cndmask_b32_e32 v2, v3, v2, vcc_lo
	v_cndmask_b32_e32 v0, v1, v0, vcc_lo
	v_and_or_b32 v3, 0xffff0000, v5, v12
	v_cmp_lt_u16_sdwa vcc_lo, v13, v5 src0_sel:BYTE_0 src1_sel:BYTE_0
	v_and_or_b32 v1, 0xffff0000, v4, v7
	v_and_b32_sdwa v7, v2, v6 dst_sel:DWORD dst_unused:UNUSED_PAD src0_sel:WORD_1 src1_sel:DWORD
	v_lshrrev_b32_e32 v12, 8, v2
	v_cndmask_b32_e32 v3, v5, v3, vcc_lo
	v_cndmask_b32_e32 v1, v4, v1, vcc_lo
	v_perm_b32 v4, v2, v2, 0x7050604
	v_perm_b32 v5, v0, v0, 0x7050604
	v_cmp_lt_u16_sdwa vcc_lo, v7, v12 src0_sel:DWORD src1_sel:BYTE_0
	v_lshrrev_b32_e32 v12, 16, v3
	v_lshrrev_b32_e32 v7, 16, v1
	v_cndmask_b32_e32 v0, v0, v5, vcc_lo
	v_cndmask_b32_e32 v2, v2, v4, vcc_lo
	v_perm_b32 v5, 0, v12, 0xc0c0001
	v_perm_b32 v4, 0, v7, 0xc0c0001
	v_cmp_lt_u16_sdwa s8, v3, v12 src0_sel:BYTE_3 src1_sel:BYTE_0
	v_perm_b32 v13, v0, v0, 0x7060405
	v_lshrrev_b32_e32 v7, 8, v2
	v_lshlrev_b32_e32 v5, 16, v5
	v_lshlrev_b32_e32 v4, 16, v4
	v_perm_b32 v14, v2, v2, 0x7060405
	v_cmp_lt_u16_sdwa vcc_lo, v7, v2 src0_sel:BYTE_0 src1_sel:BYTE_0
	v_and_or_b32 v5, 0xffff, v3, v5
	v_and_or_b32 v4, 0xffff, v1, v4
	v_cndmask_b32_e32 v2, v2, v14, vcc_lo
	v_cndmask_b32_e64 v3, v3, v5, s8
	v_cndmask_b32_e64 v1, v1, v4, s8
	v_cndmask_b32_e32 v0, v0, v13, vcc_lo
	v_and_b32_sdwa v4, v2, v6 dst_sel:DWORD dst_unused:UNUSED_PAD src0_sel:WORD_1 src1_sel:DWORD
	v_and_b32_sdwa v7, v3, v6 dst_sel:DWORD dst_unused:UNUSED_PAD src0_sel:WORD_1 src1_sel:DWORD
	v_lshrrev_b32_e32 v12, 8, v3
	v_perm_b32 v13, v2, v2, 0x6070504
	v_perm_b32 v14, v3, v3, 0x7050604
	v_cmp_lt_u16_sdwa vcc_lo, v2, v4 src0_sel:BYTE_3 src1_sel:DWORD
	v_perm_b32 v5, v0, v0, 0x6070504
	v_cmp_lt_u16_sdwa s8, v7, v12 src0_sel:DWORD src1_sel:BYTE_0
	v_perm_b32 v4, v1, v1, 0x7050604
	v_cndmask_b32_e32 v2, v2, v13, vcc_lo
	v_cndmask_b32_e32 v0, v0, v5, vcc_lo
	v_cndmask_b32_e64 v3, v3, v14, s8
	v_cndmask_b32_e64 v1, v1, v4, s8
	v_lshlrev_b16 v5, 8, v2
	v_lshlrev_b16 v4, 8, v0
	v_and_b32_sdwa v12, v3, v6 dst_sel:DWORD dst_unused:UNUSED_PAD src0_sel:WORD_1 src1_sel:DWORD
	v_and_b32_sdwa v7, v1, v6 dst_sel:DWORD dst_unused:UNUSED_PAD src0_sel:WORD_1 src1_sel:DWORD
	v_cmp_lt_u16_sdwa vcc_lo, v2, v3 src0_sel:BYTE_0 src1_sel:BYTE_3
	v_or_b32_sdwa v5, v12, v5 dst_sel:WORD_1 dst_unused:UNUSED_PAD src0_sel:DWORD src1_sel:DWORD
	v_or_b32_sdwa v4, v7, v4 dst_sel:WORD_1 dst_unused:UNUSED_PAD src0_sel:DWORD src1_sel:DWORD
	v_and_or_b32 v5, 0xffff, v3, v5
	v_and_or_b32 v4, 0xffff, v1, v4
	v_cndmask_b32_e32 v5, v3, v5, vcc_lo
	v_cndmask_b32_e32 v4, v1, v4, vcc_lo
	v_perm_b32 v3, v3, v2, 0x3020107
	v_perm_b32 v1, v1, v0, 0x3020107
	;; [unrolled: 1-line block ×3, first 2 shown]
	v_lshrrev_b32_e32 v13, 8, v5
	v_perm_b32 v7, 0, v4, 0xc0c0001
	v_cndmask_b32_e32 v2, v2, v3, vcc_lo
	v_cndmask_b32_e32 v0, v0, v1, vcc_lo
	v_and_or_b32 v3, 0xffff0000, v5, v12
	v_cmp_lt_u16_sdwa vcc_lo, v13, v5 src0_sel:BYTE_0 src1_sel:BYTE_0
	v_and_or_b32 v1, 0xffff0000, v4, v7
	v_and_b32_sdwa v7, v2, v6 dst_sel:DWORD dst_unused:UNUSED_PAD src0_sel:WORD_1 src1_sel:DWORD
	v_lshrrev_b32_e32 v12, 8, v2
	v_cndmask_b32_e32 v3, v5, v3, vcc_lo
	v_cndmask_b32_e32 v1, v4, v1, vcc_lo
	v_perm_b32 v4, v2, v2, 0x7050604
	v_perm_b32 v5, v0, v0, 0x7050604
	v_cmp_lt_u16_sdwa vcc_lo, v7, v12 src0_sel:DWORD src1_sel:BYTE_0
	v_lshrrev_b32_e32 v12, 16, v3
	v_lshrrev_b32_e32 v7, 16, v1
	v_cndmask_b32_e32 v0, v0, v5, vcc_lo
	v_cndmask_b32_e32 v2, v2, v4, vcc_lo
	v_perm_b32 v5, 0, v12, 0xc0c0001
	v_perm_b32 v4, 0, v7, 0xc0c0001
	v_cmp_lt_u16_sdwa s8, v3, v12 src0_sel:BYTE_3 src1_sel:BYTE_0
	v_perm_b32 v13, v0, v0, 0x7060405
	v_lshrrev_b32_e32 v7, 8, v2
	v_lshlrev_b32_e32 v5, 16, v5
	v_lshlrev_b32_e32 v4, 16, v4
	v_perm_b32 v14, v2, v2, 0x7060405
	v_cmp_lt_u16_sdwa vcc_lo, v7, v2 src0_sel:BYTE_0 src1_sel:BYTE_0
	v_and_or_b32 v5, 0xffff, v3, v5
	v_and_or_b32 v4, 0xffff, v1, v4
	v_cndmask_b32_e32 v2, v2, v14, vcc_lo
	v_cndmask_b32_e64 v3, v3, v5, s8
	v_cndmask_b32_e64 v1, v1, v4, s8
	v_cndmask_b32_e32 v0, v0, v13, vcc_lo
	v_and_b32_sdwa v4, v2, v6 dst_sel:DWORD dst_unused:UNUSED_PAD src0_sel:WORD_1 src1_sel:DWORD
	v_and_b32_sdwa v7, v3, v6 dst_sel:DWORD dst_unused:UNUSED_PAD src0_sel:WORD_1 src1_sel:DWORD
	v_lshrrev_b32_e32 v12, 8, v3
	v_perm_b32 v13, v2, v2, 0x6070504
	v_perm_b32 v14, v3, v3, 0x7050604
	v_cmp_lt_u16_sdwa vcc_lo, v2, v4 src0_sel:BYTE_3 src1_sel:DWORD
	v_perm_b32 v5, v0, v0, 0x6070504
	v_cmp_lt_u16_sdwa s8, v7, v12 src0_sel:DWORD src1_sel:BYTE_0
	v_perm_b32 v4, v1, v1, 0x7050604
	v_cndmask_b32_e32 v2, v2, v13, vcc_lo
	v_cndmask_b32_e32 v0, v0, v5, vcc_lo
	v_cndmask_b32_e64 v3, v3, v14, s8
	v_cndmask_b32_e64 v1, v1, v4, s8
	v_lshlrev_b16 v5, 8, v2
	v_lshlrev_b16 v4, 8, v0
	v_and_b32_sdwa v12, v3, v6 dst_sel:DWORD dst_unused:UNUSED_PAD src0_sel:WORD_1 src1_sel:DWORD
	v_and_b32_sdwa v7, v1, v6 dst_sel:DWORD dst_unused:UNUSED_PAD src0_sel:WORD_1 src1_sel:DWORD
	v_cmp_lt_u16_sdwa vcc_lo, v2, v3 src0_sel:BYTE_0 src1_sel:BYTE_3
	v_or_b32_sdwa v5, v12, v5 dst_sel:WORD_1 dst_unused:UNUSED_PAD src0_sel:DWORD src1_sel:DWORD
	v_or_b32_sdwa v4, v7, v4 dst_sel:WORD_1 dst_unused:UNUSED_PAD src0_sel:DWORD src1_sel:DWORD
	v_and_or_b32 v5, 0xffff, v3, v5
	v_and_or_b32 v4, 0xffff, v1, v4
	v_cndmask_b32_e32 v5, v3, v5, vcc_lo
	v_cndmask_b32_e32 v4, v1, v4, vcc_lo
	v_perm_b32 v3, v3, v2, 0x3020107
	v_perm_b32 v1, v1, v0, 0x3020107
	;; [unrolled: 1-line block ×3, first 2 shown]
	v_lshrrev_b32_e32 v13, 8, v5
	v_perm_b32 v7, 0, v4, 0xc0c0001
	v_cndmask_b32_e32 v2, v2, v3, vcc_lo
	v_cndmask_b32_e32 v0, v0, v1, vcc_lo
	v_and_or_b32 v3, 0xffff0000, v5, v12
	v_cmp_lt_u16_sdwa vcc_lo, v13, v5 src0_sel:BYTE_0 src1_sel:BYTE_0
	v_and_or_b32 v1, 0xffff0000, v4, v7
	v_and_b32_sdwa v7, v2, v6 dst_sel:DWORD dst_unused:UNUSED_PAD src0_sel:WORD_1 src1_sel:DWORD
	v_lshrrev_b32_e32 v12, 8, v2
	v_cndmask_b32_e32 v3, v5, v3, vcc_lo
	v_cndmask_b32_e32 v1, v4, v1, vcc_lo
	v_perm_b32 v4, v2, v2, 0x7050604
	v_perm_b32 v5, v0, v0, 0x7050604
	v_cmp_lt_u16_sdwa vcc_lo, v7, v12 src0_sel:DWORD src1_sel:BYTE_0
	v_lshrrev_b32_e32 v12, 16, v3
	v_lshrrev_b32_e32 v7, 16, v1
	v_cndmask_b32_e32 v0, v0, v5, vcc_lo
	v_cndmask_b32_e32 v2, v2, v4, vcc_lo
	v_perm_b32 v5, 0, v12, 0xc0c0001
	v_perm_b32 v4, 0, v7, 0xc0c0001
	v_cmp_lt_u16_sdwa s8, v3, v12 src0_sel:BYTE_3 src1_sel:BYTE_0
	v_perm_b32 v13, v0, v0, 0x7060405
	v_lshrrev_b32_e32 v7, 8, v2
	v_lshlrev_b32_e32 v5, 16, v5
	v_lshlrev_b32_e32 v4, 16, v4
	v_perm_b32 v14, v2, v2, 0x7060405
	v_cmp_lt_u16_sdwa vcc_lo, v7, v2 src0_sel:BYTE_0 src1_sel:BYTE_0
	v_and_or_b32 v5, 0xffff, v3, v5
	v_and_or_b32 v4, 0xffff, v1, v4
	v_cndmask_b32_e32 v2, v2, v14, vcc_lo
	v_cndmask_b32_e64 v3, v3, v5, s8
	v_cndmask_b32_e32 v0, v0, v13, vcc_lo
	v_cndmask_b32_e64 v1, v1, v4, s8
	v_and_b32_sdwa v5, v2, v6 dst_sel:DWORD dst_unused:UNUSED_PAD src0_sel:WORD_1 src1_sel:DWORD
	v_and_b32_sdwa v7, v3, v6 dst_sel:DWORD dst_unused:UNUSED_PAD src0_sel:WORD_1 src1_sel:DWORD
	v_lshrrev_b32_e32 v12, 8, v3
	v_perm_b32 v4, v0, v0, 0x6070504
	v_perm_b32 v13, v1, v1, 0x7050604
	v_cmp_lt_u16_sdwa vcc_lo, v2, v5 src0_sel:BYTE_3 src1_sel:DWORD
	v_perm_b32 v5, v3, v3, 0x7050604
	v_cmp_lt_u16_sdwa s8, v7, v12 src0_sel:DWORD src1_sel:BYTE_0
	v_cndmask_b32_e32 v0, v0, v4, vcc_lo
	v_perm_b32 v4, v2, v2, 0x6070504
	v_cndmask_b32_e64 v1, v1, v13, s8
	v_cndmask_b32_e64 v5, v3, v5, s8
	v_lshlrev_b16 v7, 8, v0
	v_cndmask_b32_e32 v2, v2, v4, vcc_lo
	v_and_b32_sdwa v12, v1, v6 dst_sel:DWORD dst_unused:UNUSED_PAD src0_sel:WORD_1 src1_sel:DWORD
	v_lshlrev_b16 v4, 8, v2
	v_or_b32_sdwa v3, v12, v7 dst_sel:WORD_1 dst_unused:UNUSED_PAD src0_sel:DWORD src1_sel:DWORD
	v_and_b32_sdwa v7, v5, v6 dst_sel:DWORD dst_unused:UNUSED_PAD src0_sel:WORD_1 src1_sel:DWORD
	v_perm_b32 v12, v5, v2, 0x3020107
	v_cmp_lt_u16_sdwa vcc_lo, v2, v5 src0_sel:BYTE_0 src1_sel:BYTE_3
	v_and_or_b32 v3, 0xffff, v1, v3
	v_or_b32_sdwa v7, v7, v4 dst_sel:WORD_1 dst_unused:UNUSED_PAD src0_sel:DWORD src1_sel:DWORD
	v_cndmask_b32_e32 v4, v1, v3, vcc_lo
	v_cndmask_b32_e32 v3, v2, v12, vcc_lo
	v_and_or_b32 v2, 0xffff, v5, v7
	v_perm_b32 v1, v1, v0, 0x3020107
	v_and_b32_sdwa v6, v3, v6 dst_sel:DWORD dst_unused:UNUSED_PAD src0_sel:WORD_1 src1_sel:DWORD
	v_lshrrev_b32_e32 v7, 8, v3
	v_cndmask_b32_e32 v5, v5, v2, vcc_lo
	v_cndmask_b32_e32 v1, v0, v1, vcc_lo
	v_perm_b32 v0, v4, v4, 0x3020104
	v_cmp_lt_u16_sdwa s10, v6, v7 src0_sel:DWORD src1_sel:BYTE_0
	v_perm_b32 v2, v5, v5, 0x3020104
	s_and_saveexec_b32 s8, s10
; %bb.20:
	v_perm_b32 v1, v1, v1, 0x7050604
	v_perm_b32 v3, v3, v3, 0x7050604
	;; [unrolled: 1-line block ×4, first 2 shown]
; %bb.21:
	s_or_b32 exec_lo, exec_lo, s8
.LBB143_22:
	s_or_b32 exec_lo, exec_lo, s9
	v_and_b32_e32 v4, 0xf0, v8
	v_and_b32_e32 v12, 8, v8
	v_mad_u32_u24 v15, 0x201, v11, v8
	s_mov_b32 s9, 0
	s_mov_b32 s8, exec_lo
	v_min_i32_e32 v7, v10, v4
	v_min_i32_e32 v12, v10, v12
	; wave barrier
	ds_write_b64 v15, v[2:3]
	v_add_nc_u32_e32 v4, 8, v7
	; wave barrier
	v_min_i32_e32 v6, v10, v4
	v_add_nc_u32_e32 v4, 8, v6
	v_sub_nc_u32_e32 v14, v6, v7
	v_min_i32_e32 v5, v10, v4
	v_min_i32_e32 v14, v12, v14
	v_sub_nc_u32_e32 v4, v5, v6
	v_sub_nc_u32_e32 v13, v12, v4
	v_cmp_ge_i32_e32 vcc_lo, v12, v4
	v_mul_u32_u24_e32 v4, 0x201, v11
	v_cndmask_b32_e32 v13, 0, v13, vcc_lo
	v_cmpx_lt_i32_e64 v13, v14
	s_cbranch_execz .LBB143_26
; %bb.23:
	v_add_nc_u32_e32 v2, v4, v7
	v_add3_u32 v3, v4, v6, v12
	.p2align	6
.LBB143_24:                             ; =>This Inner Loop Header: Depth=1
	v_sub_nc_u32_e32 v11, v14, v13
	v_lshrrev_b32_e32 v11, 1, v11
	v_add_nc_u32_e32 v11, v11, v13
	v_add_nc_u32_e32 v15, v2, v11
	v_xad_u32 v16, v11, -1, v3
	v_add_nc_u32_e32 v17, 1, v11
	ds_read_u8 v15, v15
	ds_read_u8 v16, v16
	s_waitcnt lgkmcnt(0)
	v_cmp_lt_u16_e32 vcc_lo, v16, v15
	v_cndmask_b32_e32 v14, v14, v11, vcc_lo
	v_cndmask_b32_e32 v13, v17, v13, vcc_lo
	v_cmp_ge_i32_e32 vcc_lo, v13, v14
	s_or_b32 s9, vcc_lo, s9
	s_andn2_b32 exec_lo, exec_lo, s9
	s_cbranch_execnz .LBB143_24
; %bb.25:
	s_or_b32 exec_lo, exec_lo, s9
.LBB143_26:
	s_or_b32 exec_lo, exec_lo, s8
	v_add_nc_u32_e32 v3, v6, v12
	v_add_nc_u32_e32 v2, v13, v7
                                        ; implicit-def: $vgpr12
	v_sub_nc_u32_e32 v3, v3, v13
	v_add_nc_u32_e32 v13, v4, v2
	v_cmp_le_i32_e32 vcc_lo, v6, v2
	v_add_nc_u32_e32 v14, v4, v3
	v_cmp_gt_i32_e64 s8, v5, v3
	ds_read_u8 v7, v13
	ds_read_u8 v11, v14
	s_waitcnt lgkmcnt(0)
	v_cmp_lt_u16_sdwa s9, v11, v7 src0_sel:BYTE_0 src1_sel:BYTE_0
	s_or_b32 s9, vcc_lo, s9
	s_and_b32 s8, s8, s9
	s_xor_b32 s9, s8, -1
	s_and_saveexec_b32 s10, s9
	s_xor_b32 s9, exec_lo, s10
; %bb.27:
	ds_read_u8 v12, v13 offset:1
                                        ; implicit-def: $vgpr14
; %bb.28:
	s_or_saveexec_b32 s9, s9
	v_mov_b32_e32 v13, v11
	s_xor_b32 exec_lo, exec_lo, s9
	s_cbranch_execz .LBB143_30
; %bb.29:
	ds_read_u8 v13, v14 offset:1
	s_waitcnt lgkmcnt(1)
	v_mov_b32_e32 v12, v7
.LBB143_30:
	s_or_b32 exec_lo, exec_lo, s9
	v_add_nc_u32_e32 v14, 1, v2
	v_add_nc_u32_e32 v15, 1, v3
	s_waitcnt lgkmcnt(0)
	v_cmp_lt_u16_sdwa s10, v13, v12 src0_sel:BYTE_0 src1_sel:BYTE_0
                                        ; implicit-def: $vgpr16
	v_cndmask_b32_e64 v14, v14, v2, s8
	v_cndmask_b32_e64 v15, v3, v15, s8
	v_cmp_ge_i32_e32 vcc_lo, v14, v6
	v_cmp_lt_i32_e64 s9, v15, v5
	s_or_b32 s10, vcc_lo, s10
	s_and_b32 s9, s9, s10
	s_xor_b32 s10, s9, -1
	s_and_saveexec_b32 s11, s10
	s_xor_b32 s10, exec_lo, s11
; %bb.31:
	v_add_nc_u32_e32 v16, v4, v14
	ds_read_u8 v16, v16 offset:1
; %bb.32:
	s_or_saveexec_b32 s10, s10
	v_mov_b32_e32 v17, v13
	s_xor_b32 exec_lo, exec_lo, s10
	s_cbranch_execz .LBB143_34
; %bb.33:
	s_waitcnt lgkmcnt(0)
	v_add_nc_u32_e32 v16, v4, v15
	ds_read_u8 v17, v16 offset:1
	v_mov_b32_e32 v16, v12
.LBB143_34:
	s_or_b32 exec_lo, exec_lo, s10
	v_add_nc_u32_e32 v18, 1, v14
	v_add_nc_u32_e32 v19, 1, v15
	s_waitcnt lgkmcnt(0)
	v_cmp_lt_u16_sdwa s11, v17, v16 src0_sel:BYTE_0 src1_sel:BYTE_0
                                        ; implicit-def: $vgpr20
	v_cndmask_b32_e64 v18, v18, v14, s9
	v_cndmask_b32_e64 v19, v15, v19, s9
	v_cmp_ge_i32_e32 vcc_lo, v18, v6
	v_cmp_lt_i32_e64 s10, v19, v5
	s_or_b32 s11, vcc_lo, s11
	s_and_b32 s10, s10, s11
	s_xor_b32 s11, s10, -1
	s_and_saveexec_b32 s12, s11
	s_xor_b32 s11, exec_lo, s12
; %bb.35:
	v_add_nc_u32_e32 v20, v4, v18
	ds_read_u8 v20, v20 offset:1
; %bb.36:
	s_or_saveexec_b32 s11, s11
	v_mov_b32_e32 v21, v17
	s_xor_b32 exec_lo, exec_lo, s11
	s_cbranch_execz .LBB143_38
; %bb.37:
	s_waitcnt lgkmcnt(0)
	v_add_nc_u32_e32 v20, v4, v19
	ds_read_u8 v21, v20 offset:1
	v_mov_b32_e32 v20, v16
.LBB143_38:
	s_or_b32 exec_lo, exec_lo, s11
	v_add_nc_u32_e32 v22, 1, v18
	v_add_nc_u32_e32 v23, 1, v19
	s_waitcnt lgkmcnt(0)
	v_cmp_lt_u16_sdwa s12, v21, v20 src0_sel:BYTE_0 src1_sel:BYTE_0
                                        ; implicit-def: $vgpr24
	v_cndmask_b32_e64 v22, v22, v18, s10
	v_cndmask_b32_e64 v23, v19, v23, s10
	v_cmp_ge_i32_e32 vcc_lo, v22, v6
	v_cmp_lt_i32_e64 s11, v23, v5
	s_or_b32 s12, vcc_lo, s12
	s_and_b32 s11, s11, s12
	s_xor_b32 s12, s11, -1
	s_and_saveexec_b32 s13, s12
	s_xor_b32 s12, exec_lo, s13
; %bb.39:
	v_add_nc_u32_e32 v24, v4, v22
	ds_read_u8 v24, v24 offset:1
; %bb.40:
	s_or_saveexec_b32 s12, s12
	v_mov_b32_e32 v25, v21
	s_xor_b32 exec_lo, exec_lo, s12
	s_cbranch_execz .LBB143_42
; %bb.41:
	s_waitcnt lgkmcnt(0)
	v_add_nc_u32_e32 v24, v4, v23
	ds_read_u8 v25, v24 offset:1
	v_mov_b32_e32 v24, v20
.LBB143_42:
	s_or_b32 exec_lo, exec_lo, s12
	v_add_nc_u32_e32 v26, 1, v22
	v_add_nc_u32_e32 v27, 1, v23
	s_waitcnt lgkmcnt(0)
	v_cmp_lt_u16_sdwa s13, v25, v24 src0_sel:BYTE_0 src1_sel:BYTE_0
                                        ; implicit-def: $vgpr28
	v_cndmask_b32_e64 v26, v26, v22, s11
	v_cndmask_b32_e64 v27, v23, v27, s11
	v_cmp_ge_i32_e32 vcc_lo, v26, v6
	v_cmp_lt_i32_e64 s12, v27, v5
	s_or_b32 s13, vcc_lo, s13
	s_and_b32 s12, s12, s13
	s_xor_b32 s13, s12, -1
	s_and_saveexec_b32 s14, s13
	s_xor_b32 s13, exec_lo, s14
; %bb.43:
	v_add_nc_u32_e32 v28, v4, v26
	ds_read_u8 v28, v28 offset:1
; %bb.44:
	s_or_saveexec_b32 s13, s13
	v_mov_b32_e32 v29, v25
	s_xor_b32 exec_lo, exec_lo, s13
	s_cbranch_execz .LBB143_46
; %bb.45:
	s_waitcnt lgkmcnt(0)
	v_add_nc_u32_e32 v28, v4, v27
	ds_read_u8 v29, v28 offset:1
	v_mov_b32_e32 v28, v24
.LBB143_46:
	s_or_b32 exec_lo, exec_lo, s13
	v_add_nc_u32_e32 v30, 1, v26
	v_add_nc_u32_e32 v32, 1, v27
	s_waitcnt lgkmcnt(0)
	v_cmp_lt_u16_sdwa s14, v29, v28 src0_sel:BYTE_0 src1_sel:BYTE_0
                                        ; implicit-def: $vgpr34
	v_cndmask_b32_e64 v31, v30, v26, s12
	v_cndmask_b32_e64 v32, v27, v32, s12
	v_cmp_ge_i32_e32 vcc_lo, v31, v6
	v_cmp_lt_i32_e64 s13, v32, v5
	s_or_b32 s14, vcc_lo, s14
	s_and_b32 vcc_lo, s13, s14
	s_xor_b32 s13, vcc_lo, -1
	s_and_saveexec_b32 s14, s13
	s_xor_b32 s13, exec_lo, s14
; %bb.47:
	v_add_nc_u32_e32 v30, v4, v31
	ds_read_u8 v34, v30 offset:1
; %bb.48:
	s_or_saveexec_b32 s13, s13
	v_mov_b32_e32 v35, v29
	s_xor_b32 exec_lo, exec_lo, s13
	s_cbranch_execz .LBB143_50
; %bb.49:
	v_add_nc_u32_e32 v30, v4, v32
	s_waitcnt lgkmcnt(0)
	v_mov_b32_e32 v34, v28
	ds_read_u8 v35, v30 offset:1
.LBB143_50:
	s_or_b32 exec_lo, exec_lo, s13
	v_add_nc_u32_e32 v30, 1, v31
	v_add_nc_u32_e32 v33, 1, v32
	s_waitcnt lgkmcnt(0)
	v_cmp_lt_u16_sdwa s15, v35, v34 src0_sel:BYTE_0 src1_sel:BYTE_0
	v_cndmask_b32_e32 v36, v30, v31, vcc_lo
	v_cndmask_b32_e32 v37, v32, v33, vcc_lo
                                        ; implicit-def: $vgpr30
	v_cmp_ge_i32_e64 s13, v36, v6
	v_cmp_lt_i32_e64 s14, v37, v5
	s_or_b32 s13, s13, s15
	s_and_b32 s13, s14, s13
	s_xor_b32 s14, s13, -1
	s_and_saveexec_b32 s15, s14
	s_xor_b32 s14, exec_lo, s15
; %bb.51:
	v_add_nc_u32_e32 v30, v4, v36
	ds_read_u8 v30, v30 offset:1
; %bb.52:
	s_or_saveexec_b32 s14, s14
	v_mov_b32_e32 v33, v35
	s_xor_b32 exec_lo, exec_lo, s14
	s_cbranch_execz .LBB143_54
; %bb.53:
	s_waitcnt lgkmcnt(0)
	v_add_nc_u32_e32 v30, v4, v37
	ds_read_u8 v33, v30 offset:1
	v_mov_b32_e32 v30, v34
.LBB143_54:
	s_or_b32 exec_lo, exec_lo, s14
	v_add_nc_u32_e32 v38, 1, v37
	v_add_nc_u32_e32 v39, 1, v36
	v_cndmask_b32_e64 v34, v34, v35, s13
	v_cndmask_b32_sdwa v28, v28, v29, vcc_lo dst_sel:BYTE_1 dst_unused:UNUSED_PAD src0_sel:DWORD src1_sel:DWORD
	v_cndmask_b32_e32 v29, v31, v32, vcc_lo
	v_cndmask_b32_e64 v35, v37, v38, s13
	v_cndmask_b32_e64 v38, v39, v36, s13
	;; [unrolled: 1-line block ×4, first 2 shown]
	v_add_nc_u32_e32 v2, v4, v8
	v_cmp_ge_i32_e32 vcc_lo, v38, v6
	v_cndmask_b32_e64 v6, v14, v15, s9
	v_cmp_lt_i32_e64 s9, v35, v5
	v_and_b32_e32 v5, 0xe0, v8
	; wave barrier
	ds_write_b64 v2, v[0:1]
	v_cndmask_b32_e64 v17, v16, v17, s10
	v_cndmask_b32_e64 v16, v18, v19, s10
	v_min_i32_e32 v15, v10, v5
	s_waitcnt lgkmcnt(1)
	v_cmp_lt_u16_sdwa s10, v33, v30 src0_sel:BYTE_0 src1_sel:BYTE_0
	v_add_nc_u32_e32 v1, v4, v3
	v_add_nc_u32_e32 v3, v4, v6
	v_cndmask_b32_e64 v20, v20, v21, s11
	v_add_nc_u32_e32 v0, 16, v15
	s_or_b32 s10, vcc_lo, s10
	v_cndmask_b32_e64 v21, v22, v23, s11
	s_and_b32 vcc_lo, s9, s10
	v_cndmask_b32_e64 v24, v24, v25, s12
	v_min_i32_e32 v6, v10, v0
	v_cndmask_b32_e64 v25, v26, v27, s12
	v_cndmask_b32_e64 v36, v36, v37, s13
	v_cndmask_b32_e32 v5, v38, v35, vcc_lo
	v_cndmask_b32_e64 v18, v7, v11, s8
	v_add_nc_u32_e32 v0, 16, v6
	v_add_nc_u32_e32 v7, v4, v16
	;; [unrolled: 1-line block ×4, first 2 shown]
	; wave barrier
	v_add_nc_u32_e32 v16, v4, v29
	v_add_nc_u32_e32 v21, v4, v36
	;; [unrolled: 1-line block ×3, first 2 shown]
	v_lshlrev_b16 v23, 8, v12
	v_min_i32_e32 v14, v10, v0
	ds_read_u8 v0, v1
	ds_read_u8 v1, v3
	;; [unrolled: 1-line block ×8, first 2 shown]
	v_cndmask_b32_e32 v19, v30, v33, vcc_lo
	v_and_b32_e32 v25, 24, v8
	v_lshlrev_b16 v20, 8, v20
	v_sub_nc_u32_e32 v21, v14, v6
	v_or_b32_sdwa v18, v18, v23 dst_sel:DWORD dst_unused:UNUSED_PAD src0_sel:BYTE_0 src1_sel:DWORD
	v_lshlrev_b16 v19, 8, v19
	v_min_i32_e32 v16, v10, v25
	v_or_b32_sdwa v17, v17, v20 dst_sel:WORD_1 dst_unused:UNUSED_PAD src0_sel:BYTE_0 src1_sel:DWORD
	v_or_b32_sdwa v20, v24, v28 dst_sel:DWORD dst_unused:UNUSED_PAD src0_sel:BYTE_0 src1_sel:DWORD
	v_sub_nc_u32_e32 v23, v6, v15
	v_or_b32_sdwa v24, v34, v19 dst_sel:WORD_1 dst_unused:UNUSED_PAD src0_sel:BYTE_0 src1_sel:DWORD
	v_sub_nc_u32_e32 v22, v16, v21
	v_cmp_ge_i32_e32 vcc_lo, v16, v21
	v_or_b32_sdwa v19, v18, v17 dst_sel:DWORD dst_unused:UNUSED_PAD src0_sel:WORD_0 src1_sel:DWORD
	v_min_i32_e32 v18, v16, v23
	v_or_b32_sdwa v20, v20, v24 dst_sel:DWORD dst_unused:UNUSED_PAD src0_sel:WORD_0 src1_sel:DWORD
	s_mov_b32 s9, 0
	v_cndmask_b32_e32 v17, 0, v22, vcc_lo
	s_mov_b32 s8, exec_lo
	; wave barrier
	ds_write_b64 v2, v[19:20]
	; wave barrier
	v_cmpx_lt_i32_e64 v17, v18
	s_cbranch_execz .LBB143_58
; %bb.55:
	v_add_nc_u32_e32 v19, v4, v15
	v_add3_u32 v20, v4, v6, v16
	.p2align	6
.LBB143_56:                             ; =>This Inner Loop Header: Depth=1
	v_sub_nc_u32_e32 v21, v18, v17
	v_lshrrev_b32_e32 v21, 1, v21
	v_add_nc_u32_e32 v21, v21, v17
	v_add_nc_u32_e32 v22, v19, v21
	v_xad_u32 v23, v21, -1, v20
	v_add_nc_u32_e32 v24, 1, v21
	ds_read_u8 v22, v22
	ds_read_u8 v23, v23
	s_waitcnt lgkmcnt(0)
	v_cmp_lt_u16_e32 vcc_lo, v23, v22
	v_cndmask_b32_e32 v18, v18, v21, vcc_lo
	v_cndmask_b32_e32 v17, v24, v17, vcc_lo
	v_cmp_ge_i32_e32 vcc_lo, v17, v18
	s_or_b32 s9, vcc_lo, s9
	s_andn2_b32 exec_lo, exec_lo, s9
	s_cbranch_execnz .LBB143_56
; %bb.57:
	s_or_b32 exec_lo, exec_lo, s9
.LBB143_58:
	s_or_b32 exec_lo, exec_lo, s8
	v_add_nc_u32_e32 v16, v6, v16
	v_add_nc_u32_e32 v15, v17, v15
                                        ; implicit-def: $vgpr19
	v_sub_nc_u32_e32 v16, v16, v17
	v_add_nc_u32_e32 v20, v4, v15
	v_cmp_le_i32_e32 vcc_lo, v6, v15
	v_add_nc_u32_e32 v21, v4, v16
	v_cmp_gt_i32_e64 s8, v14, v16
	ds_read_u8 v17, v20
	ds_read_u8 v18, v21
	s_waitcnt lgkmcnt(0)
	v_cmp_lt_u16_sdwa s9, v18, v17 src0_sel:BYTE_0 src1_sel:BYTE_0
	s_or_b32 s9, vcc_lo, s9
	s_and_b32 s8, s8, s9
	s_xor_b32 s9, s8, -1
	s_and_saveexec_b32 s10, s9
	s_xor_b32 s9, exec_lo, s10
; %bb.59:
	ds_read_u8 v19, v20 offset:1
                                        ; implicit-def: $vgpr21
; %bb.60:
	s_or_saveexec_b32 s9, s9
	v_mov_b32_e32 v20, v18
	s_xor_b32 exec_lo, exec_lo, s9
	s_cbranch_execz .LBB143_62
; %bb.61:
	ds_read_u8 v20, v21 offset:1
	s_waitcnt lgkmcnt(1)
	v_mov_b32_e32 v19, v17
.LBB143_62:
	s_or_b32 exec_lo, exec_lo, s9
	v_add_nc_u32_e32 v21, 1, v15
	v_add_nc_u32_e32 v22, 1, v16
	s_waitcnt lgkmcnt(0)
	v_cmp_lt_u16_sdwa s10, v20, v19 src0_sel:BYTE_0 src1_sel:BYTE_0
                                        ; implicit-def: $vgpr23
	v_cndmask_b32_e64 v21, v21, v15, s8
	v_cndmask_b32_e64 v22, v16, v22, s8
	v_cmp_ge_i32_e32 vcc_lo, v21, v6
	v_cmp_lt_i32_e64 s9, v22, v14
	s_or_b32 s10, vcc_lo, s10
	s_and_b32 s9, s9, s10
	s_xor_b32 s10, s9, -1
	s_and_saveexec_b32 s11, s10
	s_xor_b32 s10, exec_lo, s11
; %bb.63:
	v_add_nc_u32_e32 v23, v4, v21
	ds_read_u8 v23, v23 offset:1
; %bb.64:
	s_or_saveexec_b32 s10, s10
	v_mov_b32_e32 v24, v20
	s_xor_b32 exec_lo, exec_lo, s10
	s_cbranch_execz .LBB143_66
; %bb.65:
	s_waitcnt lgkmcnt(0)
	v_add_nc_u32_e32 v23, v4, v22
	ds_read_u8 v24, v23 offset:1
	v_mov_b32_e32 v23, v19
.LBB143_66:
	s_or_b32 exec_lo, exec_lo, s10
	v_add_nc_u32_e32 v25, 1, v21
	v_add_nc_u32_e32 v26, 1, v22
	s_waitcnt lgkmcnt(0)
	v_cmp_lt_u16_sdwa s11, v24, v23 src0_sel:BYTE_0 src1_sel:BYTE_0
                                        ; implicit-def: $vgpr27
	v_cndmask_b32_e64 v25, v25, v21, s9
	v_cndmask_b32_e64 v26, v22, v26, s9
	v_cmp_ge_i32_e32 vcc_lo, v25, v6
	v_cmp_lt_i32_e64 s10, v26, v14
	s_or_b32 s11, vcc_lo, s11
	s_and_b32 s10, s10, s11
	s_xor_b32 s11, s10, -1
	s_and_saveexec_b32 s12, s11
	s_xor_b32 s11, exec_lo, s12
; %bb.67:
	v_add_nc_u32_e32 v27, v4, v25
	ds_read_u8 v27, v27 offset:1
; %bb.68:
	s_or_saveexec_b32 s11, s11
	v_mov_b32_e32 v28, v24
	s_xor_b32 exec_lo, exec_lo, s11
	s_cbranch_execz .LBB143_70
; %bb.69:
	s_waitcnt lgkmcnt(0)
	v_add_nc_u32_e32 v27, v4, v26
	ds_read_u8 v28, v27 offset:1
	v_mov_b32_e32 v27, v23
.LBB143_70:
	s_or_b32 exec_lo, exec_lo, s11
	v_add_nc_u32_e32 v29, 1, v25
	v_add_nc_u32_e32 v30, 1, v26
	s_waitcnt lgkmcnt(0)
	v_cmp_lt_u16_sdwa s12, v28, v27 src0_sel:BYTE_0 src1_sel:BYTE_0
                                        ; implicit-def: $vgpr31
	v_cndmask_b32_e64 v29, v29, v25, s10
	v_cndmask_b32_e64 v30, v26, v30, s10
	v_cmp_ge_i32_e32 vcc_lo, v29, v6
	v_cmp_lt_i32_e64 s11, v30, v14
	s_or_b32 s12, vcc_lo, s12
	s_and_b32 s11, s11, s12
	s_xor_b32 s12, s11, -1
	s_and_saveexec_b32 s13, s12
	s_xor_b32 s12, exec_lo, s13
; %bb.71:
	v_add_nc_u32_e32 v31, v4, v29
	ds_read_u8 v31, v31 offset:1
; %bb.72:
	s_or_saveexec_b32 s12, s12
	v_mov_b32_e32 v32, v28
	s_xor_b32 exec_lo, exec_lo, s12
	s_cbranch_execz .LBB143_74
; %bb.73:
	s_waitcnt lgkmcnt(0)
	v_add_nc_u32_e32 v31, v4, v30
	ds_read_u8 v32, v31 offset:1
	v_mov_b32_e32 v31, v27
.LBB143_74:
	s_or_b32 exec_lo, exec_lo, s12
	v_add_nc_u32_e32 v33, 1, v29
	v_add_nc_u32_e32 v34, 1, v30
	s_waitcnt lgkmcnt(0)
	v_cmp_lt_u16_sdwa s13, v32, v31 src0_sel:BYTE_0 src1_sel:BYTE_0
                                        ; implicit-def: $vgpr35
	v_cndmask_b32_e64 v33, v33, v29, s11
	v_cndmask_b32_e64 v34, v30, v34, s11
	v_cmp_ge_i32_e32 vcc_lo, v33, v6
	v_cmp_lt_i32_e64 s12, v34, v14
	s_or_b32 s13, vcc_lo, s13
	s_and_b32 s12, s12, s13
	s_xor_b32 s13, s12, -1
	s_and_saveexec_b32 s14, s13
	s_xor_b32 s13, exec_lo, s14
; %bb.75:
	v_add_nc_u32_e32 v35, v4, v33
	ds_read_u8 v35, v35 offset:1
; %bb.76:
	s_or_saveexec_b32 s13, s13
	v_mov_b32_e32 v37, v32
	s_xor_b32 exec_lo, exec_lo, s13
	s_cbranch_execz .LBB143_78
; %bb.77:
	s_waitcnt lgkmcnt(0)
	v_add_nc_u32_e32 v35, v4, v34
	ds_read_u8 v37, v35 offset:1
	v_mov_b32_e32 v35, v31
.LBB143_78:
	s_or_b32 exec_lo, exec_lo, s13
	v_add_nc_u32_e32 v36, 1, v33
	v_add_nc_u32_e32 v38, 1, v34
	s_waitcnt lgkmcnt(0)
	v_cmp_lt_u16_sdwa s14, v37, v35 src0_sel:BYTE_0 src1_sel:BYTE_0
                                        ; implicit-def: $vgpr41
	v_cndmask_b32_e64 v39, v36, v33, s12
	v_cndmask_b32_e64 v40, v34, v38, s12
	v_cmp_ge_i32_e32 vcc_lo, v39, v6
	v_cmp_lt_i32_e64 s13, v40, v14
	s_or_b32 s14, vcc_lo, s14
	s_and_b32 vcc_lo, s13, s14
	s_xor_b32 s13, vcc_lo, -1
	s_and_saveexec_b32 s14, s13
	s_xor_b32 s13, exec_lo, s14
; %bb.79:
	v_add_nc_u32_e32 v36, v4, v39
	ds_read_u8 v41, v36 offset:1
; %bb.80:
	s_or_saveexec_b32 s13, s13
	v_mov_b32_e32 v42, v37
	s_xor_b32 exec_lo, exec_lo, s13
	s_cbranch_execz .LBB143_82
; %bb.81:
	v_add_nc_u32_e32 v36, v4, v40
	s_waitcnt lgkmcnt(0)
	v_mov_b32_e32 v41, v35
	ds_read_u8 v42, v36 offset:1
.LBB143_82:
	s_or_b32 exec_lo, exec_lo, s13
	v_add_nc_u32_e32 v36, 1, v39
	v_add_nc_u32_e32 v38, 1, v40
	s_waitcnt lgkmcnt(0)
	v_cmp_lt_u16_sdwa s15, v42, v41 src0_sel:BYTE_0 src1_sel:BYTE_0
	v_cndmask_b32_e32 v43, v36, v39, vcc_lo
	v_cndmask_b32_e32 v44, v40, v38, vcc_lo
                                        ; implicit-def: $vgpr36
	v_cmp_ge_i32_e64 s13, v43, v6
	v_cmp_lt_i32_e64 s14, v44, v14
	s_or_b32 s13, s13, s15
	s_and_b32 s13, s14, s13
	s_xor_b32 s14, s13, -1
	s_and_saveexec_b32 s15, s14
	s_xor_b32 s14, exec_lo, s15
; %bb.83:
	v_add_nc_u32_e32 v36, v4, v43
	ds_read_u8 v36, v36 offset:1
; %bb.84:
	s_or_saveexec_b32 s14, s14
	v_mov_b32_e32 v38, v42
	s_xor_b32 exec_lo, exec_lo, s14
	s_cbranch_execz .LBB143_86
; %bb.85:
	s_waitcnt lgkmcnt(0)
	v_add_nc_u32_e32 v36, v4, v44
	ds_read_u8 v38, v36 offset:1
	v_mov_b32_e32 v36, v41
.LBB143_86:
	s_or_b32 exec_lo, exec_lo, s14
	v_add_nc_u32_e32 v45, 1, v44
	v_add_nc_u32_e32 v46, 1, v43
	v_perm_b32 v7, v7, v11, 0xc0c0004
	v_perm_b32 v11, v12, v13, 0xc0c0004
	;; [unrolled: 1-line block ×4, first 2 shown]
	v_and_b32_e32 v5, 0xc0, v8
	v_cndmask_b32_e64 v41, v41, v42, s13
	v_cndmask_b32_e64 v42, v44, v45, s13
	v_cndmask_b32_e64 v45, v46, v43, s13
	v_cndmask_b32_e64 v16, v15, v16, s8
	v_lshl_or_b32 v1, v11, 16, v7
	v_lshl_or_b32 v0, v3, 16, v0
	v_min_i32_e32 v15, v10, v5
	v_cndmask_b32_sdwa v35, v35, v37, vcc_lo dst_sel:BYTE_1 dst_unused:UNUSED_PAD src0_sel:DWORD src1_sel:DWORD
	v_cndmask_b32_e32 v37, v39, v40, vcc_lo
	v_cmp_ge_i32_e32 vcc_lo, v45, v6
	v_cndmask_b32_e64 v6, v21, v22, s9
	; wave barrier
	ds_write_b64 v2, v[0:1]
	v_add_nc_u32_e32 v0, 32, v15
	v_cndmask_b32_e64 v23, v23, v24, s10
	v_cndmask_b32_e64 v24, v25, v26, s10
	s_waitcnt lgkmcnt(1)
	v_cmp_lt_u16_sdwa s10, v38, v36 src0_sel:BYTE_0 src1_sel:BYTE_0
	v_cndmask_b32_e64 v17, v17, v18, s8
	v_cmp_lt_i32_e64 s8, v42, v14
	v_add_nc_u32_e32 v5, v4, v6
	v_min_i32_e32 v6, v10, v0
	v_cndmask_b32_e64 v19, v19, v20, s9
	s_or_b32 s9, vcc_lo, s10
	v_cndmask_b32_e64 v27, v27, v28, s11
	v_cndmask_b32_e64 v28, v29, v30, s11
	s_and_b32 vcc_lo, s8, s9
	v_cndmask_b32_e64 v31, v31, v32, s12
	v_cndmask_b32_e64 v32, v33, v34, s12
	;; [unrolled: 1-line block ×3, first 2 shown]
	v_cndmask_b32_e32 v3, v45, v42, vcc_lo
	v_add_nc_u32_e32 v1, v4, v16
	v_add_nc_u32_e32 v0, 32, v6
	;; [unrolled: 1-line block ×6, first 2 shown]
	; wave barrier
	v_add_nc_u32_e32 v16, v4, v43
	v_add_nc_u32_e32 v20, v4, v3
	v_min_i32_e32 v14, v10, v0
	ds_read_u8 v0, v1
	ds_read_u8 v1, v5
	;; [unrolled: 1-line block ×8, first 2 shown]
	v_cndmask_b32_e32 v18, v36, v38, vcc_lo
	v_and_b32_e32 v21, 56, v8
	v_lshlrev_b16 v19, 8, v19
	v_lshlrev_b16 v20, 8, v27
	s_mov_b32 s9, 0
	v_lshlrev_b16 v18, 8, v18
	v_min_i32_e32 v16, v10, v21
	v_sub_nc_u32_e32 v21, v14, v6
	v_or_b32_sdwa v17, v17, v19 dst_sel:DWORD dst_unused:UNUSED_PAD src0_sel:BYTE_0 src1_sel:DWORD
	v_or_b32_sdwa v19, v23, v20 dst_sel:WORD_1 dst_unused:UNUSED_PAD src0_sel:BYTE_0 src1_sel:DWORD
	v_or_b32_sdwa v20, v31, v35 dst_sel:DWORD dst_unused:UNUSED_PAD src0_sel:BYTE_0 src1_sel:DWORD
	v_sub_nc_u32_e32 v23, v6, v15
	v_sub_nc_u32_e32 v22, v16, v21
	v_or_b32_sdwa v24, v41, v18 dst_sel:WORD_1 dst_unused:UNUSED_PAD src0_sel:BYTE_0 src1_sel:DWORD
	v_cmp_ge_i32_e32 vcc_lo, v16, v21
	v_or_b32_sdwa v19, v17, v19 dst_sel:DWORD dst_unused:UNUSED_PAD src0_sel:WORD_0 src1_sel:DWORD
	v_min_i32_e32 v18, v16, v23
	s_mov_b32 s8, exec_lo
	v_or_b32_sdwa v20, v20, v24 dst_sel:DWORD dst_unused:UNUSED_PAD src0_sel:WORD_0 src1_sel:DWORD
	v_cndmask_b32_e32 v17, 0, v22, vcc_lo
	; wave barrier
	ds_write_b64 v2, v[19:20]
	; wave barrier
	v_cmpx_lt_i32_e64 v17, v18
	s_cbranch_execz .LBB143_90
; %bb.87:
	v_add_nc_u32_e32 v19, v4, v15
	v_add3_u32 v20, v4, v6, v16
	.p2align	6
.LBB143_88:                             ; =>This Inner Loop Header: Depth=1
	v_sub_nc_u32_e32 v21, v18, v17
	v_lshrrev_b32_e32 v21, 1, v21
	v_add_nc_u32_e32 v21, v21, v17
	v_add_nc_u32_e32 v22, v19, v21
	v_xad_u32 v23, v21, -1, v20
	v_add_nc_u32_e32 v24, 1, v21
	ds_read_u8 v22, v22
	ds_read_u8 v23, v23
	s_waitcnt lgkmcnt(0)
	v_cmp_lt_u16_e32 vcc_lo, v23, v22
	v_cndmask_b32_e32 v18, v18, v21, vcc_lo
	v_cndmask_b32_e32 v17, v24, v17, vcc_lo
	v_cmp_ge_i32_e32 vcc_lo, v17, v18
	s_or_b32 s9, vcc_lo, s9
	s_andn2_b32 exec_lo, exec_lo, s9
	s_cbranch_execnz .LBB143_88
; %bb.89:
	s_or_b32 exec_lo, exec_lo, s9
.LBB143_90:
	s_or_b32 exec_lo, exec_lo, s8
	v_add_nc_u32_e32 v16, v6, v16
	v_add_nc_u32_e32 v15, v17, v15
                                        ; implicit-def: $vgpr19
	v_sub_nc_u32_e32 v16, v16, v17
	v_add_nc_u32_e32 v20, v4, v15
	v_cmp_le_i32_e32 vcc_lo, v6, v15
	v_add_nc_u32_e32 v21, v4, v16
	v_cmp_gt_i32_e64 s8, v14, v16
	ds_read_u8 v17, v20
	ds_read_u8 v18, v21
	s_waitcnt lgkmcnt(0)
	v_cmp_lt_u16_sdwa s9, v18, v17 src0_sel:BYTE_0 src1_sel:BYTE_0
	s_or_b32 s9, vcc_lo, s9
	s_and_b32 s8, s8, s9
	s_xor_b32 s9, s8, -1
	s_and_saveexec_b32 s10, s9
	s_xor_b32 s9, exec_lo, s10
; %bb.91:
	ds_read_u8 v19, v20 offset:1
                                        ; implicit-def: $vgpr21
; %bb.92:
	s_or_saveexec_b32 s9, s9
	v_mov_b32_e32 v20, v18
	s_xor_b32 exec_lo, exec_lo, s9
	s_cbranch_execz .LBB143_94
; %bb.93:
	ds_read_u8 v20, v21 offset:1
	s_waitcnt lgkmcnt(1)
	v_mov_b32_e32 v19, v17
.LBB143_94:
	s_or_b32 exec_lo, exec_lo, s9
	v_add_nc_u32_e32 v21, 1, v15
	v_add_nc_u32_e32 v22, 1, v16
	s_waitcnt lgkmcnt(0)
	v_cmp_lt_u16_sdwa s10, v20, v19 src0_sel:BYTE_0 src1_sel:BYTE_0
                                        ; implicit-def: $vgpr23
	v_cndmask_b32_e64 v21, v21, v15, s8
	v_cndmask_b32_e64 v22, v16, v22, s8
	v_cmp_ge_i32_e32 vcc_lo, v21, v6
	v_cmp_lt_i32_e64 s9, v22, v14
	s_or_b32 s10, vcc_lo, s10
	s_and_b32 s9, s9, s10
	s_xor_b32 s10, s9, -1
	s_and_saveexec_b32 s11, s10
	s_xor_b32 s10, exec_lo, s11
; %bb.95:
	v_add_nc_u32_e32 v23, v4, v21
	ds_read_u8 v23, v23 offset:1
; %bb.96:
	s_or_saveexec_b32 s10, s10
	v_mov_b32_e32 v24, v20
	s_xor_b32 exec_lo, exec_lo, s10
	s_cbranch_execz .LBB143_98
; %bb.97:
	s_waitcnt lgkmcnt(0)
	v_add_nc_u32_e32 v23, v4, v22
	ds_read_u8 v24, v23 offset:1
	v_mov_b32_e32 v23, v19
.LBB143_98:
	s_or_b32 exec_lo, exec_lo, s10
	v_add_nc_u32_e32 v25, 1, v21
	v_add_nc_u32_e32 v26, 1, v22
	s_waitcnt lgkmcnt(0)
	v_cmp_lt_u16_sdwa s11, v24, v23 src0_sel:BYTE_0 src1_sel:BYTE_0
                                        ; implicit-def: $vgpr27
	v_cndmask_b32_e64 v25, v25, v21, s9
	v_cndmask_b32_e64 v26, v22, v26, s9
	v_cmp_ge_i32_e32 vcc_lo, v25, v6
	v_cmp_lt_i32_e64 s10, v26, v14
	s_or_b32 s11, vcc_lo, s11
	s_and_b32 s10, s10, s11
	s_xor_b32 s11, s10, -1
	s_and_saveexec_b32 s12, s11
	s_xor_b32 s11, exec_lo, s12
; %bb.99:
	v_add_nc_u32_e32 v27, v4, v25
	ds_read_u8 v27, v27 offset:1
; %bb.100:
	s_or_saveexec_b32 s11, s11
	v_mov_b32_e32 v28, v24
	s_xor_b32 exec_lo, exec_lo, s11
	s_cbranch_execz .LBB143_102
; %bb.101:
	s_waitcnt lgkmcnt(0)
	v_add_nc_u32_e32 v27, v4, v26
	ds_read_u8 v28, v27 offset:1
	v_mov_b32_e32 v27, v23
.LBB143_102:
	s_or_b32 exec_lo, exec_lo, s11
	v_add_nc_u32_e32 v29, 1, v25
	v_add_nc_u32_e32 v30, 1, v26
	s_waitcnt lgkmcnt(0)
	v_cmp_lt_u16_sdwa s12, v28, v27 src0_sel:BYTE_0 src1_sel:BYTE_0
                                        ; implicit-def: $vgpr31
	v_cndmask_b32_e64 v29, v29, v25, s10
	v_cndmask_b32_e64 v30, v26, v30, s10
	v_cmp_ge_i32_e32 vcc_lo, v29, v6
	v_cmp_lt_i32_e64 s11, v30, v14
	s_or_b32 s12, vcc_lo, s12
	s_and_b32 s11, s11, s12
	s_xor_b32 s12, s11, -1
	s_and_saveexec_b32 s13, s12
	s_xor_b32 s12, exec_lo, s13
; %bb.103:
	v_add_nc_u32_e32 v31, v4, v29
	ds_read_u8 v31, v31 offset:1
; %bb.104:
	s_or_saveexec_b32 s12, s12
	v_mov_b32_e32 v32, v28
	s_xor_b32 exec_lo, exec_lo, s12
	s_cbranch_execz .LBB143_106
; %bb.105:
	s_waitcnt lgkmcnt(0)
	v_add_nc_u32_e32 v31, v4, v30
	ds_read_u8 v32, v31 offset:1
	v_mov_b32_e32 v31, v27
.LBB143_106:
	s_or_b32 exec_lo, exec_lo, s12
	v_add_nc_u32_e32 v33, 1, v29
	v_add_nc_u32_e32 v34, 1, v30
	s_waitcnt lgkmcnt(0)
	v_cmp_lt_u16_sdwa s13, v32, v31 src0_sel:BYTE_0 src1_sel:BYTE_0
                                        ; implicit-def: $vgpr35
	v_cndmask_b32_e64 v33, v33, v29, s11
	v_cndmask_b32_e64 v34, v30, v34, s11
	v_cmp_ge_i32_e32 vcc_lo, v33, v6
	v_cmp_lt_i32_e64 s12, v34, v14
	s_or_b32 s13, vcc_lo, s13
	s_and_b32 s12, s12, s13
	s_xor_b32 s13, s12, -1
	s_and_saveexec_b32 s14, s13
	s_xor_b32 s13, exec_lo, s14
; %bb.107:
	v_add_nc_u32_e32 v35, v4, v33
	ds_read_u8 v35, v35 offset:1
; %bb.108:
	s_or_saveexec_b32 s13, s13
	v_mov_b32_e32 v37, v32
	s_xor_b32 exec_lo, exec_lo, s13
	s_cbranch_execz .LBB143_110
; %bb.109:
	s_waitcnt lgkmcnt(0)
	v_add_nc_u32_e32 v35, v4, v34
	ds_read_u8 v37, v35 offset:1
	v_mov_b32_e32 v35, v31
.LBB143_110:
	s_or_b32 exec_lo, exec_lo, s13
	v_add_nc_u32_e32 v36, 1, v33
	v_add_nc_u32_e32 v38, 1, v34
	s_waitcnt lgkmcnt(0)
	v_cmp_lt_u16_sdwa s14, v37, v35 src0_sel:BYTE_0 src1_sel:BYTE_0
                                        ; implicit-def: $vgpr41
	v_cndmask_b32_e64 v39, v36, v33, s12
	v_cndmask_b32_e64 v40, v34, v38, s12
	v_cmp_ge_i32_e32 vcc_lo, v39, v6
	v_cmp_lt_i32_e64 s13, v40, v14
	s_or_b32 s14, vcc_lo, s14
	s_and_b32 vcc_lo, s13, s14
	s_xor_b32 s13, vcc_lo, -1
	s_and_saveexec_b32 s14, s13
	s_xor_b32 s13, exec_lo, s14
; %bb.111:
	v_add_nc_u32_e32 v36, v4, v39
	ds_read_u8 v41, v36 offset:1
; %bb.112:
	s_or_saveexec_b32 s13, s13
	v_mov_b32_e32 v42, v37
	s_xor_b32 exec_lo, exec_lo, s13
	s_cbranch_execz .LBB143_114
; %bb.113:
	v_add_nc_u32_e32 v36, v4, v40
	s_waitcnt lgkmcnt(0)
	v_mov_b32_e32 v41, v35
	ds_read_u8 v42, v36 offset:1
.LBB143_114:
	s_or_b32 exec_lo, exec_lo, s13
	v_add_nc_u32_e32 v36, 1, v39
	v_add_nc_u32_e32 v38, 1, v40
	s_waitcnt lgkmcnt(0)
	v_cmp_lt_u16_sdwa s15, v42, v41 src0_sel:BYTE_0 src1_sel:BYTE_0
	v_cndmask_b32_e32 v43, v36, v39, vcc_lo
	v_cndmask_b32_e32 v44, v40, v38, vcc_lo
                                        ; implicit-def: $vgpr36
	v_cmp_ge_i32_e64 s13, v43, v6
	v_cmp_lt_i32_e64 s14, v44, v14
	s_or_b32 s13, s13, s15
	s_and_b32 s13, s14, s13
	s_xor_b32 s14, s13, -1
	s_and_saveexec_b32 s15, s14
	s_xor_b32 s14, exec_lo, s15
; %bb.115:
	v_add_nc_u32_e32 v36, v4, v43
	ds_read_u8 v36, v36 offset:1
; %bb.116:
	s_or_saveexec_b32 s14, s14
	v_mov_b32_e32 v38, v42
	s_xor_b32 exec_lo, exec_lo, s14
	s_cbranch_execz .LBB143_118
; %bb.117:
	s_waitcnt lgkmcnt(0)
	v_add_nc_u32_e32 v36, v4, v44
	ds_read_u8 v38, v36 offset:1
	v_mov_b32_e32 v36, v41
.LBB143_118:
	s_or_b32 exec_lo, exec_lo, s14
	v_add_nc_u32_e32 v45, 1, v44
	v_add_nc_u32_e32 v46, 1, v43
	v_perm_b32 v7, v7, v11, 0xc0c0004
	v_perm_b32 v11, v12, v13, 0xc0c0004
	v_perm_b32 v0, v0, v1, 0xc0c0004
	v_perm_b32 v3, v3, v5, 0xc0c0004
	v_and_b32_e32 v5, 0x80, v8
	v_cndmask_b32_e64 v41, v41, v42, s13
	v_cndmask_b32_e64 v42, v44, v45, s13
	;; [unrolled: 1-line block ×4, first 2 shown]
	v_lshl_or_b32 v1, v11, 16, v7
	v_lshl_or_b32 v0, v3, 16, v0
	v_min_i32_e32 v15, v10, v5
	v_cndmask_b32_sdwa v35, v35, v37, vcc_lo dst_sel:BYTE_1 dst_unused:UNUSED_PAD src0_sel:DWORD src1_sel:DWORD
	v_cndmask_b32_e32 v37, v39, v40, vcc_lo
	v_cmp_ge_i32_e32 vcc_lo, v45, v6
	v_cndmask_b32_e64 v6, v21, v22, s9
	; wave barrier
	ds_write_b64 v2, v[0:1]
	v_add_nc_u32_e32 v0, 64, v15
	v_cndmask_b32_e64 v23, v23, v24, s10
	v_cndmask_b32_e64 v24, v25, v26, s10
	s_waitcnt lgkmcnt(1)
	v_cmp_lt_u16_sdwa s10, v38, v36 src0_sel:BYTE_0 src1_sel:BYTE_0
	v_cndmask_b32_e64 v17, v17, v18, s8
	v_cmp_lt_i32_e64 s8, v42, v14
	v_add_nc_u32_e32 v5, v4, v6
	v_min_i32_e32 v6, v10, v0
	v_cndmask_b32_e64 v19, v19, v20, s9
	s_or_b32 s9, vcc_lo, s10
	v_cndmask_b32_e64 v27, v27, v28, s11
	v_cndmask_b32_e64 v28, v29, v30, s11
	s_and_b32 vcc_lo, s8, s9
	v_cndmask_b32_e64 v31, v31, v32, s12
	v_cndmask_b32_e64 v32, v33, v34, s12
	;; [unrolled: 1-line block ×3, first 2 shown]
	v_cndmask_b32_e32 v3, v45, v42, vcc_lo
	v_add_nc_u32_e32 v1, v4, v16
	v_add_nc_u32_e32 v0, 64, v6
	;; [unrolled: 1-line block ×6, first 2 shown]
	; wave barrier
	v_add_nc_u32_e32 v16, v4, v43
	v_add_nc_u32_e32 v20, v4, v3
	v_min_i32_e32 v14, v10, v0
	ds_read_u8 v0, v1
	ds_read_u8 v1, v5
	;; [unrolled: 1-line block ×8, first 2 shown]
	v_cndmask_b32_e32 v18, v36, v38, vcc_lo
	v_and_b32_e32 v21, 0x78, v8
	v_lshlrev_b16 v19, 8, v19
	v_lshlrev_b16 v20, 8, v27
	s_mov_b32 s9, 0
	v_lshlrev_b16 v18, 8, v18
	v_min_i32_e32 v16, v10, v21
	v_sub_nc_u32_e32 v21, v14, v6
	v_or_b32_sdwa v17, v17, v19 dst_sel:DWORD dst_unused:UNUSED_PAD src0_sel:BYTE_0 src1_sel:DWORD
	v_or_b32_sdwa v19, v23, v20 dst_sel:WORD_1 dst_unused:UNUSED_PAD src0_sel:BYTE_0 src1_sel:DWORD
	v_or_b32_sdwa v20, v31, v35 dst_sel:DWORD dst_unused:UNUSED_PAD src0_sel:BYTE_0 src1_sel:DWORD
	v_sub_nc_u32_e32 v23, v6, v15
	v_sub_nc_u32_e32 v22, v16, v21
	v_or_b32_sdwa v24, v41, v18 dst_sel:WORD_1 dst_unused:UNUSED_PAD src0_sel:BYTE_0 src1_sel:DWORD
	v_cmp_ge_i32_e32 vcc_lo, v16, v21
	v_or_b32_sdwa v19, v17, v19 dst_sel:DWORD dst_unused:UNUSED_PAD src0_sel:WORD_0 src1_sel:DWORD
	v_min_i32_e32 v18, v16, v23
	s_mov_b32 s8, exec_lo
	v_or_b32_sdwa v20, v20, v24 dst_sel:DWORD dst_unused:UNUSED_PAD src0_sel:WORD_0 src1_sel:DWORD
	v_cndmask_b32_e32 v17, 0, v22, vcc_lo
	; wave barrier
	ds_write_b64 v2, v[19:20]
	; wave barrier
	v_cmpx_lt_i32_e64 v17, v18
	s_cbranch_execz .LBB143_122
; %bb.119:
	v_add_nc_u32_e32 v19, v4, v15
	v_add3_u32 v20, v4, v6, v16
	.p2align	6
.LBB143_120:                            ; =>This Inner Loop Header: Depth=1
	v_sub_nc_u32_e32 v21, v18, v17
	v_lshrrev_b32_e32 v21, 1, v21
	v_add_nc_u32_e32 v21, v21, v17
	v_add_nc_u32_e32 v22, v19, v21
	v_xad_u32 v23, v21, -1, v20
	v_add_nc_u32_e32 v24, 1, v21
	ds_read_u8 v22, v22
	ds_read_u8 v23, v23
	s_waitcnt lgkmcnt(0)
	v_cmp_lt_u16_e32 vcc_lo, v23, v22
	v_cndmask_b32_e32 v18, v18, v21, vcc_lo
	v_cndmask_b32_e32 v17, v24, v17, vcc_lo
	v_cmp_ge_i32_e32 vcc_lo, v17, v18
	s_or_b32 s9, vcc_lo, s9
	s_andn2_b32 exec_lo, exec_lo, s9
	s_cbranch_execnz .LBB143_120
; %bb.121:
	s_or_b32 exec_lo, exec_lo, s9
.LBB143_122:
	s_or_b32 exec_lo, exec_lo, s8
	v_add_nc_u32_e32 v16, v6, v16
	v_add_nc_u32_e32 v15, v17, v15
                                        ; implicit-def: $vgpr19
	v_sub_nc_u32_e32 v16, v16, v17
	v_add_nc_u32_e32 v20, v4, v15
	v_cmp_le_i32_e32 vcc_lo, v6, v15
	v_add_nc_u32_e32 v21, v4, v16
	v_cmp_gt_i32_e64 s8, v14, v16
	ds_read_u8 v17, v20
	ds_read_u8 v18, v21
	s_waitcnt lgkmcnt(0)
	v_cmp_lt_u16_sdwa s9, v18, v17 src0_sel:BYTE_0 src1_sel:BYTE_0
	s_or_b32 s9, vcc_lo, s9
	s_and_b32 s8, s8, s9
	s_xor_b32 s9, s8, -1
	s_and_saveexec_b32 s10, s9
	s_xor_b32 s9, exec_lo, s10
; %bb.123:
	ds_read_u8 v19, v20 offset:1
                                        ; implicit-def: $vgpr21
; %bb.124:
	s_or_saveexec_b32 s9, s9
	v_mov_b32_e32 v20, v18
	s_xor_b32 exec_lo, exec_lo, s9
	s_cbranch_execz .LBB143_126
; %bb.125:
	ds_read_u8 v20, v21 offset:1
	s_waitcnt lgkmcnt(1)
	v_mov_b32_e32 v19, v17
.LBB143_126:
	s_or_b32 exec_lo, exec_lo, s9
	v_add_nc_u32_e32 v21, 1, v15
	v_add_nc_u32_e32 v22, 1, v16
	s_waitcnt lgkmcnt(0)
	v_cmp_lt_u16_sdwa s10, v20, v19 src0_sel:BYTE_0 src1_sel:BYTE_0
                                        ; implicit-def: $vgpr23
	v_cndmask_b32_e64 v21, v21, v15, s8
	v_cndmask_b32_e64 v22, v16, v22, s8
	v_cmp_ge_i32_e32 vcc_lo, v21, v6
	v_cmp_lt_i32_e64 s9, v22, v14
	s_or_b32 s10, vcc_lo, s10
	s_and_b32 s9, s9, s10
	s_xor_b32 s10, s9, -1
	s_and_saveexec_b32 s11, s10
	s_xor_b32 s10, exec_lo, s11
; %bb.127:
	v_add_nc_u32_e32 v23, v4, v21
	ds_read_u8 v23, v23 offset:1
; %bb.128:
	s_or_saveexec_b32 s10, s10
	v_mov_b32_e32 v24, v20
	s_xor_b32 exec_lo, exec_lo, s10
	s_cbranch_execz .LBB143_130
; %bb.129:
	s_waitcnt lgkmcnt(0)
	v_add_nc_u32_e32 v23, v4, v22
	ds_read_u8 v24, v23 offset:1
	v_mov_b32_e32 v23, v19
.LBB143_130:
	s_or_b32 exec_lo, exec_lo, s10
	v_add_nc_u32_e32 v25, 1, v21
	v_add_nc_u32_e32 v26, 1, v22
	s_waitcnt lgkmcnt(0)
	v_cmp_lt_u16_sdwa s11, v24, v23 src0_sel:BYTE_0 src1_sel:BYTE_0
                                        ; implicit-def: $vgpr27
	v_cndmask_b32_e64 v25, v25, v21, s9
	v_cndmask_b32_e64 v26, v22, v26, s9
	v_cmp_ge_i32_e32 vcc_lo, v25, v6
	v_cmp_lt_i32_e64 s10, v26, v14
	s_or_b32 s11, vcc_lo, s11
	s_and_b32 s10, s10, s11
	s_xor_b32 s11, s10, -1
	s_and_saveexec_b32 s12, s11
	s_xor_b32 s11, exec_lo, s12
; %bb.131:
	v_add_nc_u32_e32 v27, v4, v25
	ds_read_u8 v27, v27 offset:1
; %bb.132:
	s_or_saveexec_b32 s11, s11
	v_mov_b32_e32 v28, v24
	s_xor_b32 exec_lo, exec_lo, s11
	s_cbranch_execz .LBB143_134
; %bb.133:
	s_waitcnt lgkmcnt(0)
	v_add_nc_u32_e32 v27, v4, v26
	ds_read_u8 v28, v27 offset:1
	v_mov_b32_e32 v27, v23
.LBB143_134:
	s_or_b32 exec_lo, exec_lo, s11
	v_add_nc_u32_e32 v29, 1, v25
	v_add_nc_u32_e32 v30, 1, v26
	s_waitcnt lgkmcnt(0)
	v_cmp_lt_u16_sdwa s12, v28, v27 src0_sel:BYTE_0 src1_sel:BYTE_0
                                        ; implicit-def: $vgpr31
	v_cndmask_b32_e64 v29, v29, v25, s10
	v_cndmask_b32_e64 v30, v26, v30, s10
	v_cmp_ge_i32_e32 vcc_lo, v29, v6
	v_cmp_lt_i32_e64 s11, v30, v14
	s_or_b32 s12, vcc_lo, s12
	s_and_b32 s11, s11, s12
	s_xor_b32 s12, s11, -1
	s_and_saveexec_b32 s13, s12
	s_xor_b32 s12, exec_lo, s13
; %bb.135:
	v_add_nc_u32_e32 v31, v4, v29
	ds_read_u8 v31, v31 offset:1
; %bb.136:
	s_or_saveexec_b32 s12, s12
	v_mov_b32_e32 v32, v28
	s_xor_b32 exec_lo, exec_lo, s12
	s_cbranch_execz .LBB143_138
; %bb.137:
	s_waitcnt lgkmcnt(0)
	v_add_nc_u32_e32 v31, v4, v30
	ds_read_u8 v32, v31 offset:1
	v_mov_b32_e32 v31, v27
.LBB143_138:
	s_or_b32 exec_lo, exec_lo, s12
	v_add_nc_u32_e32 v33, 1, v29
	v_add_nc_u32_e32 v34, 1, v30
	s_waitcnt lgkmcnt(0)
	v_cmp_lt_u16_sdwa s13, v32, v31 src0_sel:BYTE_0 src1_sel:BYTE_0
                                        ; implicit-def: $vgpr35
	v_cndmask_b32_e64 v33, v33, v29, s11
	v_cndmask_b32_e64 v34, v30, v34, s11
	v_cmp_ge_i32_e32 vcc_lo, v33, v6
	v_cmp_lt_i32_e64 s12, v34, v14
	s_or_b32 s13, vcc_lo, s13
	s_and_b32 s12, s12, s13
	s_xor_b32 s13, s12, -1
	s_and_saveexec_b32 s14, s13
	s_xor_b32 s13, exec_lo, s14
; %bb.139:
	v_add_nc_u32_e32 v35, v4, v33
	ds_read_u8 v35, v35 offset:1
; %bb.140:
	s_or_saveexec_b32 s13, s13
	v_mov_b32_e32 v36, v32
	s_xor_b32 exec_lo, exec_lo, s13
	s_cbranch_execz .LBB143_142
; %bb.141:
	s_waitcnt lgkmcnt(0)
	v_add_nc_u32_e32 v35, v4, v34
	ds_read_u8 v36, v35 offset:1
	v_mov_b32_e32 v35, v31
.LBB143_142:
	s_or_b32 exec_lo, exec_lo, s13
	v_add_nc_u32_e32 v37, 1, v33
	v_add_nc_u32_e32 v38, 1, v34
	s_waitcnt lgkmcnt(0)
	v_cmp_lt_u16_sdwa s14, v36, v35 src0_sel:BYTE_0 src1_sel:BYTE_0
                                        ; implicit-def: $vgpr39
	v_cndmask_b32_e64 v37, v37, v33, s12
	v_cndmask_b32_e64 v38, v34, v38, s12
	v_cmp_ge_i32_e32 vcc_lo, v37, v6
	v_cmp_lt_i32_e64 s13, v38, v14
	s_or_b32 s14, vcc_lo, s14
	s_and_b32 vcc_lo, s13, s14
	s_xor_b32 s13, vcc_lo, -1
	s_and_saveexec_b32 s14, s13
	s_xor_b32 s13, exec_lo, s14
; %bb.143:
	v_add_nc_u32_e32 v39, v4, v37
	ds_read_u8 v39, v39 offset:1
; %bb.144:
	s_or_saveexec_b32 s13, s13
	v_mov_b32_e32 v41, v36
	s_xor_b32 exec_lo, exec_lo, s13
	s_cbranch_execz .LBB143_146
; %bb.145:
	s_waitcnt lgkmcnt(0)
	v_add_nc_u32_e32 v39, v4, v38
	ds_read_u8 v41, v39 offset:1
	v_mov_b32_e32 v39, v35
.LBB143_146:
	s_or_b32 exec_lo, exec_lo, s13
	v_add_nc_u32_e32 v40, 1, v37
	v_add_nc_u32_e32 v42, 1, v38
	s_waitcnt lgkmcnt(0)
	v_cmp_lt_u16_sdwa s15, v41, v39 src0_sel:BYTE_0 src1_sel:BYTE_0
	v_cndmask_b32_e32 v43, v40, v37, vcc_lo
	v_cndmask_b32_e32 v44, v38, v42, vcc_lo
                                        ; implicit-def: $vgpr40
	v_cmp_ge_i32_e64 s13, v43, v6
	v_cmp_lt_i32_e64 s14, v44, v14
	s_or_b32 s13, s13, s15
	s_and_b32 s13, s14, s13
	s_xor_b32 s14, s13, -1
	s_and_saveexec_b32 s15, s14
	s_xor_b32 s14, exec_lo, s15
; %bb.147:
	v_add_nc_u32_e32 v40, v4, v43
	ds_read_u8 v40, v40 offset:1
; %bb.148:
	s_or_saveexec_b32 s14, s14
	v_mov_b32_e32 v42, v41
	s_xor_b32 exec_lo, exec_lo, s14
	s_cbranch_execz .LBB143_150
; %bb.149:
	s_waitcnt lgkmcnt(0)
	v_add_nc_u32_e32 v40, v4, v44
	ds_read_u8 v42, v40 offset:1
	v_mov_b32_e32 v40, v39
.LBB143_150:
	s_or_b32 exec_lo, exec_lo, s14
	v_add_nc_u32_e32 v45, 1, v44
	v_add_nc_u32_e32 v46, 1, v43
	v_cndmask_b32_e64 v39, v39, v41, s13
	v_cndmask_b32_sdwa v35, v35, v36, vcc_lo dst_sel:BYTE_1 dst_unused:UNUSED_PAD src0_sel:DWORD src1_sel:DWORD
	v_cndmask_b32_e32 v36, v37, v38, vcc_lo
	v_cndmask_b32_e64 v41, v44, v45, s13
	v_cndmask_b32_e64 v45, v46, v43, s13
	v_perm_b32 v0, v0, v1, 0xc0c0004
	v_perm_b32 v1, v3, v5, 0xc0c0004
	v_cndmask_b32_e64 v23, v23, v24, s10
	v_cndmask_b32_e64 v24, v25, v26, s10
	v_cmp_ge_i32_e32 vcc_lo, v45, v6
	v_perm_b32 v6, v7, v11, 0xc0c0004
	v_perm_b32 v7, v12, v13, 0xc0c0004
	s_waitcnt lgkmcnt(0)
	v_cmp_lt_u16_sdwa s10, v42, v40 src0_sel:BYTE_0 src1_sel:BYTE_0
	v_lshl_or_b32 v5, v1, 16, v0
	v_min_i32_e32 v0, 0, v10
	v_cndmask_b32_e64 v19, v19, v20, s9
	v_lshl_or_b32 v6, v7, 16, v6
	v_cndmask_b32_e64 v20, v21, v22, s9
	v_cmp_lt_i32_e64 s9, v41, v14
	v_cndmask_b32_e64 v3, v15, v16, s8
	s_or_b32 s10, vcc_lo, s10
	; wave barrier
	ds_write_b64 v2, v[5:6]
	v_add_nc_u32_e32 v5, 0x80, v0
	v_cndmask_b32_e64 v27, v27, v28, s11
	v_cndmask_b32_e64 v28, v29, v30, s11
	s_and_b32 vcc_lo, s9, s10
	v_cndmask_b32_e64 v43, v43, v44, s13
	v_cndmask_b32_e64 v31, v31, v32, s12
	;; [unrolled: 1-line block ×3, first 2 shown]
	v_cndmask_b32_e32 v1, v45, v41, vcc_lo
	v_add_nc_u32_e32 v6, v4, v3
	v_add_nc_u32_e32 v7, v4, v20
	v_min_i32_e32 v11, v10, v5
	v_add_nc_u32_e32 v12, v4, v24
	v_add_nc_u32_e32 v13, v4, v28
	;; [unrolled: 1-line block ×5, first 2 shown]
	; wave barrier
	v_add_nc_u32_e32 v1, v4, v1
	ds_read_u8 v5, v6
	ds_read_u8 v6, v7
	;; [unrolled: 1-line block ×8, first 2 shown]
	v_add_nc_u32_e32 v3, 0x80, v11
	v_cndmask_b32_e64 v17, v17, v18, s8
	v_cndmask_b32_e32 v18, v40, v42, vcc_lo
	v_and_b32_e32 v20, 0xf8, v8
	v_lshlrev_b16 v19, 8, v19
	v_min_i32_e32 v3, v10, v3
	v_lshlrev_b16 v21, 8, v27
	v_lshlrev_b16 v18, 8, v18
	v_min_i32_e32 v1, v10, v20
	v_or_b32_sdwa v17, v17, v19 dst_sel:DWORD dst_unused:UNUSED_PAD src0_sel:BYTE_0 src1_sel:DWORD
	v_sub_nc_u32_e32 v20, v3, v11
	v_or_b32_sdwa v19, v23, v21 dst_sel:WORD_1 dst_unused:UNUSED_PAD src0_sel:BYTE_0 src1_sel:DWORD
	v_or_b32_sdwa v21, v31, v35 dst_sel:DWORD dst_unused:UNUSED_PAD src0_sel:BYTE_0 src1_sel:DWORD
	v_sub_nc_u32_e32 v23, v11, v0
	v_or_b32_sdwa v24, v39, v18 dst_sel:WORD_1 dst_unused:UNUSED_PAD src0_sel:BYTE_0 src1_sel:DWORD
	v_sub_nc_u32_e32 v22, v1, v20
	v_cmp_ge_i32_e32 vcc_lo, v1, v20
	v_or_b32_sdwa v19, v17, v19 dst_sel:DWORD dst_unused:UNUSED_PAD src0_sel:WORD_0 src1_sel:DWORD
	v_min_i32_e32 v17, v1, v23
	v_or_b32_sdwa v20, v21, v24 dst_sel:DWORD dst_unused:UNUSED_PAD src0_sel:WORD_0 src1_sel:DWORD
	s_mov_b32 s9, 0
	v_cndmask_b32_e32 v18, 0, v22, vcc_lo
	s_mov_b32 s8, exec_lo
	; wave barrier
	ds_write_b64 v2, v[19:20]
	; wave barrier
	v_cmpx_lt_i32_e64 v18, v17
	s_cbranch_execz .LBB143_154
; %bb.151:
	v_add_nc_u32_e32 v19, v4, v0
	v_add3_u32 v20, v4, v11, v1
	.p2align	6
.LBB143_152:                            ; =>This Inner Loop Header: Depth=1
	v_sub_nc_u32_e32 v21, v17, v18
	v_lshrrev_b32_e32 v21, 1, v21
	v_add_nc_u32_e32 v21, v21, v18
	v_add_nc_u32_e32 v22, v19, v21
	v_xad_u32 v23, v21, -1, v20
	v_add_nc_u32_e32 v24, 1, v21
	ds_read_u8 v22, v22
	ds_read_u8 v23, v23
	s_waitcnt lgkmcnt(0)
	v_cmp_lt_u16_e32 vcc_lo, v23, v22
	v_cndmask_b32_e32 v17, v17, v21, vcc_lo
	v_cndmask_b32_e32 v18, v24, v18, vcc_lo
	v_cmp_ge_i32_e32 vcc_lo, v18, v17
	s_or_b32 s9, vcc_lo, s9
	s_andn2_b32 exec_lo, exec_lo, s9
	s_cbranch_execnz .LBB143_152
; %bb.153:
	s_or_b32 exec_lo, exec_lo, s9
.LBB143_154:
	s_or_b32 exec_lo, exec_lo, s8
	v_add_nc_u32_e32 v19, v11, v1
	v_add_nc_u32_e32 v17, v18, v0
                                        ; implicit-def: $vgpr21
	v_sub_nc_u32_e32 v18, v19, v18
	v_add_nc_u32_e32 v22, v4, v17
	v_cmp_le_i32_e32 vcc_lo, v11, v17
	v_add_nc_u32_e32 v23, v4, v18
	v_cmp_gt_i32_e64 s8, v3, v18
	ds_read_u8 v19, v22
	ds_read_u8 v20, v23
	s_waitcnt lgkmcnt(0)
	v_cmp_lt_u16_sdwa s9, v20, v19 src0_sel:BYTE_0 src1_sel:BYTE_0
	s_or_b32 s9, vcc_lo, s9
	s_and_b32 s8, s8, s9
	s_xor_b32 s9, s8, -1
	s_and_saveexec_b32 s10, s9
	s_xor_b32 s9, exec_lo, s10
; %bb.155:
	ds_read_u8 v21, v22 offset:1
                                        ; implicit-def: $vgpr23
; %bb.156:
	s_or_saveexec_b32 s9, s9
	v_mov_b32_e32 v22, v20
	s_xor_b32 exec_lo, exec_lo, s9
	s_cbranch_execz .LBB143_158
; %bb.157:
	ds_read_u8 v22, v23 offset:1
	s_waitcnt lgkmcnt(1)
	v_mov_b32_e32 v21, v19
.LBB143_158:
	s_or_b32 exec_lo, exec_lo, s9
	v_add_nc_u32_e32 v23, 1, v17
	v_add_nc_u32_e32 v24, 1, v18
	s_waitcnt lgkmcnt(0)
	v_cmp_lt_u16_sdwa s10, v22, v21 src0_sel:BYTE_0 src1_sel:BYTE_0
                                        ; implicit-def: $vgpr25
	v_cndmask_b32_e64 v23, v23, v17, s8
	v_cndmask_b32_e64 v24, v18, v24, s8
	v_cmp_ge_i32_e32 vcc_lo, v23, v11
	v_cmp_lt_i32_e64 s9, v24, v3
	s_or_b32 s10, vcc_lo, s10
	s_and_b32 s9, s9, s10
	s_xor_b32 s10, s9, -1
	s_and_saveexec_b32 s11, s10
	s_xor_b32 s10, exec_lo, s11
; %bb.159:
	v_add_nc_u32_e32 v25, v4, v23
	ds_read_u8 v25, v25 offset:1
; %bb.160:
	s_or_saveexec_b32 s10, s10
	v_mov_b32_e32 v26, v22
	s_xor_b32 exec_lo, exec_lo, s10
	s_cbranch_execz .LBB143_162
; %bb.161:
	s_waitcnt lgkmcnt(0)
	v_add_nc_u32_e32 v25, v4, v24
	ds_read_u8 v26, v25 offset:1
	v_mov_b32_e32 v25, v21
.LBB143_162:
	s_or_b32 exec_lo, exec_lo, s10
	v_add_nc_u32_e32 v27, 1, v23
	v_add_nc_u32_e32 v28, 1, v24
	s_waitcnt lgkmcnt(0)
	v_cmp_lt_u16_sdwa s11, v26, v25 src0_sel:BYTE_0 src1_sel:BYTE_0
                                        ; implicit-def: $vgpr29
	v_cndmask_b32_e64 v27, v27, v23, s9
	v_cndmask_b32_e64 v28, v24, v28, s9
	v_cmp_ge_i32_e32 vcc_lo, v27, v11
	v_cmp_lt_i32_e64 s10, v28, v3
	s_or_b32 s11, vcc_lo, s11
	s_and_b32 s10, s10, s11
	s_xor_b32 s11, s10, -1
	s_and_saveexec_b32 s12, s11
	s_xor_b32 s11, exec_lo, s12
; %bb.163:
	v_add_nc_u32_e32 v29, v4, v27
	ds_read_u8 v29, v29 offset:1
; %bb.164:
	s_or_saveexec_b32 s11, s11
	v_mov_b32_e32 v30, v26
	s_xor_b32 exec_lo, exec_lo, s11
	s_cbranch_execz .LBB143_166
; %bb.165:
	s_waitcnt lgkmcnt(0)
	v_add_nc_u32_e32 v29, v4, v28
	ds_read_u8 v30, v29 offset:1
	v_mov_b32_e32 v29, v25
.LBB143_166:
	s_or_b32 exec_lo, exec_lo, s11
	v_add_nc_u32_e32 v31, 1, v27
	v_add_nc_u32_e32 v32, 1, v28
	s_waitcnt lgkmcnt(0)
	v_cmp_lt_u16_sdwa s12, v30, v29 src0_sel:BYTE_0 src1_sel:BYTE_0
                                        ; implicit-def: $vgpr33
	v_cndmask_b32_e64 v31, v31, v27, s10
	v_cndmask_b32_e64 v32, v28, v32, s10
	v_cmp_ge_i32_e32 vcc_lo, v31, v11
	v_cmp_lt_i32_e64 s11, v32, v3
	s_or_b32 s12, vcc_lo, s12
	s_and_b32 s11, s11, s12
	s_xor_b32 s12, s11, -1
	s_and_saveexec_b32 s13, s12
	s_xor_b32 s12, exec_lo, s13
; %bb.167:
	v_add_nc_u32_e32 v33, v4, v31
	ds_read_u8 v33, v33 offset:1
; %bb.168:
	s_or_saveexec_b32 s12, s12
	v_mov_b32_e32 v34, v30
	s_xor_b32 exec_lo, exec_lo, s12
	s_cbranch_execz .LBB143_170
; %bb.169:
	s_waitcnt lgkmcnt(0)
	v_add_nc_u32_e32 v33, v4, v32
	ds_read_u8 v34, v33 offset:1
	v_mov_b32_e32 v33, v29
.LBB143_170:
	s_or_b32 exec_lo, exec_lo, s12
	v_add_nc_u32_e32 v35, 1, v31
	v_add_nc_u32_e32 v36, 1, v32
	s_waitcnt lgkmcnt(0)
	v_cmp_lt_u16_sdwa s13, v34, v33 src0_sel:BYTE_0 src1_sel:BYTE_0
                                        ; implicit-def: $vgpr37
	v_cndmask_b32_e64 v35, v35, v31, s11
	v_cndmask_b32_e64 v36, v32, v36, s11
	v_cmp_ge_i32_e32 vcc_lo, v35, v11
	v_cmp_lt_i32_e64 s12, v36, v3
	s_or_b32 s13, vcc_lo, s13
	s_and_b32 s12, s12, s13
	s_xor_b32 s13, s12, -1
	s_and_saveexec_b32 s14, s13
	s_xor_b32 s13, exec_lo, s14
; %bb.171:
	v_add_nc_u32_e32 v37, v4, v35
	ds_read_u8 v37, v37 offset:1
; %bb.172:
	s_or_saveexec_b32 s13, s13
	v_mov_b32_e32 v38, v34
	s_xor_b32 exec_lo, exec_lo, s13
	s_cbranch_execz .LBB143_174
; %bb.173:
	s_waitcnt lgkmcnt(0)
	v_add_nc_u32_e32 v37, v4, v36
	ds_read_u8 v38, v37 offset:1
	v_mov_b32_e32 v37, v33
.LBB143_174:
	s_or_b32 exec_lo, exec_lo, s13
	v_add_nc_u32_e32 v39, 1, v35
	v_add_nc_u32_e32 v40, 1, v36
	s_waitcnt lgkmcnt(0)
	v_cmp_lt_u16_sdwa s14, v38, v37 src0_sel:BYTE_0 src1_sel:BYTE_0
                                        ; implicit-def: $vgpr41
	v_cndmask_b32_e64 v39, v39, v35, s12
	v_cndmask_b32_e64 v40, v36, v40, s12
	v_cmp_ge_i32_e32 vcc_lo, v39, v11
	v_cmp_lt_i32_e64 s13, v40, v3
	s_or_b32 s14, vcc_lo, s14
	s_and_b32 vcc_lo, s13, s14
	s_xor_b32 s13, vcc_lo, -1
	s_and_saveexec_b32 s14, s13
	s_xor_b32 s13, exec_lo, s14
; %bb.175:
	v_add_nc_u32_e32 v41, v4, v39
	ds_read_u8 v41, v41 offset:1
; %bb.176:
	s_or_saveexec_b32 s13, s13
	v_mov_b32_e32 v43, v38
	s_xor_b32 exec_lo, exec_lo, s13
	s_cbranch_execz .LBB143_178
; %bb.177:
	s_waitcnt lgkmcnt(0)
	v_add_nc_u32_e32 v41, v4, v40
	ds_read_u8 v43, v41 offset:1
	v_mov_b32_e32 v41, v37
.LBB143_178:
	s_or_b32 exec_lo, exec_lo, s13
	v_add_nc_u32_e32 v42, 1, v39
	v_add_nc_u32_e32 v44, 1, v40
	s_waitcnt lgkmcnt(0)
	v_cmp_lt_u16_sdwa s15, v43, v41 src0_sel:BYTE_0 src1_sel:BYTE_0
	v_cndmask_b32_e32 v45, v42, v39, vcc_lo
	v_cndmask_b32_e32 v46, v40, v44, vcc_lo
                                        ; implicit-def: $vgpr42
	v_cmp_ge_i32_e64 s13, v45, v11
	v_cmp_lt_i32_e64 s14, v46, v3
	s_or_b32 s13, s13, s15
	s_and_b32 s13, s14, s13
	s_xor_b32 s14, s13, -1
	s_and_saveexec_b32 s15, s14
	s_xor_b32 s14, exec_lo, s15
; %bb.179:
	v_add_nc_u32_e32 v42, v4, v45
	ds_read_u8 v42, v42 offset:1
; %bb.180:
	s_or_saveexec_b32 s14, s14
	v_mov_b32_e32 v44, v43
	s_xor_b32 exec_lo, exec_lo, s14
	s_cbranch_execz .LBB143_182
; %bb.181:
	s_waitcnt lgkmcnt(0)
	v_add_nc_u32_e32 v42, v4, v46
	ds_read_u8 v44, v42 offset:1
	v_mov_b32_e32 v42, v41
.LBB143_182:
	s_or_b32 exec_lo, exec_lo, s14
	v_add_nc_u32_e32 v47, 1, v46
	v_add_nc_u32_e32 v48, 1, v45
	v_cndmask_b32_e64 v41, v41, v43, s13
	v_cndmask_b32_sdwa v37, v37, v38, vcc_lo dst_sel:BYTE_1 dst_unused:UNUSED_PAD src0_sel:DWORD src1_sel:DWORD
	v_cndmask_b32_e32 v38, v39, v40, vcc_lo
	v_cndmask_b32_e64 v43, v46, v47, s13
	v_cndmask_b32_e64 v47, v48, v45, s13
	v_perm_b32 v5, v5, v6, 0xc0c0004
	v_perm_b32 v7, v7, v12, 0xc0c0004
	; wave barrier
	v_cmp_ge_i32_e32 vcc_lo, v47, v11
	v_perm_b32 v11, v13, v14, 0xc0c0004
	v_perm_b32 v13, v15, v16, 0xc0c0004
	v_lshl_or_b32 v5, v7, 16, v5
	v_cndmask_b32_e64 v25, v25, v26, s10
	v_cndmask_b32_e64 v26, v27, v28, s10
	s_waitcnt lgkmcnt(0)
	v_cmp_lt_u16_sdwa s10, v44, v42 src0_sel:BYTE_0 src1_sel:BYTE_0
	v_lshl_or_b32 v6, v13, 16, v11
	v_cndmask_b32_e64 v21, v21, v22, s9
	v_cndmask_b32_e64 v22, v23, v24, s9
	v_cmp_lt_i32_e64 s9, v43, v3
	v_cndmask_b32_e64 v3, v17, v18, s8
	ds_write_b64 v2, v[5:6]
	v_add_nc_u32_e32 v5, 0x100, v0
	v_cndmask_b32_e64 v19, v19, v20, s8
	s_or_b32 s8, vcc_lo, s10
	v_cndmask_b32_e64 v29, v29, v30, s11
	v_cndmask_b32_e64 v30, v31, v32, s11
	v_min_i32_e32 v15, v10, v5
	s_and_b32 vcc_lo, s9, s8
	v_cndmask_b32_e64 v33, v33, v34, s12
	v_cndmask_b32_e64 v34, v35, v36, s12
	;; [unrolled: 1-line block ×3, first 2 shown]
	v_cndmask_b32_e32 v7, v47, v43, vcc_lo
	v_add_nc_u32_e32 v6, v4, v3
	v_add_nc_u32_e32 v3, 0x100, v15
	;; [unrolled: 1-line block ×6, first 2 shown]
	; wave barrier
	v_add_nc_u32_e32 v17, v4, v38
	v_add_nc_u32_e32 v18, v4, v45
	;; [unrolled: 1-line block ×3, first 2 shown]
	v_min_i32_e32 v3, v10, v3
	ds_read_u8 v5, v6
	ds_read_u8 v6, v11
	;; [unrolled: 1-line block ×8, first 2 shown]
	v_cndmask_b32_e32 v16, v42, v44, vcc_lo
	v_lshlrev_b16 v21, 8, v21
	v_lshlrev_b16 v22, 8, v29
	v_sub_nc_u32_e32 v17, v3, v15
	v_or_b32_sdwa v20, v33, v37 dst_sel:DWORD dst_unused:UNUSED_PAD src0_sel:BYTE_0 src1_sel:DWORD
	v_lshlrev_b16 v16, 8, v16
	v_or_b32_sdwa v18, v19, v21 dst_sel:DWORD dst_unused:UNUSED_PAD src0_sel:BYTE_0 src1_sel:DWORD
	v_or_b32_sdwa v19, v25, v22 dst_sel:WORD_1 dst_unused:UNUSED_PAD src0_sel:BYTE_0 src1_sel:DWORD
	v_sub_nc_u32_e32 v21, v1, v17
	v_sub_nc_u32_e32 v22, v15, v0
	v_or_b32_sdwa v23, v41, v16 dst_sel:WORD_1 dst_unused:UNUSED_PAD src0_sel:BYTE_0 src1_sel:DWORD
	v_cmp_ge_i32_e32 vcc_lo, v1, v17
	v_or_b32_sdwa v18, v18, v19 dst_sel:DWORD dst_unused:UNUSED_PAD src0_sel:WORD_0 src1_sel:DWORD
	s_mov_b32 s9, 0
	v_min_i32_e32 v17, v1, v22
	v_or_b32_sdwa v19, v20, v23 dst_sel:DWORD dst_unused:UNUSED_PAD src0_sel:WORD_0 src1_sel:DWORD
	v_cndmask_b32_e32 v16, 0, v21, vcc_lo
	s_mov_b32 s8, exec_lo
	; wave barrier
	ds_write_b64 v2, v[18:19]
	; wave barrier
	v_cmpx_lt_i32_e64 v16, v17
	s_cbranch_execz .LBB143_186
; %bb.183:
	v_add_nc_u32_e32 v18, v4, v0
	v_add3_u32 v19, v4, v15, v1
	.p2align	6
.LBB143_184:                            ; =>This Inner Loop Header: Depth=1
	v_sub_nc_u32_e32 v20, v17, v16
	v_lshrrev_b32_e32 v20, 1, v20
	v_add_nc_u32_e32 v20, v20, v16
	v_add_nc_u32_e32 v21, v18, v20
	v_xad_u32 v22, v20, -1, v19
	v_add_nc_u32_e32 v23, 1, v20
	ds_read_u8 v21, v21
	ds_read_u8 v22, v22
	s_waitcnt lgkmcnt(0)
	v_cmp_lt_u16_e32 vcc_lo, v22, v21
	v_cndmask_b32_e32 v17, v17, v20, vcc_lo
	v_cndmask_b32_e32 v16, v23, v16, vcc_lo
	v_cmp_ge_i32_e32 vcc_lo, v16, v17
	s_or_b32 s9, vcc_lo, s9
	s_andn2_b32 exec_lo, exec_lo, s9
	s_cbranch_execnz .LBB143_184
; %bb.185:
	s_or_b32 exec_lo, exec_lo, s9
.LBB143_186:
	s_or_b32 exec_lo, exec_lo, s8
	v_add_nc_u32_e32 v1, v15, v1
	v_add_nc_u32_e32 v0, v16, v0
                                        ; implicit-def: $vgpr20
	v_sub_nc_u32_e32 v1, v1, v16
	v_add_nc_u32_e32 v17, v4, v0
	v_cmp_le_i32_e32 vcc_lo, v15, v0
	v_add_nc_u32_e32 v16, v4, v1
	v_cmp_gt_i32_e64 s8, v3, v1
	ds_read_u8 v18, v17
	ds_read_u8 v19, v16
	s_waitcnt lgkmcnt(0)
	v_cmp_lt_u16_sdwa s9, v19, v18 src0_sel:BYTE_0 src1_sel:BYTE_0
	s_or_b32 s9, vcc_lo, s9
	s_and_b32 s8, s8, s9
	s_xor_b32 s9, s8, -1
	s_and_saveexec_b32 s10, s9
	s_xor_b32 s9, exec_lo, s10
; %bb.187:
	ds_read_u8 v20, v17 offset:1
                                        ; implicit-def: $vgpr16
; %bb.188:
	s_or_saveexec_b32 s9, s9
	v_mov_b32_e32 v21, v19
	s_xor_b32 exec_lo, exec_lo, s9
	s_cbranch_execz .LBB143_190
; %bb.189:
	ds_read_u8 v21, v16 offset:1
	s_waitcnt lgkmcnt(1)
	v_mov_b32_e32 v20, v18
.LBB143_190:
	s_or_b32 exec_lo, exec_lo, s9
	v_add_nc_u32_e32 v16, 1, v0
	v_add_nc_u32_e32 v17, 1, v1
	s_waitcnt lgkmcnt(0)
	v_cmp_lt_u16_sdwa s10, v21, v20 src0_sel:BYTE_0 src1_sel:BYTE_0
                                        ; implicit-def: $vgpr22
	v_cndmask_b32_e64 v16, v16, v0, s8
	v_cndmask_b32_e64 v17, v1, v17, s8
	v_cmp_ge_i32_e32 vcc_lo, v16, v15
	v_cmp_lt_i32_e64 s9, v17, v3
	s_or_b32 s10, vcc_lo, s10
	s_and_b32 vcc_lo, s9, s10
	s_xor_b32 s9, vcc_lo, -1
	s_and_saveexec_b32 s10, s9
	s_xor_b32 s9, exec_lo, s10
; %bb.191:
	v_add_nc_u32_e32 v22, v4, v16
	ds_read_u8 v22, v22 offset:1
; %bb.192:
	s_or_saveexec_b32 s9, s9
	v_mov_b32_e32 v23, v21
	s_xor_b32 exec_lo, exec_lo, s9
	s_cbranch_execz .LBB143_194
; %bb.193:
	s_waitcnt lgkmcnt(0)
	v_add_nc_u32_e32 v22, v4, v17
	ds_read_u8 v23, v22 offset:1
	v_mov_b32_e32 v22, v20
.LBB143_194:
	s_or_b32 exec_lo, exec_lo, s9
	v_add_nc_u32_e32 v24, 1, v16
	v_add_nc_u32_e32 v25, 1, v17
	s_waitcnt lgkmcnt(0)
	v_cmp_lt_u16_sdwa s11, v23, v22 src0_sel:BYTE_0 src1_sel:BYTE_0
                                        ; implicit-def: $vgpr26
	v_cndmask_b32_e32 v24, v24, v16, vcc_lo
	v_cndmask_b32_e32 v25, v17, v25, vcc_lo
	v_cmp_ge_i32_e64 s9, v24, v15
	v_cmp_lt_i32_e64 s10, v25, v3
	s_or_b32 s9, s9, s11
	s_and_b32 s9, s10, s9
	s_xor_b32 s10, s9, -1
	s_and_saveexec_b32 s11, s10
	s_xor_b32 s10, exec_lo, s11
; %bb.195:
	v_add_nc_u32_e32 v26, v4, v24
	ds_read_u8 v26, v26 offset:1
; %bb.196:
	s_or_saveexec_b32 s10, s10
	v_mov_b32_e32 v27, v23
	s_xor_b32 exec_lo, exec_lo, s10
	s_cbranch_execz .LBB143_198
; %bb.197:
	s_waitcnt lgkmcnt(0)
	v_add_nc_u32_e32 v26, v4, v25
	ds_read_u8 v27, v26 offset:1
	v_mov_b32_e32 v26, v22
.LBB143_198:
	s_or_b32 exec_lo, exec_lo, s10
	v_add_nc_u32_e32 v28, 1, v24
	v_add_nc_u32_e32 v29, 1, v25
	s_waitcnt lgkmcnt(0)
	v_cmp_lt_u16_sdwa s12, v27, v26 src0_sel:BYTE_0 src1_sel:BYTE_0
                                        ; implicit-def: $vgpr30
	v_cndmask_b32_e64 v28, v28, v24, s9
	v_cndmask_b32_e64 v29, v25, v29, s9
	v_cmp_ge_i32_e64 s10, v28, v15
	v_cmp_lt_i32_e64 s11, v29, v3
	s_or_b32 s10, s10, s12
	s_and_b32 s10, s11, s10
	s_xor_b32 s11, s10, -1
	s_and_saveexec_b32 s12, s11
	s_xor_b32 s11, exec_lo, s12
; %bb.199:
	v_add_nc_u32_e32 v30, v4, v28
	ds_read_u8 v30, v30 offset:1
; %bb.200:
	s_or_saveexec_b32 s11, s11
	v_mov_b32_e32 v31, v27
	s_xor_b32 exec_lo, exec_lo, s11
	s_cbranch_execz .LBB143_202
; %bb.201:
	s_waitcnt lgkmcnt(0)
	v_add_nc_u32_e32 v30, v4, v29
	ds_read_u8 v31, v30 offset:1
	v_mov_b32_e32 v30, v26
.LBB143_202:
	s_or_b32 exec_lo, exec_lo, s11
	v_add_nc_u32_e32 v32, 1, v28
	v_add_nc_u32_e32 v33, 1, v29
	s_waitcnt lgkmcnt(0)
	v_cmp_lt_u16_sdwa s13, v31, v30 src0_sel:BYTE_0 src1_sel:BYTE_0
                                        ; implicit-def: $vgpr34
	v_cndmask_b32_e64 v32, v32, v28, s10
	v_cndmask_b32_e64 v33, v29, v33, s10
	v_cmp_ge_i32_e64 s11, v32, v15
	v_cmp_lt_i32_e64 s12, v33, v3
	s_or_b32 s11, s11, s13
	s_and_b32 s11, s12, s11
	s_xor_b32 s12, s11, -1
	s_and_saveexec_b32 s13, s12
	s_xor_b32 s12, exec_lo, s13
; %bb.203:
	v_add_nc_u32_e32 v34, v4, v32
	ds_read_u8 v34, v34 offset:1
; %bb.204:
	s_or_saveexec_b32 s12, s12
	v_mov_b32_e32 v35, v31
	s_xor_b32 exec_lo, exec_lo, s12
	s_cbranch_execz .LBB143_206
; %bb.205:
	s_waitcnt lgkmcnt(0)
	v_add_nc_u32_e32 v34, v4, v33
	ds_read_u8 v35, v34 offset:1
	v_mov_b32_e32 v34, v30
.LBB143_206:
	s_or_b32 exec_lo, exec_lo, s12
	v_add_nc_u32_e32 v36, 1, v32
	v_add_nc_u32_e32 v38, 1, v33
	s_waitcnt lgkmcnt(0)
	v_cmp_lt_u16_sdwa s14, v35, v34 src0_sel:BYTE_0 src1_sel:BYTE_0
                                        ; implicit-def: $vgpr42
	v_cndmask_b32_e64 v37, v36, v32, s11
	v_cndmask_b32_e64 v38, v33, v38, s11
	v_cmp_ge_i32_e64 s12, v37, v15
	v_cmp_lt_i32_e64 s13, v38, v3
	s_or_b32 s12, s12, s14
	s_and_b32 s12, s13, s12
	s_xor_b32 s13, s12, -1
	s_and_saveexec_b32 s14, s13
	s_xor_b32 s13, exec_lo, s14
; %bb.207:
	v_add_nc_u32_e32 v36, v4, v37
	ds_read_u8 v42, v36 offset:1
; %bb.208:
	s_or_saveexec_b32 s13, s13
	v_mov_b32_e32 v44, v35
	s_xor_b32 exec_lo, exec_lo, s13
	s_cbranch_execz .LBB143_210
; %bb.209:
	v_add_nc_u32_e32 v36, v4, v38
	s_waitcnt lgkmcnt(0)
	v_mov_b32_e32 v42, v34
	ds_read_u8 v44, v36 offset:1
.LBB143_210:
	s_or_b32 exec_lo, exec_lo, s13
	v_add_nc_u32_e32 v36, 1, v37
	v_add_nc_u32_e32 v39, 1, v38
	s_waitcnt lgkmcnt(0)
	v_cmp_lt_u16_sdwa s15, v44, v42 src0_sel:BYTE_0 src1_sel:BYTE_0
                                        ; implicit-def: $vgpr41
	v_cndmask_b32_e64 v45, v36, v37, s12
	v_cndmask_b32_e64 v36, v38, v39, s12
                                        ; implicit-def: $vgpr39
	v_cmp_ge_i32_e64 s13, v45, v15
	v_cmp_lt_i32_e64 s14, v36, v3
	s_or_b32 s13, s13, s15
	s_and_b32 s13, s14, s13
	s_xor_b32 s14, s13, -1
	s_and_saveexec_b32 s15, s14
	s_xor_b32 s14, exec_lo, s15
; %bb.211:
	v_add_nc_u32_e32 v39, v4, v45
	ds_read_u8 v41, v39 offset:1
	v_add_nc_u32_e32 v39, 1, v45
; %bb.212:
	s_or_saveexec_b32 s14, s14
	v_mov_b32_e32 v40, v45
	v_mov_b32_e32 v43, v44
	s_xor_b32 exec_lo, exec_lo, s14
	s_cbranch_execz .LBB143_214
; %bb.213:
	v_add_nc_u32_e32 v39, v4, v36
	s_waitcnt lgkmcnt(0)
	v_add_nc_u32_e32 v41, 1, v36
	v_mov_b32_e32 v40, v36
	ds_read_u8 v43, v39 offset:1
	v_mov_b32_e32 v39, v45
	v_mov_b32_e32 v36, v41
	;; [unrolled: 1-line block ×3, first 2 shown]
.LBB143_214:
	s_or_b32 exec_lo, exec_lo, s14
	v_perm_b32 v11, v11, v12, 0xc0c0004
	v_perm_b32 v12, v13, v14, 0xc0c0004
	;; [unrolled: 1-line block ×4, first 2 shown]
	v_cndmask_b32_e64 v7, v0, v1, s8
	v_cndmask_b32_e64 v18, v18, v19, s8
	v_cmp_lt_i32_e64 s8, v36, v3
	v_lshl_or_b32 v1, v12, 16, v11
	v_lshl_or_b32 v0, v6, 16, v5
	v_add_nc_u32_e32 v3, v4, v7
	; wave barrier
	v_cndmask_b32_sdwa v19, v20, v21, vcc_lo dst_sel:BYTE_1 dst_unused:UNUSED_PAD src0_sel:DWORD src1_sel:DWORD
	ds_write_b64 v2, v[0:1]
	; wave barrier
	ds_read_u8 v0, v3
	v_cndmask_b32_e64 v20, v22, v23, s9
	v_cndmask_b32_e64 v21, v26, v27, s10
	;; [unrolled: 1-line block ×4, first 2 shown]
	v_cmp_ge_i32_e64 s9, v39, v15
	s_waitcnt lgkmcnt(2)
	v_cmp_lt_u16_sdwa s10, v43, v41 src0_sel:BYTE_0 src1_sel:BYTE_0
	v_cndmask_b32_e64 v22, v30, v31, s11
	v_cndmask_b32_e64 v30, v32, v33, s11
	v_cndmask_b32_e32 v1, v16, v17, vcc_lo
	v_cndmask_b32_e64 v27, v37, v38, s12
	s_or_b32 s9, s9, s10
	v_add_nc_u32_e32 v6, v4, v24
	s_and_b32 vcc_lo, s8, s9
	v_add_nc_u32_e32 v7, v4, v30
	v_cndmask_b32_e32 v5, v39, v36, vcc_lo
	v_add_nc_u32_e32 v1, v4, v1
	v_add_nc_u32_e32 v10, v4, v28
	v_cndmask_b32_e64 v23, v34, v35, s12
	v_cndmask_b32_e32 v2, v41, v43, vcc_lo
	v_lshlrev_b16 v3, 8, v21
	v_add_nc_u32_e32 v11, v4, v27
	v_add_nc_u32_e32 v12, v4, v40
	;; [unrolled: 1-line block ×3, first 2 shown]
	s_waitcnt lgkmcnt(0)
	v_add_nc_u16 v0, v0, v18
	ds_read_u8 v5, v7
	ds_read_u8 v1, v1
	;; [unrolled: 1-line block ×7, first 2 shown]
	v_cndmask_b32_e64 v26, v42, v44, s13
	v_lshlrev_b16 v12, 8, v23
	v_lshlrev_b16 v2, 8, v2
	v_or_b32_sdwa v13, v18, v19 dst_sel:DWORD dst_unused:UNUSED_PAD src0_sel:BYTE_0 src1_sel:DWORD
	v_or_b32_sdwa v3, v20, v3 dst_sel:WORD_1 dst_unused:UNUSED_PAD src0_sel:BYTE_0 src1_sel:DWORD
	v_or_b32_sdwa v0, v0, v19 dst_sel:DWORD dst_unused:UNUSED_PAD src0_sel:BYTE_0 src1_sel:DWORD
	v_or_b32_sdwa v12, v22, v12 dst_sel:DWORD dst_unused:UNUSED_PAD src0_sel:BYTE_0 src1_sel:DWORD
	v_or_b32_sdwa v2, v26, v2 dst_sel:WORD_1 dst_unused:UNUSED_PAD src0_sel:BYTE_0 src1_sel:DWORD
	v_or_b32_sdwa v13, v13, v3 dst_sel:DWORD dst_unused:UNUSED_PAD src0_sel:WORD_0 src1_sel:DWORD
	v_or_b32_sdwa v0, v0, v3 dst_sel:DWORD dst_unused:UNUSED_PAD src0_sel:WORD_0 src1_sel:DWORD
	;; [unrolled: 1-line block ×3, first 2 shown]
	s_waitcnt lgkmcnt(6)
	v_add_nc_u16 v3, v12, v5
	v_cndmask_b32_e64 v0, v13, v0, s0
	v_perm_b32 v3, v3, v2, 0x3020104
	v_lshrrev_b32_e32 v5, 8, v0
	v_cndmask_b32_e64 v2, v2, v3, s4
	s_waitcnt lgkmcnt(5)
	v_add_nc_u16 v1, v5, v1
	v_mov_b32_e32 v5, 0xff
	v_lshrrev_b32_e32 v3, 8, v2
	v_lshlrev_b16 v1, 8, v1
	s_waitcnt lgkmcnt(2)
	v_add_nc_u16 v3, v3, v10
	v_or_b32_sdwa v1, v0, v1 dst_sel:DWORD dst_unused:UNUSED_PAD src0_sel:BYTE_0 src1_sel:DWORD
	v_lshlrev_b16 v3, 8, v3
	v_and_b32_e32 v1, 0xffff, v1
	v_or_b32_sdwa v3, v2, v3 dst_sel:DWORD dst_unused:UNUSED_PAD src0_sel:BYTE_0 src1_sel:DWORD
	v_and_or_b32 v1, 0xffff0000, v0, v1
	v_and_b32_e32 v3, 0xffff, v3
	v_cndmask_b32_e64 v0, v0, v1, s1
	v_and_or_b32 v1, 0xffff0000, v2, v3
	v_lshrrev_b32_e32 v3, 16, v0
	v_cndmask_b32_e64 v1, v2, v1, s5
	v_add_nc_u16 v2, v3, v6
	v_lshrrev_b32_e32 v3, 16, v1
	v_perm_b32 v2, v2, v0, 0xc0c0304
	s_waitcnt lgkmcnt(1)
	v_add_nc_u16 v3, v3, v11
	v_lshlrev_b32_e32 v2, 16, v2
	v_perm_b32 v3, v1, v3, 0x7000504
	v_and_or_b32 v2, 0xffff, v0, v2
	v_cndmask_b32_e64 v1, v1, v3, s6
	v_cndmask_b32_e64 v0, v0, v2, s2
	v_lshrrev_b32_e32 v2, 24, v1
	v_lshrrev_b32_e32 v3, 24, v0
	s_waitcnt lgkmcnt(0)
	v_add_nc_u16 v2, v2, v4
	v_and_b32_sdwa v4, v1, v5 dst_sel:DWORD dst_unused:UNUSED_PAD src0_sel:WORD_1 src1_sel:DWORD
	v_add_nc_u16 v3, v3, v7
	v_and_b32_sdwa v5, v0, v5 dst_sel:DWORD dst_unused:UNUSED_PAD src0_sel:WORD_1 src1_sel:DWORD
	v_lshlrev_b16 v2, 8, v2
	v_lshlrev_b16 v3, 8, v3
	v_or_b32_sdwa v2, v4, v2 dst_sel:WORD_1 dst_unused:UNUSED_PAD src0_sel:DWORD src1_sel:DWORD
	v_add_co_u32 v4, s8, s18, v9
	v_or_b32_sdwa v3, v5, v3 dst_sel:WORD_1 dst_unused:UNUSED_PAD src0_sel:DWORD src1_sel:DWORD
	v_add_co_ci_u32_e64 v5, null, s19, 0, s8
	v_and_or_b32 v2, 0xffff, v1, v2
	v_and_or_b32 v3, 0xffff, v0, v3
	v_cndmask_b32_e64 v2, v1, v2, s7
	v_cndmask_b32_e64 v3, v0, v3, s3
	v_add_co_u32 v0, vcc_lo, v4, v8
	v_add_co_ci_u32_e64 v1, null, 0, v5, vcc_lo
	s_and_saveexec_b32 s8, s0
	s_cbranch_execnz .LBB143_223
; %bb.215:
	s_or_b32 exec_lo, exec_lo, s8
	s_and_saveexec_b32 s0, s1
	s_cbranch_execnz .LBB143_224
.LBB143_216:
	s_or_b32 exec_lo, exec_lo, s0
	s_and_saveexec_b32 s0, s2
	s_cbranch_execnz .LBB143_225
.LBB143_217:
	s_or_b32 exec_lo, exec_lo, s0
	s_and_saveexec_b32 s0, s3
	s_cbranch_execnz .LBB143_226
.LBB143_218:
	s_or_b32 exec_lo, exec_lo, s0
	s_and_saveexec_b32 s0, s4
	s_cbranch_execnz .LBB143_227
.LBB143_219:
	s_or_b32 exec_lo, exec_lo, s0
	s_and_saveexec_b32 s0, s5
	s_cbranch_execnz .LBB143_228
.LBB143_220:
	s_or_b32 exec_lo, exec_lo, s0
	s_and_saveexec_b32 s0, s6
	s_cbranch_execnz .LBB143_229
.LBB143_221:
	s_or_b32 exec_lo, exec_lo, s0
	s_and_saveexec_b32 s0, s7
	s_cbranch_execnz .LBB143_230
.LBB143_222:
	s_endpgm
.LBB143_223:
	global_store_byte v[0:1], v3, off
	s_or_b32 exec_lo, exec_lo, s8
	s_and_saveexec_b32 s0, s1
	s_cbranch_execz .LBB143_216
.LBB143_224:
	v_lshrrev_b32_e32 v4, 8, v3
	global_store_byte v[0:1], v4, off offset:1
	s_or_b32 exec_lo, exec_lo, s0
	s_and_saveexec_b32 s0, s2
	s_cbranch_execz .LBB143_217
.LBB143_225:
	global_store_byte_d16_hi v[0:1], v3, off offset:2
	s_or_b32 exec_lo, exec_lo, s0
	s_and_saveexec_b32 s0, s3
	s_cbranch_execz .LBB143_218
.LBB143_226:
	v_lshrrev_b32_e32 v3, 24, v3
	global_store_byte v[0:1], v3, off offset:3
	s_or_b32 exec_lo, exec_lo, s0
	s_and_saveexec_b32 s0, s4
	s_cbranch_execz .LBB143_219
.LBB143_227:
	global_store_byte v[0:1], v2, off offset:4
	s_or_b32 exec_lo, exec_lo, s0
	s_and_saveexec_b32 s0, s5
	s_cbranch_execz .LBB143_220
.LBB143_228:
	v_lshrrev_b32_e32 v3, 8, v2
	global_store_byte v[0:1], v3, off offset:5
	s_or_b32 exec_lo, exec_lo, s0
	s_and_saveexec_b32 s0, s6
	s_cbranch_execz .LBB143_221
.LBB143_229:
	global_store_byte_d16_hi v[0:1], v2, off offset:6
	s_or_b32 exec_lo, exec_lo, s0
	s_and_saveexec_b32 s0, s7
	s_cbranch_execz .LBB143_222
.LBB143_230:
	v_lshrrev_b32_e32 v2, 24, v2
	global_store_byte v[0:1], v2, off offset:7
	s_endpgm
	.section	.rodata,"a",@progbits
	.p2align	6, 0x0
	.amdhsa_kernel _Z20sort_pairs_segmentedILj256ELj64ELj8EhN10test_utils4lessEEvPKT2_PS2_PKjT3_
		.amdhsa_group_segment_fixed_size 2052
		.amdhsa_private_segment_fixed_size 0
		.amdhsa_kernarg_size 28
		.amdhsa_user_sgpr_count 6
		.amdhsa_user_sgpr_private_segment_buffer 1
		.amdhsa_user_sgpr_dispatch_ptr 0
		.amdhsa_user_sgpr_queue_ptr 0
		.amdhsa_user_sgpr_kernarg_segment_ptr 1
		.amdhsa_user_sgpr_dispatch_id 0
		.amdhsa_user_sgpr_flat_scratch_init 0
		.amdhsa_user_sgpr_private_segment_size 0
		.amdhsa_wavefront_size32 1
		.amdhsa_uses_dynamic_stack 0
		.amdhsa_system_sgpr_private_segment_wavefront_offset 0
		.amdhsa_system_sgpr_workgroup_id_x 1
		.amdhsa_system_sgpr_workgroup_id_y 0
		.amdhsa_system_sgpr_workgroup_id_z 0
		.amdhsa_system_sgpr_workgroup_info 0
		.amdhsa_system_vgpr_workitem_id 0
		.amdhsa_next_free_vgpr 49
		.amdhsa_next_free_sgpr 20
		.amdhsa_reserve_vcc 1
		.amdhsa_reserve_flat_scratch 0
		.amdhsa_float_round_mode_32 0
		.amdhsa_float_round_mode_16_64 0
		.amdhsa_float_denorm_mode_32 3
		.amdhsa_float_denorm_mode_16_64 3
		.amdhsa_dx10_clamp 1
		.amdhsa_ieee_mode 1
		.amdhsa_fp16_overflow 0
		.amdhsa_workgroup_processor_mode 1
		.amdhsa_memory_ordered 1
		.amdhsa_forward_progress 1
		.amdhsa_shared_vgpr_count 0
		.amdhsa_exception_fp_ieee_invalid_op 0
		.amdhsa_exception_fp_denorm_src 0
		.amdhsa_exception_fp_ieee_div_zero 0
		.amdhsa_exception_fp_ieee_overflow 0
		.amdhsa_exception_fp_ieee_underflow 0
		.amdhsa_exception_fp_ieee_inexact 0
		.amdhsa_exception_int_div_zero 0
	.end_amdhsa_kernel
	.section	.text._Z20sort_pairs_segmentedILj256ELj64ELj8EhN10test_utils4lessEEvPKT2_PS2_PKjT3_,"axG",@progbits,_Z20sort_pairs_segmentedILj256ELj64ELj8EhN10test_utils4lessEEvPKT2_PS2_PKjT3_,comdat
.Lfunc_end143:
	.size	_Z20sort_pairs_segmentedILj256ELj64ELj8EhN10test_utils4lessEEvPKT2_PS2_PKjT3_, .Lfunc_end143-_Z20sort_pairs_segmentedILj256ELj64ELj8EhN10test_utils4lessEEvPKT2_PS2_PKjT3_
                                        ; -- End function
	.set _Z20sort_pairs_segmentedILj256ELj64ELj8EhN10test_utils4lessEEvPKT2_PS2_PKjT3_.num_vgpr, 49
	.set _Z20sort_pairs_segmentedILj256ELj64ELj8EhN10test_utils4lessEEvPKT2_PS2_PKjT3_.num_agpr, 0
	.set _Z20sort_pairs_segmentedILj256ELj64ELj8EhN10test_utils4lessEEvPKT2_PS2_PKjT3_.numbered_sgpr, 20
	.set _Z20sort_pairs_segmentedILj256ELj64ELj8EhN10test_utils4lessEEvPKT2_PS2_PKjT3_.num_named_barrier, 0
	.set _Z20sort_pairs_segmentedILj256ELj64ELj8EhN10test_utils4lessEEvPKT2_PS2_PKjT3_.private_seg_size, 0
	.set _Z20sort_pairs_segmentedILj256ELj64ELj8EhN10test_utils4lessEEvPKT2_PS2_PKjT3_.uses_vcc, 1
	.set _Z20sort_pairs_segmentedILj256ELj64ELj8EhN10test_utils4lessEEvPKT2_PS2_PKjT3_.uses_flat_scratch, 0
	.set _Z20sort_pairs_segmentedILj256ELj64ELj8EhN10test_utils4lessEEvPKT2_PS2_PKjT3_.has_dyn_sized_stack, 0
	.set _Z20sort_pairs_segmentedILj256ELj64ELj8EhN10test_utils4lessEEvPKT2_PS2_PKjT3_.has_recursion, 0
	.set _Z20sort_pairs_segmentedILj256ELj64ELj8EhN10test_utils4lessEEvPKT2_PS2_PKjT3_.has_indirect_call, 0
	.section	.AMDGPU.csdata,"",@progbits
; Kernel info:
; codeLenInByte = 12728
; TotalNumSgprs: 22
; NumVgprs: 49
; ScratchSize: 0
; MemoryBound: 0
; FloatMode: 240
; IeeeMode: 1
; LDSByteSize: 2052 bytes/workgroup (compile time only)
; SGPRBlocks: 0
; VGPRBlocks: 6
; NumSGPRsForWavesPerEU: 22
; NumVGPRsForWavesPerEU: 49
; Occupancy: 16
; WaveLimiterHint : 0
; COMPUTE_PGM_RSRC2:SCRATCH_EN: 0
; COMPUTE_PGM_RSRC2:USER_SGPR: 6
; COMPUTE_PGM_RSRC2:TRAP_HANDLER: 0
; COMPUTE_PGM_RSRC2:TGID_X_EN: 1
; COMPUTE_PGM_RSRC2:TGID_Y_EN: 0
; COMPUTE_PGM_RSRC2:TGID_Z_EN: 0
; COMPUTE_PGM_RSRC2:TIDIG_COMP_CNT: 0
	.section	.text._Z9sort_keysILj256ELj4ELj1ExN10test_utils4lessEEvPKT2_PS2_T3_,"axG",@progbits,_Z9sort_keysILj256ELj4ELj1ExN10test_utils4lessEEvPKT2_PS2_T3_,comdat
	.protected	_Z9sort_keysILj256ELj4ELj1ExN10test_utils4lessEEvPKT2_PS2_T3_ ; -- Begin function _Z9sort_keysILj256ELj4ELj1ExN10test_utils4lessEEvPKT2_PS2_T3_
	.globl	_Z9sort_keysILj256ELj4ELj1ExN10test_utils4lessEEvPKT2_PS2_T3_
	.p2align	8
	.type	_Z9sort_keysILj256ELj4ELj1ExN10test_utils4lessEEvPKT2_PS2_T3_,@function
_Z9sort_keysILj256ELj4ELj1ExN10test_utils4lessEEvPKT2_PS2_T3_: ; @_Z9sort_keysILj256ELj4ELj1ExN10test_utils4lessEEvPKT2_PS2_T3_
; %bb.0:
	s_load_dwordx4 s[0:3], s[4:5], 0x0
	s_mov_b32 s7, 0
	s_lshl_b32 s6, s6, 8
	v_lshlrev_b32_e32 v1, 3, v0
	s_lshl_b64 s[4:5], s[6:7], 3
	v_mbcnt_lo_u32_b32 v3, -1, 0
	v_lshrrev_b32_e32 v0, 2, v0
	v_mov_b32_e32 v7, 0
	v_and_b32_e32 v6, 2, v3
	v_and_b32_e32 v2, 3, v3
	;; [unrolled: 1-line block ×3, first 2 shown]
	v_or_b32_e32 v4, 1, v6
	v_lshlrev_b32_e32 v10, 3, v2
	v_sub_nc_u32_e32 v3, v4, v6
	s_waitcnt lgkmcnt(0)
	s_add_u32 s0, s0, s4
	s_addc_u32 s1, s1, s5
	global_load_dwordx2 v[8:9], v1, s[0:1]
	v_min_i32_e32 v11, v5, v3
	v_mad_u32_u24 v3, v0, 40, v10
	v_mul_u32_u24_e32 v0, 40, v0
	s_mov_b32 s0, exec_lo
	; wave barrier
	s_waitcnt vmcnt(0)
	ds_write_b64 v3, v[8:9]
	; wave barrier
	v_cmpx_lt_i32_e32 0, v11
	s_cbranch_execz .LBB144_4
; %bb.1:
	v_lshl_add_u32 v8, v6, 3, v0
	v_mov_b32_e32 v9, 1
	v_mov_b32_e32 v7, 0
	v_lshl_add_u32 v10, v5, 3, v8
	.p2align	6
.LBB144_2:                              ; =>This Inner Loop Header: Depth=1
	v_sub_nc_u32_e32 v11, v9, v7
	v_lshrrev_b32_e32 v11, 1, v11
	v_add_nc_u32_e32 v15, v11, v7
	v_not_b32_e32 v11, v15
	v_lshl_add_u32 v12, v15, 3, v8
	v_lshl_add_u32 v13, v11, 3, v10
	ds_read_b64 v[11:12], v12
	ds_read_b64 v[13:14], v13 offset:8
	s_waitcnt lgkmcnt(0)
	v_cmp_lt_i64_e32 vcc_lo, v[13:14], v[11:12]
	v_add_nc_u32_e32 v11, 1, v15
	v_cndmask_b32_e32 v9, v9, v15, vcc_lo
	v_cndmask_b32_e32 v7, v11, v7, vcc_lo
	v_cmp_ge_i32_e32 vcc_lo, v7, v9
	s_or_b32 s7, vcc_lo, s7
	s_andn2_b32 exec_lo, exec_lo, s7
	s_cbranch_execnz .LBB144_2
; %bb.3:
	s_or_b32 exec_lo, exec_lo, s7
.LBB144_4:
	s_or_b32 exec_lo, exec_lo, s0
	v_add_nc_u32_e32 v8, v6, v5
	v_lshlrev_b32_e32 v9, 3, v7
	v_lshlrev_b32_e32 v6, 3, v6
	v_add_nc_u32_e32 v5, v4, v5
	v_cmp_lt_i32_e64 s0, 0, v7
	v_sub_nc_u32_e32 v8, v8, v7
	v_add3_u32 v6, v0, v9, v6
	v_sub_nc_u32_e32 v5, v5, v7
	v_lshl_add_u32 v10, v8, 3, v0
	ds_read_b64 v[8:9], v6
	ds_read_b64 v[10:11], v10 offset:8
	v_cmp_ge_i32_e64 s1, v4, v5
	v_sub_nc_u32_e64 v4, v2, 2 clamp
	v_min_u32_e32 v5, 2, v2
	; wave barrier
	s_waitcnt lgkmcnt(0)
	v_cmp_lt_i64_e32 vcc_lo, v[10:11], v[8:9]
	s_or_b32 s0, s0, vcc_lo
	s_and_b32 vcc_lo, s1, s0
	s_mov_b32 s0, 0
	v_cndmask_b32_e32 v7, v9, v11, vcc_lo
	v_cndmask_b32_e32 v6, v8, v10, vcc_lo
	s_mov_b32 s1, exec_lo
	ds_write_b64 v3, v[6:7]
	; wave barrier
	v_cmpx_lt_u32_e64 v4, v5
	s_cbranch_execz .LBB144_7
	.p2align	6
.LBB144_5:                              ; =>This Inner Loop Header: Depth=1
	v_sub_nc_u32_e32 v6, v5, v4
	v_lshrrev_b32_e32 v6, 1, v6
	v_add_nc_u32_e32 v10, v6, v4
	v_not_b32_e32 v6, v10
	v_lshl_add_u32 v7, v10, 3, v0
	v_lshl_add_u32 v8, v6, 3, v3
	ds_read_b64 v[6:7], v7
	ds_read_b64 v[8:9], v8 offset:16
	s_waitcnt lgkmcnt(0)
	v_cmp_lt_i64_e32 vcc_lo, v[8:9], v[6:7]
	v_add_nc_u32_e32 v6, 1, v10
	v_cndmask_b32_e32 v5, v5, v10, vcc_lo
	v_cndmask_b32_e32 v4, v6, v4, vcc_lo
	v_cmp_ge_i32_e32 vcc_lo, v4, v5
	s_or_b32 s0, vcc_lo, s0
	s_andn2_b32 exec_lo, exec_lo, s0
	s_cbranch_execnz .LBB144_5
; %bb.6:
	s_or_b32 exec_lo, exec_lo, s0
.LBB144_7:
	s_or_b32 exec_lo, exec_lo, s1
	v_sub_nc_u32_e32 v7, v2, v4
	v_lshl_add_u32 v2, v4, 3, v0
	v_cmp_lt_i32_e64 s0, 1, v4
	v_lshl_add_u32 v0, v7, 3, v0
	ds_read_b64 v[2:3], v2
	ds_read_b64 v[5:6], v0 offset:16
	v_add_nc_u32_e32 v0, 2, v7
	v_cmp_gt_i32_e64 s1, 4, v0
	s_waitcnt lgkmcnt(0)
	v_cmp_lt_i64_e32 vcc_lo, v[5:6], v[2:3]
	s_or_b32 s0, s0, vcc_lo
	s_and_b32 vcc_lo, s1, s0
	s_add_u32 s0, s2, s4
	v_cndmask_b32_e32 v3, v3, v6, vcc_lo
	v_cndmask_b32_e32 v2, v2, v5, vcc_lo
	s_addc_u32 s1, s3, s5
	global_store_dwordx2 v1, v[2:3], s[0:1]
	s_endpgm
	.section	.rodata,"a",@progbits
	.p2align	6, 0x0
	.amdhsa_kernel _Z9sort_keysILj256ELj4ELj1ExN10test_utils4lessEEvPKT2_PS2_T3_
		.amdhsa_group_segment_fixed_size 2560
		.amdhsa_private_segment_fixed_size 0
		.amdhsa_kernarg_size 20
		.amdhsa_user_sgpr_count 6
		.amdhsa_user_sgpr_private_segment_buffer 1
		.amdhsa_user_sgpr_dispatch_ptr 0
		.amdhsa_user_sgpr_queue_ptr 0
		.amdhsa_user_sgpr_kernarg_segment_ptr 1
		.amdhsa_user_sgpr_dispatch_id 0
		.amdhsa_user_sgpr_flat_scratch_init 0
		.amdhsa_user_sgpr_private_segment_size 0
		.amdhsa_wavefront_size32 1
		.amdhsa_uses_dynamic_stack 0
		.amdhsa_system_sgpr_private_segment_wavefront_offset 0
		.amdhsa_system_sgpr_workgroup_id_x 1
		.amdhsa_system_sgpr_workgroup_id_y 0
		.amdhsa_system_sgpr_workgroup_id_z 0
		.amdhsa_system_sgpr_workgroup_info 0
		.amdhsa_system_vgpr_workitem_id 0
		.amdhsa_next_free_vgpr 16
		.amdhsa_next_free_sgpr 8
		.amdhsa_reserve_vcc 1
		.amdhsa_reserve_flat_scratch 0
		.amdhsa_float_round_mode_32 0
		.amdhsa_float_round_mode_16_64 0
		.amdhsa_float_denorm_mode_32 3
		.amdhsa_float_denorm_mode_16_64 3
		.amdhsa_dx10_clamp 1
		.amdhsa_ieee_mode 1
		.amdhsa_fp16_overflow 0
		.amdhsa_workgroup_processor_mode 1
		.amdhsa_memory_ordered 1
		.amdhsa_forward_progress 1
		.amdhsa_shared_vgpr_count 0
		.amdhsa_exception_fp_ieee_invalid_op 0
		.amdhsa_exception_fp_denorm_src 0
		.amdhsa_exception_fp_ieee_div_zero 0
		.amdhsa_exception_fp_ieee_overflow 0
		.amdhsa_exception_fp_ieee_underflow 0
		.amdhsa_exception_fp_ieee_inexact 0
		.amdhsa_exception_int_div_zero 0
	.end_amdhsa_kernel
	.section	.text._Z9sort_keysILj256ELj4ELj1ExN10test_utils4lessEEvPKT2_PS2_T3_,"axG",@progbits,_Z9sort_keysILj256ELj4ELj1ExN10test_utils4lessEEvPKT2_PS2_T3_,comdat
.Lfunc_end144:
	.size	_Z9sort_keysILj256ELj4ELj1ExN10test_utils4lessEEvPKT2_PS2_T3_, .Lfunc_end144-_Z9sort_keysILj256ELj4ELj1ExN10test_utils4lessEEvPKT2_PS2_T3_
                                        ; -- End function
	.set _Z9sort_keysILj256ELj4ELj1ExN10test_utils4lessEEvPKT2_PS2_T3_.num_vgpr, 16
	.set _Z9sort_keysILj256ELj4ELj1ExN10test_utils4lessEEvPKT2_PS2_T3_.num_agpr, 0
	.set _Z9sort_keysILj256ELj4ELj1ExN10test_utils4lessEEvPKT2_PS2_T3_.numbered_sgpr, 8
	.set _Z9sort_keysILj256ELj4ELj1ExN10test_utils4lessEEvPKT2_PS2_T3_.num_named_barrier, 0
	.set _Z9sort_keysILj256ELj4ELj1ExN10test_utils4lessEEvPKT2_PS2_T3_.private_seg_size, 0
	.set _Z9sort_keysILj256ELj4ELj1ExN10test_utils4lessEEvPKT2_PS2_T3_.uses_vcc, 1
	.set _Z9sort_keysILj256ELj4ELj1ExN10test_utils4lessEEvPKT2_PS2_T3_.uses_flat_scratch, 0
	.set _Z9sort_keysILj256ELj4ELj1ExN10test_utils4lessEEvPKT2_PS2_T3_.has_dyn_sized_stack, 0
	.set _Z9sort_keysILj256ELj4ELj1ExN10test_utils4lessEEvPKT2_PS2_T3_.has_recursion, 0
	.set _Z9sort_keysILj256ELj4ELj1ExN10test_utils4lessEEvPKT2_PS2_T3_.has_indirect_call, 0
	.section	.AMDGPU.csdata,"",@progbits
; Kernel info:
; codeLenInByte = 640
; TotalNumSgprs: 10
; NumVgprs: 16
; ScratchSize: 0
; MemoryBound: 0
; FloatMode: 240
; IeeeMode: 1
; LDSByteSize: 2560 bytes/workgroup (compile time only)
; SGPRBlocks: 0
; VGPRBlocks: 1
; NumSGPRsForWavesPerEU: 10
; NumVGPRsForWavesPerEU: 16
; Occupancy: 16
; WaveLimiterHint : 0
; COMPUTE_PGM_RSRC2:SCRATCH_EN: 0
; COMPUTE_PGM_RSRC2:USER_SGPR: 6
; COMPUTE_PGM_RSRC2:TRAP_HANDLER: 0
; COMPUTE_PGM_RSRC2:TGID_X_EN: 1
; COMPUTE_PGM_RSRC2:TGID_Y_EN: 0
; COMPUTE_PGM_RSRC2:TGID_Z_EN: 0
; COMPUTE_PGM_RSRC2:TIDIG_COMP_CNT: 0
	.section	.text._Z10sort_pairsILj256ELj4ELj1ExN10test_utils4lessEEvPKT2_PS2_T3_,"axG",@progbits,_Z10sort_pairsILj256ELj4ELj1ExN10test_utils4lessEEvPKT2_PS2_T3_,comdat
	.protected	_Z10sort_pairsILj256ELj4ELj1ExN10test_utils4lessEEvPKT2_PS2_T3_ ; -- Begin function _Z10sort_pairsILj256ELj4ELj1ExN10test_utils4lessEEvPKT2_PS2_T3_
	.globl	_Z10sort_pairsILj256ELj4ELj1ExN10test_utils4lessEEvPKT2_PS2_T3_
	.p2align	8
	.type	_Z10sort_pairsILj256ELj4ELj1ExN10test_utils4lessEEvPKT2_PS2_T3_,@function
_Z10sort_pairsILj256ELj4ELj1ExN10test_utils4lessEEvPKT2_PS2_T3_: ; @_Z10sort_pairsILj256ELj4ELj1ExN10test_utils4lessEEvPKT2_PS2_T3_
; %bb.0:
	s_load_dwordx4 s[0:3], s[4:5], 0x0
	s_mov_b32 s7, 0
	s_lshl_b32 s6, s6, 8
	v_lshlrev_b32_e32 v3, 3, v0
	s_lshl_b64 s[4:5], s[6:7], 3
	v_mbcnt_lo_u32_b32 v4, -1, 0
	v_lshrrev_b32_e32 v6, 2, v0
	v_mov_b32_e32 v0, 0
	v_and_b32_e32 v7, 2, v4
	v_and_b32_e32 v5, 3, v4
	;; [unrolled: 1-line block ×3, first 2 shown]
	v_or_b32_e32 v8, 1, v7
	v_lshlrev_b32_e32 v10, 3, v5
	v_lshlrev_b32_e32 v11, 3, v7
	v_sub_nc_u32_e32 v4, v8, v7
	s_waitcnt lgkmcnt(0)
	s_add_u32 s0, s0, s4
	s_addc_u32 s1, s1, s5
	global_load_dwordx2 v[1:2], v3, s[0:1]
	v_min_i32_e32 v12, v9, v4
	v_mad_u32_u24 v4, v6, 40, v10
	v_mad_u32_u24 v10, v6, 40, v11
	s_mov_b32 s0, exec_lo
	; wave barrier
	s_waitcnt vmcnt(0)
	ds_write_b64 v4, v[1:2]
	; wave barrier
	v_cmpx_lt_i32_e32 0, v12
	s_cbranch_execz .LBB145_4
; %bb.1:
	v_lshl_add_u32 v11, v9, 3, v10
	v_mov_b32_e32 v12, 1
	v_mov_b32_e32 v0, 0
	.p2align	6
.LBB145_2:                              ; =>This Inner Loop Header: Depth=1
	v_sub_nc_u32_e32 v13, v12, v0
	v_lshrrev_b32_e32 v13, 1, v13
	v_add_nc_u32_e32 v17, v13, v0
	v_not_b32_e32 v13, v17
	v_lshl_add_u32 v14, v17, 3, v10
	v_lshl_add_u32 v15, v13, 3, v11
	ds_read_b64 v[13:14], v14
	ds_read_b64 v[15:16], v15 offset:8
	s_waitcnt lgkmcnt(0)
	v_cmp_lt_i64_e32 vcc_lo, v[15:16], v[13:14]
	v_add_nc_u32_e32 v13, 1, v17
	v_cndmask_b32_e32 v12, v12, v17, vcc_lo
	v_cndmask_b32_e32 v0, v13, v0, vcc_lo
	v_cmp_ge_i32_e32 vcc_lo, v0, v12
	s_or_b32 s7, vcc_lo, s7
	s_andn2_b32 exec_lo, exec_lo, s7
	s_cbranch_execnz .LBB145_2
; %bb.3:
	s_or_b32 exec_lo, exec_lo, s7
.LBB145_4:
	s_or_b32 exec_lo, exec_lo, s0
	v_add_nc_u32_e32 v11, v7, v9
	v_mul_u32_u24_e32 v6, 40, v6
	v_lshl_add_u32 v10, v0, 3, v10
	v_add_nc_u32_e32 v9, v8, v9
	v_cmp_lt_i32_e64 s0, 0, v0
	v_sub_nc_u32_e32 v11, v11, v0
	v_sub_nc_u32_e32 v14, v9, v0
	v_add_nc_u32_e32 v0, v0, v7
	v_lshl_add_u32 v12, v11, 3, v6
	ds_read_b64 v[10:11], v10
	ds_read_b64 v[12:13], v12 offset:8
	v_cmp_ge_i32_e64 s1, v8, v14
	; wave barrier
	s_waitcnt lgkmcnt(0)
	v_cmp_lt_i64_e32 vcc_lo, v[12:13], v[10:11]
	s_or_b32 s0, s0, vcc_lo
	s_and_b32 vcc_lo, s1, s0
	s_mov_b32 s1, exec_lo
	v_cndmask_b32_e32 v7, v0, v14, vcc_lo
	v_add_co_u32 v0, s0, v1, 1
	v_add_co_ci_u32_e64 v1, null, 0, v2, s0
	v_lshl_add_u32 v2, v7, 3, v6
	v_cndmask_b32_e32 v9, v11, v13, vcc_lo
	v_min_u32_e32 v7, 2, v5
	ds_write_b64 v4, v[0:1]
	; wave barrier
	ds_read_b64 v[0:1], v2
	v_sub_nc_u32_e64 v2, v5, 2 clamp
	v_cndmask_b32_e32 v8, v10, v12, vcc_lo
	s_mov_b32 s0, 0
	; wave barrier
	ds_write_b64 v4, v[8:9]
	; wave barrier
	v_cmpx_lt_u32_e64 v2, v7
	s_cbranch_execz .LBB145_7
	.p2align	6
.LBB145_5:                              ; =>This Inner Loop Header: Depth=1
	v_sub_nc_u32_e32 v8, v7, v2
	v_lshrrev_b32_e32 v8, 1, v8
	v_add_nc_u32_e32 v12, v8, v2
	v_not_b32_e32 v8, v12
	v_lshl_add_u32 v9, v12, 3, v6
	v_lshl_add_u32 v10, v8, 3, v4
	ds_read_b64 v[8:9], v9
	ds_read_b64 v[10:11], v10 offset:16
	s_waitcnt lgkmcnt(0)
	v_cmp_lt_i64_e32 vcc_lo, v[10:11], v[8:9]
	v_add_nc_u32_e32 v8, 1, v12
	v_cndmask_b32_e32 v7, v7, v12, vcc_lo
	v_cndmask_b32_e32 v2, v8, v2, vcc_lo
	v_cmp_ge_i32_e32 vcc_lo, v2, v7
	s_or_b32 s0, vcc_lo, s0
	s_andn2_b32 exec_lo, exec_lo, s0
	s_cbranch_execnz .LBB145_5
; %bb.6:
	s_or_b32 exec_lo, exec_lo, s0
.LBB145_7:
	s_or_b32 exec_lo, exec_lo, s1
	v_sub_nc_u32_e32 v5, v5, v2
	v_lshl_add_u32 v7, v2, 3, v6
	v_cmp_lt_i32_e64 s0, 1, v2
	v_lshl_add_u32 v9, v5, 3, v6
	v_add_nc_u32_e32 v5, 2, v5
	ds_read_b64 v[7:8], v7
	ds_read_b64 v[9:10], v9 offset:16
	v_cmp_gt_i32_e64 s1, 4, v5
	; wave barrier
	s_waitcnt lgkmcnt(3)
	ds_write_b64 v4, v[0:1]
	; wave barrier
	s_waitcnt lgkmcnt(1)
	v_cmp_lt_i64_e32 vcc_lo, v[9:10], v[7:8]
	s_or_b32 s0, s0, vcc_lo
	s_and_b32 vcc_lo, s1, s0
	s_add_u32 s0, s2, s4
	v_cndmask_b32_e32 v2, v2, v5, vcc_lo
	v_cndmask_b32_e32 v8, v8, v10, vcc_lo
	s_addc_u32 s1, s3, s5
	v_lshl_add_u32 v2, v2, 3, v6
	ds_read_b64 v[0:1], v2
	v_cndmask_b32_e32 v2, v7, v9, vcc_lo
	s_waitcnt lgkmcnt(0)
	v_add_co_u32 v0, vcc_lo, v0, v2
	v_add_co_ci_u32_e64 v1, null, v1, v8, vcc_lo
	global_store_dwordx2 v3, v[0:1], s[0:1]
	s_endpgm
	.section	.rodata,"a",@progbits
	.p2align	6, 0x0
	.amdhsa_kernel _Z10sort_pairsILj256ELj4ELj1ExN10test_utils4lessEEvPKT2_PS2_T3_
		.amdhsa_group_segment_fixed_size 2560
		.amdhsa_private_segment_fixed_size 0
		.amdhsa_kernarg_size 20
		.amdhsa_user_sgpr_count 6
		.amdhsa_user_sgpr_private_segment_buffer 1
		.amdhsa_user_sgpr_dispatch_ptr 0
		.amdhsa_user_sgpr_queue_ptr 0
		.amdhsa_user_sgpr_kernarg_segment_ptr 1
		.amdhsa_user_sgpr_dispatch_id 0
		.amdhsa_user_sgpr_flat_scratch_init 0
		.amdhsa_user_sgpr_private_segment_size 0
		.amdhsa_wavefront_size32 1
		.amdhsa_uses_dynamic_stack 0
		.amdhsa_system_sgpr_private_segment_wavefront_offset 0
		.amdhsa_system_sgpr_workgroup_id_x 1
		.amdhsa_system_sgpr_workgroup_id_y 0
		.amdhsa_system_sgpr_workgroup_id_z 0
		.amdhsa_system_sgpr_workgroup_info 0
		.amdhsa_system_vgpr_workitem_id 0
		.amdhsa_next_free_vgpr 18
		.amdhsa_next_free_sgpr 8
		.amdhsa_reserve_vcc 1
		.amdhsa_reserve_flat_scratch 0
		.amdhsa_float_round_mode_32 0
		.amdhsa_float_round_mode_16_64 0
		.amdhsa_float_denorm_mode_32 3
		.amdhsa_float_denorm_mode_16_64 3
		.amdhsa_dx10_clamp 1
		.amdhsa_ieee_mode 1
		.amdhsa_fp16_overflow 0
		.amdhsa_workgroup_processor_mode 1
		.amdhsa_memory_ordered 1
		.amdhsa_forward_progress 1
		.amdhsa_shared_vgpr_count 0
		.amdhsa_exception_fp_ieee_invalid_op 0
		.amdhsa_exception_fp_denorm_src 0
		.amdhsa_exception_fp_ieee_div_zero 0
		.amdhsa_exception_fp_ieee_overflow 0
		.amdhsa_exception_fp_ieee_underflow 0
		.amdhsa_exception_fp_ieee_inexact 0
		.amdhsa_exception_int_div_zero 0
	.end_amdhsa_kernel
	.section	.text._Z10sort_pairsILj256ELj4ELj1ExN10test_utils4lessEEvPKT2_PS2_T3_,"axG",@progbits,_Z10sort_pairsILj256ELj4ELj1ExN10test_utils4lessEEvPKT2_PS2_T3_,comdat
.Lfunc_end145:
	.size	_Z10sort_pairsILj256ELj4ELj1ExN10test_utils4lessEEvPKT2_PS2_T3_, .Lfunc_end145-_Z10sort_pairsILj256ELj4ELj1ExN10test_utils4lessEEvPKT2_PS2_T3_
                                        ; -- End function
	.set _Z10sort_pairsILj256ELj4ELj1ExN10test_utils4lessEEvPKT2_PS2_T3_.num_vgpr, 18
	.set _Z10sort_pairsILj256ELj4ELj1ExN10test_utils4lessEEvPKT2_PS2_T3_.num_agpr, 0
	.set _Z10sort_pairsILj256ELj4ELj1ExN10test_utils4lessEEvPKT2_PS2_T3_.numbered_sgpr, 8
	.set _Z10sort_pairsILj256ELj4ELj1ExN10test_utils4lessEEvPKT2_PS2_T3_.num_named_barrier, 0
	.set _Z10sort_pairsILj256ELj4ELj1ExN10test_utils4lessEEvPKT2_PS2_T3_.private_seg_size, 0
	.set _Z10sort_pairsILj256ELj4ELj1ExN10test_utils4lessEEvPKT2_PS2_T3_.uses_vcc, 1
	.set _Z10sort_pairsILj256ELj4ELj1ExN10test_utils4lessEEvPKT2_PS2_T3_.uses_flat_scratch, 0
	.set _Z10sort_pairsILj256ELj4ELj1ExN10test_utils4lessEEvPKT2_PS2_T3_.has_dyn_sized_stack, 0
	.set _Z10sort_pairsILj256ELj4ELj1ExN10test_utils4lessEEvPKT2_PS2_T3_.has_recursion, 0
	.set _Z10sort_pairsILj256ELj4ELj1ExN10test_utils4lessEEvPKT2_PS2_T3_.has_indirect_call, 0
	.section	.AMDGPU.csdata,"",@progbits
; Kernel info:
; codeLenInByte = 756
; TotalNumSgprs: 10
; NumVgprs: 18
; ScratchSize: 0
; MemoryBound: 0
; FloatMode: 240
; IeeeMode: 1
; LDSByteSize: 2560 bytes/workgroup (compile time only)
; SGPRBlocks: 0
; VGPRBlocks: 2
; NumSGPRsForWavesPerEU: 10
; NumVGPRsForWavesPerEU: 18
; Occupancy: 16
; WaveLimiterHint : 0
; COMPUTE_PGM_RSRC2:SCRATCH_EN: 0
; COMPUTE_PGM_RSRC2:USER_SGPR: 6
; COMPUTE_PGM_RSRC2:TRAP_HANDLER: 0
; COMPUTE_PGM_RSRC2:TGID_X_EN: 1
; COMPUTE_PGM_RSRC2:TGID_Y_EN: 0
; COMPUTE_PGM_RSRC2:TGID_Z_EN: 0
; COMPUTE_PGM_RSRC2:TIDIG_COMP_CNT: 0
	.section	.text._Z19sort_keys_segmentedILj256ELj4ELj1ExN10test_utils4lessEEvPKT2_PS2_PKjT3_,"axG",@progbits,_Z19sort_keys_segmentedILj256ELj4ELj1ExN10test_utils4lessEEvPKT2_PS2_PKjT3_,comdat
	.protected	_Z19sort_keys_segmentedILj256ELj4ELj1ExN10test_utils4lessEEvPKT2_PS2_PKjT3_ ; -- Begin function _Z19sort_keys_segmentedILj256ELj4ELj1ExN10test_utils4lessEEvPKT2_PS2_PKjT3_
	.globl	_Z19sort_keys_segmentedILj256ELj4ELj1ExN10test_utils4lessEEvPKT2_PS2_PKjT3_
	.p2align	8
	.type	_Z19sort_keys_segmentedILj256ELj4ELj1ExN10test_utils4lessEEvPKT2_PS2_PKjT3_,@function
_Z19sort_keys_segmentedILj256ELj4ELj1ExN10test_utils4lessEEvPKT2_PS2_PKjT3_: ; @_Z19sort_keys_segmentedILj256ELj4ELj1ExN10test_utils4lessEEvPKT2_PS2_PKjT3_
; %bb.0:
	s_load_dwordx2 s[0:1], s[4:5], 0x10
	v_lshrrev_b32_e32 v12, 2, v0
	v_mov_b32_e32 v1, 0
	v_mbcnt_lo_u32_b32 v4, -1, 0
	v_lshl_or_b32 v0, s6, 6, v12
	s_load_dwordx4 s[4:7], s[4:5], 0x0
	v_and_b32_e32 v7, 3, v4
	v_lshlrev_b64 v[2:3], 2, v[0:1]
	v_lshlrev_b32_e32 v0, 2, v0
	s_waitcnt lgkmcnt(0)
	v_add_co_u32 v2, vcc_lo, s0, v2
	v_add_co_ci_u32_e64 v3, null, s1, v3, vcc_lo
	global_load_dword v6, v[2:3], off
	s_waitcnt vmcnt(0)
	v_cmp_ge_u32_e64 s0, v7, v6
	v_cmp_lt_u32_e32 vcc_lo, v7, v6
	s_and_saveexec_b32 s1, s0
	s_xor_b32 s0, exec_lo, s1
	s_or_saveexec_b32 s1, s0
	v_lshlrev_b64 v[0:1], 3, v[0:1]
                                        ; implicit-def: $vgpr2_vgpr3
	s_xor_b32 exec_lo, exec_lo, s1
	s_cbranch_execz .LBB146_2
; %bb.1:
	v_lshlrev_b32_e32 v2, 3, v7
	v_add_co_u32 v3, s0, s4, v0
	v_add_co_ci_u32_e64 v5, null, s5, v1, s0
	v_add_co_u32 v2, s0, v3, v2
	v_add_co_ci_u32_e64 v3, null, 0, v5, s0
	global_load_dwordx2 v[2:3], v[2:3], off
.LBB146_2:
	s_or_b32 exec_lo, exec_lo, s1
	v_and_b32_e32 v5, 2, v4
	v_and_b32_e32 v4, 1, v4
	s_mov_b32 s2, 0
	s_mov_b32 s1, exec_lo
	v_min_i32_e32 v11, v6, v5
	v_min_i32_e32 v14, v6, v4
	v_lshlrev_b32_e32 v4, 3, v7
	; wave barrier
	v_add_nc_u32_e32 v5, 1, v11
	v_lshlrev_b32_e32 v16, 3, v11
	v_min_i32_e32 v10, v6, v5
	v_add_nc_u32_e32 v5, 1, v10
	v_sub_nc_u32_e32 v15, v10, v11
	v_min_i32_e32 v9, v6, v5
	v_mul_u32_u24_e32 v5, 40, v12
	v_min_i32_e32 v15, v14, v15
	v_sub_nc_u32_e32 v8, v9, v10
	v_sub_nc_u32_e32 v13, v14, v8
	v_cmp_ge_i32_e64 s0, v14, v8
	v_mad_u32_u24 v8, v12, 40, v4
	v_mad_u32_u24 v12, v12, 40, v16
	v_cndmask_b32_e64 v13, 0, v13, s0
	s_waitcnt vmcnt(0)
	ds_write_b64 v8, v[2:3]
	; wave barrier
	v_cmpx_lt_i32_e64 v13, v15
	s_cbranch_execz .LBB146_6
; %bb.3:
	v_lshlrev_b32_e32 v2, 3, v10
	v_lshlrev_b32_e32 v3, 3, v14
	v_add3_u32 v2, v5, v2, v3
	.p2align	6
.LBB146_4:                              ; =>This Inner Loop Header: Depth=1
	v_sub_nc_u32_e32 v3, v15, v13
	v_lshrrev_b32_e32 v3, 1, v3
	v_add_nc_u32_e32 v3, v3, v13
	v_not_b32_e32 v16, v3
	v_lshl_add_u32 v17, v3, 3, v12
	v_lshl_add_u32 v18, v16, 3, v2
	ds_read_b64 v[16:17], v17
	ds_read_b64 v[18:19], v18
	s_waitcnt lgkmcnt(0)
	v_cmp_lt_i64_e64 s0, v[18:19], v[16:17]
	v_add_nc_u32_e32 v16, 1, v3
	v_cndmask_b32_e64 v15, v15, v3, s0
	v_cndmask_b32_e64 v13, v16, v13, s0
	v_cmp_ge_i32_e64 s0, v13, v15
	s_or_b32 s2, s0, s2
	s_andn2_b32 exec_lo, exec_lo, s2
	s_cbranch_execnz .LBB146_4
; %bb.5:
	s_or_b32 exec_lo, exec_lo, s2
.LBB146_6:
	s_or_b32 exec_lo, exec_lo, s1
	v_add_nc_u32_e32 v2, v10, v14
	v_lshl_add_u32 v3, v13, 3, v12
	v_add_nc_u32_e32 v11, v13, v11
	s_mov_b32 s3, 0
	v_sub_nc_u32_e32 v18, v2, v13
	v_min_i32_e32 v2, 0, v6
	v_cmp_le_i32_e64 s1, v10, v11
	v_lshl_add_u32 v12, v18, 3, v5
	v_add_nc_u32_e32 v19, 2, v2
	v_cmp_gt_i32_e64 s2, v9, v18
	v_lshl_add_u32 v9, v2, 3, v5
	ds_read_b64 v[14:15], v3
	ds_read_b64 v[16:17], v12
	v_min_i32_e32 v12, v6, v19
	; wave barrier
	v_add_nc_u32_e32 v3, 2, v12
	v_sub_nc_u32_e32 v13, v12, v2
	v_min_i32_e32 v3, v6, v3
	v_min_i32_e32 v6, v6, v7
	v_sub_nc_u32_e32 v7, v3, v12
	v_min_i32_e32 v10, v6, v13
	s_waitcnt lgkmcnt(0)
	v_cmp_lt_i64_e64 s0, v[16:17], v[14:15]
	v_sub_nc_u32_e32 v11, v6, v7
	s_or_b32 s1, s1, s0
	v_cmp_ge_i32_e64 s0, v6, v7
	v_cndmask_b32_e64 v7, 0, v11, s0
	s_and_b32 s0, s2, s1
	s_mov_b32 s1, exec_lo
	v_cndmask_b32_e64 v15, v15, v17, s0
	v_cndmask_b32_e64 v14, v14, v16, s0
	ds_write_b64 v8, v[14:15]
	; wave barrier
	v_cmpx_lt_i32_e64 v7, v10
	s_cbranch_execnz .LBB146_9
; %bb.7:
	s_or_b32 exec_lo, exec_lo, s1
	s_and_saveexec_b32 s0, vcc_lo
	s_cbranch_execnz .LBB146_12
.LBB146_8:
	s_endpgm
.LBB146_9:
	v_lshlrev_b32_e32 v8, 3, v12
	v_lshlrev_b32_e32 v11, 3, v6
	v_add3_u32 v8, v5, v8, v11
	.p2align	6
.LBB146_10:                             ; =>This Inner Loop Header: Depth=1
	v_sub_nc_u32_e32 v11, v10, v7
	v_lshrrev_b32_e32 v11, 1, v11
	v_add_nc_u32_e32 v11, v11, v7
	v_not_b32_e32 v13, v11
	v_lshl_add_u32 v14, v11, 3, v9
	v_lshl_add_u32 v15, v13, 3, v8
	ds_read_b64 v[13:14], v14
	ds_read_b64 v[15:16], v15
	s_waitcnt lgkmcnt(0)
	v_cmp_lt_i64_e64 s0, v[15:16], v[13:14]
	v_add_nc_u32_e32 v13, 1, v11
	v_cndmask_b32_e64 v10, v10, v11, s0
	v_cndmask_b32_e64 v7, v13, v7, s0
	v_cmp_ge_i32_e64 s0, v7, v10
	s_or_b32 s3, s0, s3
	s_andn2_b32 exec_lo, exec_lo, s3
	s_cbranch_execnz .LBB146_10
; %bb.11:
	s_or_b32 exec_lo, exec_lo, s3
	s_or_b32 exec_lo, exec_lo, s1
	s_and_saveexec_b32 s0, vcc_lo
	s_cbranch_execz .LBB146_8
.LBB146_12:
	v_add_nc_u32_e32 v6, v12, v6
	v_lshl_add_u32 v8, v7, 3, v9
	v_add_nc_u32_e32 v2, v7, v2
	v_add_co_u32 v0, s1, s6, v0
	v_sub_nc_u32_e32 v10, v6, v7
	v_add_co_ci_u32_e64 v1, null, s7, v1, s1
	v_cmp_le_i32_e32 vcc_lo, v12, v2
	v_lshl_add_u32 v5, v10, 3, v5
	v_cmp_gt_i32_e64 s1, v3, v10
	ds_read_b64 v[5:6], v5
	ds_read_b64 v[8:9], v8
	s_waitcnt lgkmcnt(0)
	v_cmp_lt_i64_e64 s0, v[5:6], v[8:9]
	s_or_b32 s0, vcc_lo, s0
	v_add_co_u32 v0, vcc_lo, v0, v4
	v_add_co_ci_u32_e64 v1, null, 0, v1, vcc_lo
	s_and_b32 vcc_lo, s1, s0
	v_cndmask_b32_e32 v3, v9, v6, vcc_lo
	v_cndmask_b32_e32 v2, v8, v5, vcc_lo
	global_store_dwordx2 v[0:1], v[2:3], off
	s_endpgm
	.section	.rodata,"a",@progbits
	.p2align	6, 0x0
	.amdhsa_kernel _Z19sort_keys_segmentedILj256ELj4ELj1ExN10test_utils4lessEEvPKT2_PS2_PKjT3_
		.amdhsa_group_segment_fixed_size 2560
		.amdhsa_private_segment_fixed_size 0
		.amdhsa_kernarg_size 28
		.amdhsa_user_sgpr_count 6
		.amdhsa_user_sgpr_private_segment_buffer 1
		.amdhsa_user_sgpr_dispatch_ptr 0
		.amdhsa_user_sgpr_queue_ptr 0
		.amdhsa_user_sgpr_kernarg_segment_ptr 1
		.amdhsa_user_sgpr_dispatch_id 0
		.amdhsa_user_sgpr_flat_scratch_init 0
		.amdhsa_user_sgpr_private_segment_size 0
		.amdhsa_wavefront_size32 1
		.amdhsa_uses_dynamic_stack 0
		.amdhsa_system_sgpr_private_segment_wavefront_offset 0
		.amdhsa_system_sgpr_workgroup_id_x 1
		.amdhsa_system_sgpr_workgroup_id_y 0
		.amdhsa_system_sgpr_workgroup_id_z 0
		.amdhsa_system_sgpr_workgroup_info 0
		.amdhsa_system_vgpr_workitem_id 0
		.amdhsa_next_free_vgpr 20
		.amdhsa_next_free_sgpr 8
		.amdhsa_reserve_vcc 1
		.amdhsa_reserve_flat_scratch 0
		.amdhsa_float_round_mode_32 0
		.amdhsa_float_round_mode_16_64 0
		.amdhsa_float_denorm_mode_32 3
		.amdhsa_float_denorm_mode_16_64 3
		.amdhsa_dx10_clamp 1
		.amdhsa_ieee_mode 1
		.amdhsa_fp16_overflow 0
		.amdhsa_workgroup_processor_mode 1
		.amdhsa_memory_ordered 1
		.amdhsa_forward_progress 1
		.amdhsa_shared_vgpr_count 0
		.amdhsa_exception_fp_ieee_invalid_op 0
		.amdhsa_exception_fp_denorm_src 0
		.amdhsa_exception_fp_ieee_div_zero 0
		.amdhsa_exception_fp_ieee_overflow 0
		.amdhsa_exception_fp_ieee_underflow 0
		.amdhsa_exception_fp_ieee_inexact 0
		.amdhsa_exception_int_div_zero 0
	.end_amdhsa_kernel
	.section	.text._Z19sort_keys_segmentedILj256ELj4ELj1ExN10test_utils4lessEEvPKT2_PS2_PKjT3_,"axG",@progbits,_Z19sort_keys_segmentedILj256ELj4ELj1ExN10test_utils4lessEEvPKT2_PS2_PKjT3_,comdat
.Lfunc_end146:
	.size	_Z19sort_keys_segmentedILj256ELj4ELj1ExN10test_utils4lessEEvPKT2_PS2_PKjT3_, .Lfunc_end146-_Z19sort_keys_segmentedILj256ELj4ELj1ExN10test_utils4lessEEvPKT2_PS2_PKjT3_
                                        ; -- End function
	.set _Z19sort_keys_segmentedILj256ELj4ELj1ExN10test_utils4lessEEvPKT2_PS2_PKjT3_.num_vgpr, 20
	.set _Z19sort_keys_segmentedILj256ELj4ELj1ExN10test_utils4lessEEvPKT2_PS2_PKjT3_.num_agpr, 0
	.set _Z19sort_keys_segmentedILj256ELj4ELj1ExN10test_utils4lessEEvPKT2_PS2_PKjT3_.numbered_sgpr, 8
	.set _Z19sort_keys_segmentedILj256ELj4ELj1ExN10test_utils4lessEEvPKT2_PS2_PKjT3_.num_named_barrier, 0
	.set _Z19sort_keys_segmentedILj256ELj4ELj1ExN10test_utils4lessEEvPKT2_PS2_PKjT3_.private_seg_size, 0
	.set _Z19sort_keys_segmentedILj256ELj4ELj1ExN10test_utils4lessEEvPKT2_PS2_PKjT3_.uses_vcc, 1
	.set _Z19sort_keys_segmentedILj256ELj4ELj1ExN10test_utils4lessEEvPKT2_PS2_PKjT3_.uses_flat_scratch, 0
	.set _Z19sort_keys_segmentedILj256ELj4ELj1ExN10test_utils4lessEEvPKT2_PS2_PKjT3_.has_dyn_sized_stack, 0
	.set _Z19sort_keys_segmentedILj256ELj4ELj1ExN10test_utils4lessEEvPKT2_PS2_PKjT3_.has_recursion, 0
	.set _Z19sort_keys_segmentedILj256ELj4ELj1ExN10test_utils4lessEEvPKT2_PS2_PKjT3_.has_indirect_call, 0
	.section	.AMDGPU.csdata,"",@progbits
; Kernel info:
; codeLenInByte = 948
; TotalNumSgprs: 10
; NumVgprs: 20
; ScratchSize: 0
; MemoryBound: 0
; FloatMode: 240
; IeeeMode: 1
; LDSByteSize: 2560 bytes/workgroup (compile time only)
; SGPRBlocks: 0
; VGPRBlocks: 2
; NumSGPRsForWavesPerEU: 10
; NumVGPRsForWavesPerEU: 20
; Occupancy: 16
; WaveLimiterHint : 0
; COMPUTE_PGM_RSRC2:SCRATCH_EN: 0
; COMPUTE_PGM_RSRC2:USER_SGPR: 6
; COMPUTE_PGM_RSRC2:TRAP_HANDLER: 0
; COMPUTE_PGM_RSRC2:TGID_X_EN: 1
; COMPUTE_PGM_RSRC2:TGID_Y_EN: 0
; COMPUTE_PGM_RSRC2:TGID_Z_EN: 0
; COMPUTE_PGM_RSRC2:TIDIG_COMP_CNT: 0
	.section	.text._Z20sort_pairs_segmentedILj256ELj4ELj1ExN10test_utils4lessEEvPKT2_PS2_PKjT3_,"axG",@progbits,_Z20sort_pairs_segmentedILj256ELj4ELj1ExN10test_utils4lessEEvPKT2_PS2_PKjT3_,comdat
	.protected	_Z20sort_pairs_segmentedILj256ELj4ELj1ExN10test_utils4lessEEvPKT2_PS2_PKjT3_ ; -- Begin function _Z20sort_pairs_segmentedILj256ELj4ELj1ExN10test_utils4lessEEvPKT2_PS2_PKjT3_
	.globl	_Z20sort_pairs_segmentedILj256ELj4ELj1ExN10test_utils4lessEEvPKT2_PS2_PKjT3_
	.p2align	8
	.type	_Z20sort_pairs_segmentedILj256ELj4ELj1ExN10test_utils4lessEEvPKT2_PS2_PKjT3_,@function
_Z20sort_pairs_segmentedILj256ELj4ELj1ExN10test_utils4lessEEvPKT2_PS2_PKjT3_: ; @_Z20sort_pairs_segmentedILj256ELj4ELj1ExN10test_utils4lessEEvPKT2_PS2_PKjT3_
; %bb.0:
	s_load_dwordx2 s[0:1], s[4:5], 0x10
	v_lshrrev_b32_e32 v12, 2, v0
	v_mov_b32_e32 v1, 0
	v_mbcnt_lo_u32_b32 v8, -1, 0
	v_lshl_or_b32 v0, s6, 6, v12
	s_load_dwordx4 s[4:7], s[4:5], 0x0
	v_and_b32_e32 v5, 3, v8
	v_lshlrev_b64 v[2:3], 2, v[0:1]
	v_lshlrev_b32_e32 v0, 2, v0
	s_waitcnt lgkmcnt(0)
	v_add_co_u32 v2, vcc_lo, s0, v2
	v_add_co_ci_u32_e64 v3, null, s1, v3, vcc_lo
	global_load_dword v4, v[2:3], off
	s_waitcnt vmcnt(0)
	v_cmp_ge_u32_e64 s0, v5, v4
	v_cmp_lt_u32_e32 vcc_lo, v5, v4
	s_and_saveexec_b32 s1, s0
	s_xor_b32 s0, exec_lo, s1
	s_or_saveexec_b32 s1, s0
	v_lshlrev_b64 v[0:1], 3, v[0:1]
                                        ; implicit-def: $vgpr2_vgpr3
	s_xor_b32 exec_lo, exec_lo, s1
	s_cbranch_execz .LBB147_2
; %bb.1:
	v_lshlrev_b32_e32 v2, 3, v5
	v_add_co_u32 v3, s0, s4, v0
	v_add_co_ci_u32_e64 v6, null, s5, v1, s0
	v_add_co_u32 v2, s0, v3, v2
	v_add_co_ci_u32_e64 v3, null, 0, v6, s0
	global_load_dwordx2 v[2:3], v[2:3], off
.LBB147_2:
	s_or_b32 exec_lo, exec_lo, s1
	v_and_b32_e32 v6, 2, v8
	v_and_b32_e32 v8, 1, v8
	s_mov_b32 s2, 0
	s_mov_b32 s1, exec_lo
	v_min_i32_e32 v7, v4, v6
	v_min_i32_e32 v14, v4, v8
	v_lshlrev_b32_e32 v8, 3, v5
	; wave barrier
	v_add_nc_u32_e32 v6, 1, v7
	v_lshlrev_b32_e32 v16, 3, v7
	v_min_i32_e32 v6, v4, v6
	v_add_nc_u32_e32 v9, 1, v6
	v_sub_nc_u32_e32 v15, v6, v7
	v_min_i32_e32 v11, v4, v9
	v_mul_u32_u24_e32 v9, 40, v12
	v_min_i32_e32 v15, v14, v15
	v_sub_nc_u32_e32 v10, v11, v6
	v_sub_nc_u32_e32 v13, v14, v10
	v_cmp_ge_i32_e64 s0, v14, v10
	v_mad_u32_u24 v10, v12, 40, v8
	v_mad_u32_u24 v12, v12, 40, v16
	v_cndmask_b32_e64 v13, 0, v13, s0
	s_waitcnt vmcnt(0)
	ds_write_b64 v10, v[2:3]
	; wave barrier
	v_cmpx_lt_i32_e64 v13, v15
	s_cbranch_execz .LBB147_6
; %bb.3:
	v_lshlrev_b32_e32 v16, 3, v6
	v_lshlrev_b32_e32 v17, 3, v14
	v_add3_u32 v16, v9, v16, v17
	.p2align	6
.LBB147_4:                              ; =>This Inner Loop Header: Depth=1
	v_sub_nc_u32_e32 v17, v15, v13
	v_lshrrev_b32_e32 v17, 1, v17
	v_add_nc_u32_e32 v21, v17, v13
	v_not_b32_e32 v17, v21
	v_lshl_add_u32 v18, v21, 3, v12
	v_lshl_add_u32 v19, v17, 3, v16
	ds_read_b64 v[17:18], v18
	ds_read_b64 v[19:20], v19
	s_waitcnt lgkmcnt(0)
	v_cmp_lt_i64_e64 s0, v[19:20], v[17:18]
	v_add_nc_u32_e32 v17, 1, v21
	v_cndmask_b32_e64 v15, v15, v21, s0
	v_cndmask_b32_e64 v13, v17, v13, s0
	v_cmp_ge_i32_e64 s0, v13, v15
	s_or_b32 s2, s0, s2
	s_andn2_b32 exec_lo, exec_lo, s2
	s_cbranch_execnz .LBB147_4
; %bb.5:
	s_or_b32 exec_lo, exec_lo, s2
.LBB147_6:
	s_or_b32 exec_lo, exec_lo, s1
	v_add_nc_u32_e32 v14, v6, v14
	v_lshl_add_u32 v12, v13, 3, v12
	v_add_nc_u32_e32 v7, v13, v7
	v_sub_nc_u32_e32 v14, v14, v13
	v_cmp_le_i32_e64 s1, v6, v7
	v_lshl_add_u32 v17, v14, 3, v9
	v_cmp_gt_i32_e64 s2, v11, v14
	ds_read_b64 v[15:16], v12
	ds_read_b64 v[17:18], v17
	v_min_i32_e32 v12, 0, v4
	; wave barrier
	v_add_nc_u32_e32 v13, 2, v12
	v_min_i32_e32 v11, v4, v13
	v_add_nc_u32_e32 v6, 2, v11
	s_waitcnt lgkmcnt(0)
	v_cmp_lt_i64_e64 s0, v[17:18], v[15:16]
	v_min_i32_e32 v13, v4, v6
	v_min_i32_e32 v4, v4, v5
	v_sub_nc_u32_e32 v5, v13, v11
	s_or_b32 s1, s1, s0
	v_add_co_u32 v2, s0, v2, 1
	v_add_co_ci_u32_e64 v3, null, 0, v3, s0
	s_and_b32 s0, s2, s1
	v_sub_nc_u32_e32 v6, v4, v5
	v_cndmask_b32_e64 v7, v7, v14, s0
	ds_write_b64 v10, v[2:3]
	; wave barrier
	v_cmp_ge_i32_e64 s1, v4, v5
	v_lshl_add_u32 v2, v7, 3, v9
	v_sub_nc_u32_e32 v7, v11, v12
	v_cndmask_b32_e64 v16, v16, v18, s0
	v_cndmask_b32_e64 v15, v15, v17, s0
	;; [unrolled: 1-line block ×3, first 2 shown]
	ds_read_b64 v[2:3], v2
	v_min_i32_e32 v6, v4, v7
	v_lshl_add_u32 v5, v12, 3, v9
	s_mov_b32 s2, 0
	s_mov_b32 s1, exec_lo
	; wave barrier
	ds_write_b64 v10, v[15:16]
	; wave barrier
	v_cmpx_lt_i32_e64 v14, v6
	s_cbranch_execz .LBB147_10
; %bb.7:
	v_lshlrev_b32_e32 v7, 3, v11
	v_lshlrev_b32_e32 v15, 3, v4
	v_add3_u32 v7, v9, v7, v15
	.p2align	6
.LBB147_8:                              ; =>This Inner Loop Header: Depth=1
	v_sub_nc_u32_e32 v15, v6, v14
	v_lshrrev_b32_e32 v15, 1, v15
	v_add_nc_u32_e32 v19, v15, v14
	v_not_b32_e32 v15, v19
	v_lshl_add_u32 v16, v19, 3, v5
	v_lshl_add_u32 v17, v15, 3, v7
	ds_read_b64 v[15:16], v16
	ds_read_b64 v[17:18], v17
	s_waitcnt lgkmcnt(0)
	v_cmp_lt_i64_e64 s0, v[17:18], v[15:16]
	v_add_nc_u32_e32 v15, 1, v19
	v_cndmask_b32_e64 v6, v6, v19, s0
	v_cndmask_b32_e64 v14, v15, v14, s0
	v_cmp_ge_i32_e64 s0, v14, v6
	s_or_b32 s2, s0, s2
	s_andn2_b32 exec_lo, exec_lo, s2
	s_cbranch_execnz .LBB147_8
; %bb.9:
	s_or_b32 exec_lo, exec_lo, s2
.LBB147_10:
	s_or_b32 exec_lo, exec_lo, s1
	v_add_nc_u32_e32 v4, v11, v4
	v_sub_nc_u32_e32 v15, v4, v14
	v_lshl_add_u32 v4, v14, 3, v5
	v_lshl_add_u32 v6, v15, 3, v9
	ds_read_b64 v[4:5], v4
	ds_read_b64 v[6:7], v6
	; wave barrier
	s_waitcnt lgkmcnt(3)
	ds_write_b64 v10, v[2:3]
	; wave barrier
	s_and_saveexec_b32 s0, vcc_lo
	s_cbranch_execz .LBB147_12
; %bb.11:
	v_add_nc_u32_e32 v2, v14, v12
	s_waitcnt lgkmcnt(1)
	v_cmp_lt_i64_e32 vcc_lo, v[6:7], v[4:5]
	v_cmp_gt_i32_e64 s1, v13, v15
	v_cmp_le_i32_e64 s0, v11, v2
	s_or_b32 s0, s0, vcc_lo
	s_and_b32 vcc_lo, s1, s0
	v_cndmask_b32_e32 v2, v2, v15, vcc_lo
	v_cndmask_b32_e32 v4, v4, v6, vcc_lo
	;; [unrolled: 1-line block ×3, first 2 shown]
	v_add_co_u32 v6, vcc_lo, s6, v0
	v_lshl_add_u32 v2, v2, 3, v9
	v_add_co_ci_u32_e64 v7, null, s7, v1, vcc_lo
	ds_read_b64 v[2:3], v2
	s_waitcnt lgkmcnt(0)
	v_add_co_u32 v0, vcc_lo, v2, v4
	v_add_co_ci_u32_e64 v1, null, v3, v5, vcc_lo
	v_add_co_u32 v2, vcc_lo, v6, v8
	v_add_co_ci_u32_e64 v3, null, 0, v7, vcc_lo
	global_store_dwordx2 v[2:3], v[0:1], off
.LBB147_12:
	s_endpgm
	.section	.rodata,"a",@progbits
	.p2align	6, 0x0
	.amdhsa_kernel _Z20sort_pairs_segmentedILj256ELj4ELj1ExN10test_utils4lessEEvPKT2_PS2_PKjT3_
		.amdhsa_group_segment_fixed_size 2560
		.amdhsa_private_segment_fixed_size 0
		.amdhsa_kernarg_size 28
		.amdhsa_user_sgpr_count 6
		.amdhsa_user_sgpr_private_segment_buffer 1
		.amdhsa_user_sgpr_dispatch_ptr 0
		.amdhsa_user_sgpr_queue_ptr 0
		.amdhsa_user_sgpr_kernarg_segment_ptr 1
		.amdhsa_user_sgpr_dispatch_id 0
		.amdhsa_user_sgpr_flat_scratch_init 0
		.amdhsa_user_sgpr_private_segment_size 0
		.amdhsa_wavefront_size32 1
		.amdhsa_uses_dynamic_stack 0
		.amdhsa_system_sgpr_private_segment_wavefront_offset 0
		.amdhsa_system_sgpr_workgroup_id_x 1
		.amdhsa_system_sgpr_workgroup_id_y 0
		.amdhsa_system_sgpr_workgroup_id_z 0
		.amdhsa_system_sgpr_workgroup_info 0
		.amdhsa_system_vgpr_workitem_id 0
		.amdhsa_next_free_vgpr 22
		.amdhsa_next_free_sgpr 8
		.amdhsa_reserve_vcc 1
		.amdhsa_reserve_flat_scratch 0
		.amdhsa_float_round_mode_32 0
		.amdhsa_float_round_mode_16_64 0
		.amdhsa_float_denorm_mode_32 3
		.amdhsa_float_denorm_mode_16_64 3
		.amdhsa_dx10_clamp 1
		.amdhsa_ieee_mode 1
		.amdhsa_fp16_overflow 0
		.amdhsa_workgroup_processor_mode 1
		.amdhsa_memory_ordered 1
		.amdhsa_forward_progress 1
		.amdhsa_shared_vgpr_count 0
		.amdhsa_exception_fp_ieee_invalid_op 0
		.amdhsa_exception_fp_denorm_src 0
		.amdhsa_exception_fp_ieee_div_zero 0
		.amdhsa_exception_fp_ieee_overflow 0
		.amdhsa_exception_fp_ieee_underflow 0
		.amdhsa_exception_fp_ieee_inexact 0
		.amdhsa_exception_int_div_zero 0
	.end_amdhsa_kernel
	.section	.text._Z20sort_pairs_segmentedILj256ELj4ELj1ExN10test_utils4lessEEvPKT2_PS2_PKjT3_,"axG",@progbits,_Z20sort_pairs_segmentedILj256ELj4ELj1ExN10test_utils4lessEEvPKT2_PS2_PKjT3_,comdat
.Lfunc_end147:
	.size	_Z20sort_pairs_segmentedILj256ELj4ELj1ExN10test_utils4lessEEvPKT2_PS2_PKjT3_, .Lfunc_end147-_Z20sort_pairs_segmentedILj256ELj4ELj1ExN10test_utils4lessEEvPKT2_PS2_PKjT3_
                                        ; -- End function
	.set _Z20sort_pairs_segmentedILj256ELj4ELj1ExN10test_utils4lessEEvPKT2_PS2_PKjT3_.num_vgpr, 22
	.set _Z20sort_pairs_segmentedILj256ELj4ELj1ExN10test_utils4lessEEvPKT2_PS2_PKjT3_.num_agpr, 0
	.set _Z20sort_pairs_segmentedILj256ELj4ELj1ExN10test_utils4lessEEvPKT2_PS2_PKjT3_.numbered_sgpr, 8
	.set _Z20sort_pairs_segmentedILj256ELj4ELj1ExN10test_utils4lessEEvPKT2_PS2_PKjT3_.num_named_barrier, 0
	.set _Z20sort_pairs_segmentedILj256ELj4ELj1ExN10test_utils4lessEEvPKT2_PS2_PKjT3_.private_seg_size, 0
	.set _Z20sort_pairs_segmentedILj256ELj4ELj1ExN10test_utils4lessEEvPKT2_PS2_PKjT3_.uses_vcc, 1
	.set _Z20sort_pairs_segmentedILj256ELj4ELj1ExN10test_utils4lessEEvPKT2_PS2_PKjT3_.uses_flat_scratch, 0
	.set _Z20sort_pairs_segmentedILj256ELj4ELj1ExN10test_utils4lessEEvPKT2_PS2_PKjT3_.has_dyn_sized_stack, 0
	.set _Z20sort_pairs_segmentedILj256ELj4ELj1ExN10test_utils4lessEEvPKT2_PS2_PKjT3_.has_recursion, 0
	.set _Z20sort_pairs_segmentedILj256ELj4ELj1ExN10test_utils4lessEEvPKT2_PS2_PKjT3_.has_indirect_call, 0
	.section	.AMDGPU.csdata,"",@progbits
; Kernel info:
; codeLenInByte = 1000
; TotalNumSgprs: 10
; NumVgprs: 22
; ScratchSize: 0
; MemoryBound: 0
; FloatMode: 240
; IeeeMode: 1
; LDSByteSize: 2560 bytes/workgroup (compile time only)
; SGPRBlocks: 0
; VGPRBlocks: 2
; NumSGPRsForWavesPerEU: 10
; NumVGPRsForWavesPerEU: 22
; Occupancy: 16
; WaveLimiterHint : 0
; COMPUTE_PGM_RSRC2:SCRATCH_EN: 0
; COMPUTE_PGM_RSRC2:USER_SGPR: 6
; COMPUTE_PGM_RSRC2:TRAP_HANDLER: 0
; COMPUTE_PGM_RSRC2:TGID_X_EN: 1
; COMPUTE_PGM_RSRC2:TGID_Y_EN: 0
; COMPUTE_PGM_RSRC2:TGID_Z_EN: 0
; COMPUTE_PGM_RSRC2:TIDIG_COMP_CNT: 0
	.section	.text._Z9sort_keysILj256ELj4ELj4ExN10test_utils4lessEEvPKT2_PS2_T3_,"axG",@progbits,_Z9sort_keysILj256ELj4ELj4ExN10test_utils4lessEEvPKT2_PS2_T3_,comdat
	.protected	_Z9sort_keysILj256ELj4ELj4ExN10test_utils4lessEEvPKT2_PS2_T3_ ; -- Begin function _Z9sort_keysILj256ELj4ELj4ExN10test_utils4lessEEvPKT2_PS2_T3_
	.globl	_Z9sort_keysILj256ELj4ELj4ExN10test_utils4lessEEvPKT2_PS2_T3_
	.p2align	8
	.type	_Z9sort_keysILj256ELj4ELj4ExN10test_utils4lessEEvPKT2_PS2_T3_,@function
_Z9sort_keysILj256ELj4ELj4ExN10test_utils4lessEEvPKT2_PS2_T3_: ; @_Z9sort_keysILj256ELj4ELj4ExN10test_utils4lessEEvPKT2_PS2_T3_
; %bb.0:
	s_load_dwordx4 s[8:11], s[4:5], 0x0
	s_mov_b32 s3, 0
	s_lshl_b32 s2, s6, 10
	v_lshlrev_b32_e32 v1, 5, v0
	s_lshl_b64 s[4:5], s[2:3], 3
	v_lshlrev_b32_e32 v16, 2, v0
	v_mov_b32_e32 v9, 0
	s_waitcnt lgkmcnt(0)
	s_add_u32 s0, s8, s4
	s_addc_u32 s1, s9, s5
	s_clause 0x1
	global_load_dwordx4 v[10:13], v1, s[0:1]
	global_load_dwordx4 v[21:24], v1, s[0:1] offset:16
	v_mbcnt_lo_u32_b32 v1, -1, 0
	; wave barrier
	v_lshlrev_b32_e32 v2, 2, v1
	v_lshrrev_b32_e32 v1, 2, v0
	v_and_b32_e32 v8, 8, v2
	v_and_b32_e32 v18, 12, v2
	;; [unrolled: 1-line block ×3, first 2 shown]
	v_or_b32_e32 v20, 4, v8
	v_lshlrev_b32_e32 v2, 3, v18
	v_lshlrev_b32_e32 v3, 3, v8
	v_sub_nc_u32_e32 v5, v20, v8
	v_mad_u32_u24 v19, 0x88, v1, v2
	v_mad_u32_u24 v0, 0x88, v1, v3
	v_min_i32_e32 v2, v4, v5
	s_waitcnt vmcnt(1)
	v_cmp_gt_i64_e32 vcc_lo, v[12:13], v[10:11]
	s_waitcnt vmcnt(0)
	v_cmp_lt_i64_e64 s0, v[23:24], v[21:22]
	v_cmp_lt_i64_e64 s1, v[12:13], v[10:11]
	v_cndmask_b32_e32 v6, v11, v13, vcc_lo
	v_cndmask_b32_e32 v5, v10, v12, vcc_lo
	v_cmp_gt_i64_e32 vcc_lo, v[23:24], v[21:22]
	v_cndmask_b32_e64 v15, v22, v24, s0
	v_cndmask_b32_e64 v14, v21, v23, s0
	;; [unrolled: 1-line block ×5, first 2 shown]
	v_cndmask_b32_e32 v25, v22, v24, vcc_lo
	v_cndmask_b32_e64 v10, v10, v12, s1
	v_cmp_gt_i64_e64 s1, v[14:15], v[5:6]
	v_cmp_lt_i64_e64 s2, v[14:15], v[5:6]
	v_cndmask_b32_e64 v12, v24, v22, s0
	v_cndmask_b32_e32 v24, v21, v23, vcc_lo
	v_cndmask_b32_e64 v7, v23, v21, s0
	v_cmp_lt_i64_e32 vcc_lo, v[14:15], v[10:11]
	v_cndmask_b32_e64 v23, v5, v14, s1
	v_cndmask_b32_e64 v26, v6, v15, s1
	v_cmp_gt_i64_e64 s0, v[5:6], v[24:25]
	v_cndmask_b32_e64 v21, v6, v15, s2
	v_cndmask_b32_e64 v28, v5, v14, s2
	v_cndmask_b32_e64 v13, v15, v6, s2
	v_cndmask_b32_e64 v15, v17, v15, s2
	v_cndmask_b32_e64 v3, v3, v14, s2
	v_cndmask_b32_e32 v6, v11, v21, vcc_lo
	v_cndmask_b32_e64 v12, v12, v26, s0
	v_cndmask_b32_e32 v22, v21, v11, vcc_lo
	v_cndmask_b32_e32 v21, v28, v10, vcc_lo
	v_cndmask_b32_e64 v27, v26, v25, s0
	v_cndmask_b32_e64 v26, v23, v24, s0
	;; [unrolled: 1-line block ×4, first 2 shown]
	v_cndmask_b32_e32 v15, v15, v11, vcc_lo
	v_cndmask_b32_e32 v3, v3, v10, vcc_lo
	v_cmp_lt_i64_e64 s1, v[26:27], v[21:22]
	v_cndmask_b32_e32 v5, v10, v28, vcc_lo
	v_cndmask_b32_e64 v10, v29, v24, s0
	v_cndmask_b32_e64 v11, v7, v23, s0
	s_mov_b32 s0, exec_lo
	v_cndmask_b32_e64 v14, v13, v22, s1
	v_cndmask_b32_e64 v23, v15, v27, s1
	;; [unrolled: 1-line block ×4, first 2 shown]
	ds_write2_b64 v19, v[5:6], v[22:23] offset1:1
	ds_write2_b64 v19, v[13:14], v[11:12] offset0:2 offset1:3
	; wave barrier
	v_cmpx_lt_i32_e32 0, v2
	s_cbranch_execz .LBB148_4
; %bb.1:
	v_lshl_add_u32 v3, v4, 3, v0
	v_mov_b32_e32 v9, 0
	.p2align	6
.LBB148_2:                              ; =>This Inner Loop Header: Depth=1
	v_sub_nc_u32_e32 v5, v2, v9
	v_lshrrev_b32_e32 v5, 1, v5
	v_add_nc_u32_e32 v7, v5, v9
	v_not_b32_e32 v5, v7
	v_lshl_add_u32 v6, v7, 3, v0
	v_lshl_add_u32 v10, v5, 3, v3
	ds_read_b64 v[5:6], v6
	ds_read_b64 v[10:11], v10 offset:32
	s_waitcnt lgkmcnt(0)
	v_cmp_lt_i64_e32 vcc_lo, v[10:11], v[5:6]
	v_add_nc_u32_e32 v5, 1, v7
	v_cndmask_b32_e32 v2, v2, v7, vcc_lo
	v_cndmask_b32_e32 v9, v5, v9, vcc_lo
	v_cmp_ge_i32_e32 vcc_lo, v9, v2
	s_or_b32 s3, vcc_lo, s3
	s_andn2_b32 exec_lo, exec_lo, s3
	s_cbranch_execnz .LBB148_2
; %bb.3:
	s_or_b32 exec_lo, exec_lo, s3
.LBB148_4:
	s_or_b32 exec_lo, exec_lo, s0
	v_mul_u32_u24_e32 v17, 0x88, v1
	v_add_nc_u32_e32 v1, v8, v4
	v_lshl_add_u32 v6, v9, 3, v0
	v_add_nc_u32_e32 v4, v20, v4
	v_add_nc_u32_e32 v21, 8, v8
	v_cmp_lt_i32_e64 s0, 3, v9
	v_sub_nc_u32_e32 v1, v1, v9
	v_sub_nc_u32_e32 v10, v4, v9
                                        ; implicit-def: $vgpr4_vgpr5
	v_lshl_add_u32 v11, v1, 3, v17
	ds_read_b64 v[0:1], v6
	ds_read_b64 v[2:3], v11 offset:32
	v_cmp_gt_i32_e64 s1, v21, v10
	s_waitcnt lgkmcnt(0)
	v_cmp_lt_i64_e32 vcc_lo, v[2:3], v[0:1]
	s_or_b32 s0, s0, vcc_lo
	s_and_b32 vcc_lo, s1, s0
	s_xor_b32 s0, vcc_lo, -1
	s_and_saveexec_b32 s1, s0
	s_xor_b32 s0, exec_lo, s1
; %bb.5:
	ds_read_b64 v[4:5], v6 offset:8
                                        ; implicit-def: $vgpr11
; %bb.6:
	s_or_saveexec_b32 s0, s0
	v_mov_b32_e32 v7, v3
	v_mov_b32_e32 v6, v2
	s_xor_b32 exec_lo, exec_lo, s0
	s_cbranch_execz .LBB148_8
; %bb.7:
	ds_read_b64 v[6:7], v11 offset:40
	s_waitcnt lgkmcnt(1)
	v_mov_b32_e32 v5, v1
	v_mov_b32_e32 v4, v0
.LBB148_8:
	s_or_b32 exec_lo, exec_lo, s0
	v_add_nc_u32_e32 v8, v9, v8
	v_add_nc_u32_e32 v12, 1, v10
	s_waitcnt lgkmcnt(0)
	v_cmp_lt_i64_e64 s0, v[6:7], v[4:5]
	v_add_nc_u32_e32 v9, 1, v8
	v_cndmask_b32_e32 v10, v10, v12, vcc_lo
	v_cndmask_b32_e32 v11, v9, v8, vcc_lo
	v_cmp_lt_i32_e64 s2, v10, v21
                                        ; implicit-def: $vgpr8_vgpr9
	v_cmp_ge_i32_e64 s1, v11, v20
	s_or_b32 s0, s1, s0
	s_and_b32 s0, s2, s0
	s_xor_b32 s1, s0, -1
	s_and_saveexec_b32 s2, s1
	s_xor_b32 s1, exec_lo, s2
; %bb.9:
	v_lshl_add_u32 v8, v11, 3, v17
	ds_read_b64 v[8:9], v8 offset:8
; %bb.10:
	s_or_saveexec_b32 s1, s1
	v_mov_b32_e32 v13, v7
	v_mov_b32_e32 v12, v6
	s_xor_b32 exec_lo, exec_lo, s1
	s_cbranch_execz .LBB148_12
; %bb.11:
	s_waitcnt lgkmcnt(0)
	v_lshl_add_u32 v8, v10, 3, v17
	ds_read_b64 v[12:13], v8 offset:8
	v_mov_b32_e32 v9, v5
	v_mov_b32_e32 v8, v4
.LBB148_12:
	s_or_b32 exec_lo, exec_lo, s1
	v_add_nc_u32_e32 v14, 1, v11
	v_add_nc_u32_e32 v15, 1, v10
	s_waitcnt lgkmcnt(0)
	v_cmp_lt_i64_e64 s1, v[12:13], v[8:9]
	v_cndmask_b32_e64 v23, v14, v11, s0
	v_cndmask_b32_e64 v22, v10, v15, s0
                                        ; implicit-def: $vgpr10_vgpr11
	v_cmp_ge_i32_e64 s2, v23, v20
	v_cmp_lt_i32_e64 s3, v22, v21
	s_or_b32 s1, s2, s1
	s_and_b32 s1, s3, s1
	s_xor_b32 s2, s1, -1
	s_and_saveexec_b32 s3, s2
	s_xor_b32 s2, exec_lo, s3
; %bb.13:
	v_lshl_add_u32 v10, v23, 3, v17
	ds_read_b64 v[10:11], v10 offset:8
; %bb.14:
	s_or_saveexec_b32 s2, s2
	v_mov_b32_e32 v15, v13
	v_mov_b32_e32 v14, v12
	s_xor_b32 exec_lo, exec_lo, s2
	s_cbranch_execz .LBB148_16
; %bb.15:
	s_waitcnt lgkmcnt(0)
	v_lshl_add_u32 v10, v22, 3, v17
	ds_read_b64 v[14:15], v10 offset:8
	v_mov_b32_e32 v11, v9
	v_mov_b32_e32 v10, v8
.LBB148_16:
	s_or_b32 exec_lo, exec_lo, s2
	v_add_nc_u32_e32 v24, 1, v23
	v_add_nc_u32_e32 v25, 1, v22
	v_cndmask_b32_e64 v8, v8, v12, s1
	v_cndmask_b32_e64 v5, v5, v7, s0
	;; [unrolled: 1-line block ×5, first 2 shown]
	s_waitcnt lgkmcnt(0)
	v_cmp_lt_i64_e64 s0, v[14:15], v[10:11]
	v_cndmask_b32_e64 v9, v9, v13, s1
	v_cndmask_b32_e32 v3, v1, v3, vcc_lo
	v_cmp_ge_i32_e64 s1, v12, v20
	v_cmp_lt_i32_e64 s2, v7, v21
	v_cndmask_b32_e32 v2, v0, v2, vcc_lo
	v_sub_nc_u32_e64 v0, v18, 8 clamp
	v_min_u32_e32 v1, 8, v18
	s_or_b32 s0, s1, s0
	s_and_b32 vcc_lo, s2, s0
	s_mov_b32 s0, exec_lo
	v_cndmask_b32_e32 v7, v11, v15, vcc_lo
	v_cndmask_b32_e32 v6, v10, v14, vcc_lo
	; wave barrier
	ds_write2_b64 v19, v[2:3], v[4:5] offset1:1
	ds_write2_b64 v19, v[8:9], v[6:7] offset0:2 offset1:3
	; wave barrier
	v_cmpx_lt_u32_e64 v0, v1
	s_cbranch_execz .LBB148_20
; %bb.17:
	s_mov_b32 s1, 0
	.p2align	6
.LBB148_18:                             ; =>This Inner Loop Header: Depth=1
	v_sub_nc_u32_e32 v2, v1, v0
	v_lshrrev_b32_e32 v2, 1, v2
	v_add_nc_u32_e32 v6, v2, v0
	v_not_b32_e32 v2, v6
	v_lshl_add_u32 v3, v6, 3, v17
	v_lshl_add_u32 v4, v2, 3, v19
	ds_read_b64 v[2:3], v3
	ds_read_b64 v[4:5], v4 offset:64
	s_waitcnt lgkmcnt(0)
	v_cmp_lt_i64_e32 vcc_lo, v[4:5], v[2:3]
	v_add_nc_u32_e32 v2, 1, v6
	v_cndmask_b32_e32 v1, v1, v6, vcc_lo
	v_cndmask_b32_e32 v0, v2, v0, vcc_lo
	v_cmp_ge_i32_e32 vcc_lo, v0, v1
	s_or_b32 s1, vcc_lo, s1
	s_andn2_b32 exec_lo, exec_lo, s1
	s_cbranch_execnz .LBB148_18
; %bb.19:
	s_or_b32 exec_lo, exec_lo, s1
.LBB148_20:
	s_or_b32 exec_lo, exec_lo, s0
	v_sub_nc_u32_e32 v1, v18, v0
	v_lshl_add_u32 v8, v0, 3, v17
	v_cmp_lt_i32_e64 s0, 7, v0
                                        ; implicit-def: $vgpr6_vgpr7
	v_lshl_add_u32 v10, v1, 3, v17
	v_add_nc_u32_e32 v1, 8, v1
	ds_read_b64 v[2:3], v8
	ds_read_b64 v[4:5], v10 offset:64
	v_cmp_gt_i32_e64 s1, 16, v1
	s_waitcnt lgkmcnt(0)
	v_cmp_lt_i64_e32 vcc_lo, v[4:5], v[2:3]
	s_or_b32 s0, s0, vcc_lo
	s_and_b32 vcc_lo, s1, s0
	s_xor_b32 s0, vcc_lo, -1
	s_and_saveexec_b32 s1, s0
	s_xor_b32 s0, exec_lo, s1
; %bb.21:
	ds_read_b64 v[6:7], v8 offset:8
                                        ; implicit-def: $vgpr10
; %bb.22:
	s_or_saveexec_b32 s0, s0
	v_mov_b32_e32 v9, v5
	v_mov_b32_e32 v8, v4
	s_xor_b32 exec_lo, exec_lo, s0
	s_cbranch_execz .LBB148_24
; %bb.23:
	ds_read_b64 v[8:9], v10 offset:72
	s_waitcnt lgkmcnt(1)
	v_mov_b32_e32 v7, v3
	v_mov_b32_e32 v6, v2
.LBB148_24:
	s_or_b32 exec_lo, exec_lo, s0
	v_add_nc_u32_e32 v10, 1, v0
	v_add_nc_u32_e32 v11, 1, v1
	s_waitcnt lgkmcnt(0)
	v_cmp_lt_i64_e64 s0, v[8:9], v[6:7]
                                        ; implicit-def: $vgpr12_vgpr13
	v_cndmask_b32_e32 v14, v10, v0, vcc_lo
	v_cndmask_b32_e32 v0, v1, v11, vcc_lo
	v_cmp_lt_i32_e64 s1, 7, v14
	v_cmp_gt_i32_e64 s2, 16, v0
	s_or_b32 s0, s1, s0
	s_and_b32 s0, s2, s0
	s_xor_b32 s1, s0, -1
	s_and_saveexec_b32 s2, s1
	s_xor_b32 s1, exec_lo, s2
; %bb.25:
	v_lshl_add_u32 v1, v14, 3, v17
	ds_read_b64 v[12:13], v1 offset:8
; %bb.26:
	s_or_saveexec_b32 s1, s1
	v_mov_b32_e32 v11, v9
	v_mov_b32_e32 v10, v8
	s_xor_b32 exec_lo, exec_lo, s1
	s_cbranch_execz .LBB148_28
; %bb.27:
	v_lshl_add_u32 v1, v0, 3, v17
	s_waitcnt lgkmcnt(0)
	v_mov_b32_e32 v13, v7
	v_mov_b32_e32 v12, v6
	ds_read_b64 v[10:11], v1 offset:8
.LBB148_28:
	s_or_b32 exec_lo, exec_lo, s1
	v_add_nc_u32_e32 v1, 1, v14
	v_add_nc_u32_e32 v15, 1, v0
	s_waitcnt lgkmcnt(0)
	v_cmp_ge_i64_e64 s1, v[10:11], v[12:13]
                                        ; implicit-def: $vgpr19
	v_cndmask_b32_e64 v20, v1, v14, s0
	v_cndmask_b32_e64 v18, v0, v15, s0
                                        ; implicit-def: $vgpr14_vgpr15
	v_cmp_gt_i32_e64 s2, 8, v20
	v_cmp_lt_i32_e64 s3, 15, v18
	s_and_b32 s1, s2, s1
	s_or_b32 s1, s3, s1
	s_and_saveexec_b32 s2, s1
	s_xor_b32 s1, exec_lo, s2
; %bb.29:
	v_lshl_add_u32 v0, v20, 3, v17
	v_add_nc_u32_e32 v19, 1, v20
                                        ; implicit-def: $vgpr17
                                        ; implicit-def: $vgpr20
	ds_read_b64 v[14:15], v0 offset:8
; %bb.30:
	s_or_saveexec_b32 s1, s1
	v_mov_b32_e32 v0, v12
	v_mov_b32_e32 v1, v13
	s_xor_b32 exec_lo, exec_lo, s1
	s_cbranch_execz .LBB148_32
; %bb.31:
	v_lshl_add_u32 v0, v18, 3, v17
	s_waitcnt lgkmcnt(0)
	v_mov_b32_e32 v15, v13
	v_add_nc_u32_e32 v18, 1, v18
	v_mov_b32_e32 v19, v20
	v_mov_b32_e32 v14, v12
	ds_read_b64 v[21:22], v0 offset:8
	v_mov_b32_e32 v0, v10
	v_mov_b32_e32 v1, v11
	s_waitcnt lgkmcnt(0)
	v_mov_b32_e32 v10, v21
	v_mov_b32_e32 v11, v22
.LBB148_32:
	s_or_b32 exec_lo, exec_lo, s1
	s_waitcnt lgkmcnt(0)
	v_cmp_lt_i64_e64 s1, v[10:11], v[14:15]
	v_cmp_lt_i32_e64 s2, 7, v19
	v_cmp_gt_i32_e64 s3, 16, v18
	v_cndmask_b32_e64 v7, v7, v9, s0
	v_cndmask_b32_e64 v6, v6, v8, s0
	v_cndmask_b32_e32 v5, v3, v5, vcc_lo
	s_or_b32 s0, s2, s1
	v_cndmask_b32_e32 v4, v2, v4, vcc_lo
	s_and_b32 vcc_lo, s3, s0
	v_lshlrev_b32_e32 v8, 3, v16
	v_cndmask_b32_e32 v3, v15, v11, vcc_lo
	v_cndmask_b32_e32 v2, v14, v10, vcc_lo
	s_add_u32 s0, s10, s4
	s_addc_u32 s1, s11, s5
	global_store_dwordx4 v8, v[4:7], s[0:1]
	global_store_dwordx4 v8, v[0:3], s[0:1] offset:16
	s_endpgm
	.section	.rodata,"a",@progbits
	.p2align	6, 0x0
	.amdhsa_kernel _Z9sort_keysILj256ELj4ELj4ExN10test_utils4lessEEvPKT2_PS2_T3_
		.amdhsa_group_segment_fixed_size 8704
		.amdhsa_private_segment_fixed_size 0
		.amdhsa_kernarg_size 20
		.amdhsa_user_sgpr_count 6
		.amdhsa_user_sgpr_private_segment_buffer 1
		.amdhsa_user_sgpr_dispatch_ptr 0
		.amdhsa_user_sgpr_queue_ptr 0
		.amdhsa_user_sgpr_kernarg_segment_ptr 1
		.amdhsa_user_sgpr_dispatch_id 0
		.amdhsa_user_sgpr_flat_scratch_init 0
		.amdhsa_user_sgpr_private_segment_size 0
		.amdhsa_wavefront_size32 1
		.amdhsa_uses_dynamic_stack 0
		.amdhsa_system_sgpr_private_segment_wavefront_offset 0
		.amdhsa_system_sgpr_workgroup_id_x 1
		.amdhsa_system_sgpr_workgroup_id_y 0
		.amdhsa_system_sgpr_workgroup_id_z 0
		.amdhsa_system_sgpr_workgroup_info 0
		.amdhsa_system_vgpr_workitem_id 0
		.amdhsa_next_free_vgpr 30
		.amdhsa_next_free_sgpr 12
		.amdhsa_reserve_vcc 1
		.amdhsa_reserve_flat_scratch 0
		.amdhsa_float_round_mode_32 0
		.amdhsa_float_round_mode_16_64 0
		.amdhsa_float_denorm_mode_32 3
		.amdhsa_float_denorm_mode_16_64 3
		.amdhsa_dx10_clamp 1
		.amdhsa_ieee_mode 1
		.amdhsa_fp16_overflow 0
		.amdhsa_workgroup_processor_mode 1
		.amdhsa_memory_ordered 1
		.amdhsa_forward_progress 1
		.amdhsa_shared_vgpr_count 0
		.amdhsa_exception_fp_ieee_invalid_op 0
		.amdhsa_exception_fp_denorm_src 0
		.amdhsa_exception_fp_ieee_div_zero 0
		.amdhsa_exception_fp_ieee_overflow 0
		.amdhsa_exception_fp_ieee_underflow 0
		.amdhsa_exception_fp_ieee_inexact 0
		.amdhsa_exception_int_div_zero 0
	.end_amdhsa_kernel
	.section	.text._Z9sort_keysILj256ELj4ELj4ExN10test_utils4lessEEvPKT2_PS2_T3_,"axG",@progbits,_Z9sort_keysILj256ELj4ELj4ExN10test_utils4lessEEvPKT2_PS2_T3_,comdat
.Lfunc_end148:
	.size	_Z9sort_keysILj256ELj4ELj4ExN10test_utils4lessEEvPKT2_PS2_T3_, .Lfunc_end148-_Z9sort_keysILj256ELj4ELj4ExN10test_utils4lessEEvPKT2_PS2_T3_
                                        ; -- End function
	.set _Z9sort_keysILj256ELj4ELj4ExN10test_utils4lessEEvPKT2_PS2_T3_.num_vgpr, 30
	.set _Z9sort_keysILj256ELj4ELj4ExN10test_utils4lessEEvPKT2_PS2_T3_.num_agpr, 0
	.set _Z9sort_keysILj256ELj4ELj4ExN10test_utils4lessEEvPKT2_PS2_T3_.numbered_sgpr, 12
	.set _Z9sort_keysILj256ELj4ELj4ExN10test_utils4lessEEvPKT2_PS2_T3_.num_named_barrier, 0
	.set _Z9sort_keysILj256ELj4ELj4ExN10test_utils4lessEEvPKT2_PS2_T3_.private_seg_size, 0
	.set _Z9sort_keysILj256ELj4ELj4ExN10test_utils4lessEEvPKT2_PS2_T3_.uses_vcc, 1
	.set _Z9sort_keysILj256ELj4ELj4ExN10test_utils4lessEEvPKT2_PS2_T3_.uses_flat_scratch, 0
	.set _Z9sort_keysILj256ELj4ELj4ExN10test_utils4lessEEvPKT2_PS2_T3_.has_dyn_sized_stack, 0
	.set _Z9sort_keysILj256ELj4ELj4ExN10test_utils4lessEEvPKT2_PS2_T3_.has_recursion, 0
	.set _Z9sort_keysILj256ELj4ELj4ExN10test_utils4lessEEvPKT2_PS2_T3_.has_indirect_call, 0
	.section	.AMDGPU.csdata,"",@progbits
; Kernel info:
; codeLenInByte = 1844
; TotalNumSgprs: 14
; NumVgprs: 30
; ScratchSize: 0
; MemoryBound: 0
; FloatMode: 240
; IeeeMode: 1
; LDSByteSize: 8704 bytes/workgroup (compile time only)
; SGPRBlocks: 0
; VGPRBlocks: 3
; NumSGPRsForWavesPerEU: 14
; NumVGPRsForWavesPerEU: 30
; Occupancy: 16
; WaveLimiterHint : 0
; COMPUTE_PGM_RSRC2:SCRATCH_EN: 0
; COMPUTE_PGM_RSRC2:USER_SGPR: 6
; COMPUTE_PGM_RSRC2:TRAP_HANDLER: 0
; COMPUTE_PGM_RSRC2:TGID_X_EN: 1
; COMPUTE_PGM_RSRC2:TGID_Y_EN: 0
; COMPUTE_PGM_RSRC2:TGID_Z_EN: 0
; COMPUTE_PGM_RSRC2:TIDIG_COMP_CNT: 0
	.section	.text._Z10sort_pairsILj256ELj4ELj4ExN10test_utils4lessEEvPKT2_PS2_T3_,"axG",@progbits,_Z10sort_pairsILj256ELj4ELj4ExN10test_utils4lessEEvPKT2_PS2_T3_,comdat
	.protected	_Z10sort_pairsILj256ELj4ELj4ExN10test_utils4lessEEvPKT2_PS2_T3_ ; -- Begin function _Z10sort_pairsILj256ELj4ELj4ExN10test_utils4lessEEvPKT2_PS2_T3_
	.globl	_Z10sort_pairsILj256ELj4ELj4ExN10test_utils4lessEEvPKT2_PS2_T3_
	.p2align	8
	.type	_Z10sort_pairsILj256ELj4ELj4ExN10test_utils4lessEEvPKT2_PS2_T3_,@function
_Z10sort_pairsILj256ELj4ELj4ExN10test_utils4lessEEvPKT2_PS2_T3_: ; @_Z10sort_pairsILj256ELj4ELj4ExN10test_utils4lessEEvPKT2_PS2_T3_
; %bb.0:
	s_load_dwordx4 s[8:11], s[4:5], 0x0
	s_mov_b32 s1, 0
	s_lshl_b32 s0, s6, 10
	v_lshlrev_b32_e32 v1, 5, v0
	s_lshl_b64 s[6:7], s[0:1], 3
	s_waitcnt lgkmcnt(0)
	s_add_u32 s0, s8, s6
	s_addc_u32 s1, s9, s7
	s_clause 0x1
	global_load_dwordx4 v[17:20], v1, s[0:1] offset:16
	global_load_dwordx4 v[1:4], v1, s[0:1]
	s_mov_b32 s1, exec_lo
	s_waitcnt vmcnt(1)
	v_add_co_u32 v5, vcc_lo, v19, 1
	v_add_co_ci_u32_e64 v6, null, 0, v20, vcc_lo
	s_waitcnt vmcnt(0)
	v_cmp_lt_i64_e64 s0, v[3:4], v[1:2]
	v_add_co_u32 v23, vcc_lo, v17, 1
	v_mov_b32_e32 v22, v6
	v_mov_b32_e32 v13, v17
	;; [unrolled: 1-line block ×4, first 2 shown]
	v_add_co_ci_u32_e64 v24, null, 0, v18, vcc_lo
	v_cndmask_b32_e64 v12, v4, v2, s0
	v_mov_b32_e32 v21, v5
	v_cndmask_b32_e64 v11, v3, v1, s0
	v_cndmask_b32_e64 v10, v2, v4, s0
	;; [unrolled: 1-line block ×3, first 2 shown]
	v_mov_b32_e32 v14, v18
	v_cmpx_lt_i64_e64 v[15:16], v[17:18]
	s_cbranch_execz .LBB149_2
; %bb.1:
	v_mov_b32_e32 v7, v17
	v_mov_b32_e32 v8, v18
	;; [unrolled: 1-line block ×12, first 2 shown]
.LBB149_2:
	s_or_b32 exec_lo, exec_lo, s1
	v_add_co_u32 v25, vcc_lo, v1, 1
	v_add_co_ci_u32_e64 v26, null, 0, v2, vcc_lo
	v_add_co_u32 v27, vcc_lo, v3, 1
	v_add_co_ci_u32_e64 v28, null, 0, v4, vcc_lo
	v_mov_b32_e32 v1, v9
	v_mov_b32_e32 v2, v10
	;; [unrolled: 1-line block ×9, first 2 shown]
	v_cndmask_b32_e64 v20, v28, v26, s0
	v_cndmask_b32_e64 v19, v27, v25, s0
	v_mov_b32_e32 v14, v24
	s_mov_b32 s1, exec_lo
	v_cmpx_lt_i64_e64 v[17:18], v[11:12]
	s_xor_b32 s1, exec_lo, s1
	s_cbranch_execz .LBB149_4
; %bb.3:
	v_mov_b32_e32 v1, v9
	v_mov_b32_e32 v2, v10
	;; [unrolled: 1-line block ×20, first 2 shown]
.LBB149_4:
	s_or_b32 exec_lo, exec_lo, s1
	v_cmp_lt_i64_e32 vcc_lo, v[11:12], v[9:10]
	v_mov_b32_e32 v9, v21
	v_mov_b32_e32 v16, v6
	;; [unrolled: 1-line block ×4, first 2 shown]
	s_mov_b32 s2, exec_lo
	v_cndmask_b32_e32 v18, v4, v2, vcc_lo
	v_cndmask_b32_e32 v17, v3, v1, vcc_lo
	v_cndmask_b32_e32 v12, v2, v12, vcc_lo
	v_cndmask_b32_e32 v11, v1, v11, vcc_lo
	v_cmpx_lt_i64_e64 v[7:8], v[5:6]
	s_cbranch_execz .LBB149_6
; %bb.5:
	v_mov_b32_e32 v1, v5
	v_mov_b32_e32 v2, v6
	;; [unrolled: 1-line block ×12, first 2 shown]
.LBB149_6:
	s_or_b32 exec_lo, exec_lo, s2
	v_cndmask_b32_e64 v34, v26, v28, s0
	v_cndmask_b32_e64 v33, v25, v27, s0
	v_mov_b32_e32 v22, v18
	v_mov_b32_e32 v1, v13
	;; [unrolled: 1-line block ×3, first 2 shown]
	v_cndmask_b32_e32 v4, v20, v34, vcc_lo
	v_cndmask_b32_e32 v3, v19, v33, vcc_lo
	v_mov_b32_e32 v2, v14
	s_mov_b32 s1, exec_lo
	v_cmpx_lt_i64_e64 v[5:6], v[17:18]
	s_cbranch_execz .LBB149_8
; %bb.7:
	v_mov_b32_e32 v1, v3
	v_mov_b32_e32 v22, v6
	v_mov_b32_e32 v2, v4
	v_mov_b32_e32 v3, v13
	v_mov_b32_e32 v15, v17
	v_mov_b32_e32 v21, v5
	v_mov_b32_e32 v4, v14
	v_mov_b32_e32 v16, v18
.LBB149_8:
	s_or_b32 exec_lo, exec_lo, s1
	v_mbcnt_lo_u32_b32 v5, -1, 0
	v_lshrrev_b32_e32 v6, 2, v0
	v_lshlrev_b32_e32 v29, 2, v0
	v_mov_b32_e32 v24, 0
	v_mov_b32_e32 v17, v7
	v_lshlrev_b32_e32 v13, 2, v5
	v_mov_b32_e32 v18, v8
	s_mov_b32 s1, exec_lo
	; wave barrier
	v_and_b32_e32 v23, 8, v13
	v_and_b32_e32 v32, 12, v13
	;; [unrolled: 1-line block ×3, first 2 shown]
	v_or_b32_e32 v5, 4, v23
	v_lshlrev_b32_e32 v14, 3, v32
	v_sub_nc_u32_e32 v13, v5, v23
	v_mad_u32_u24 v30, 0x88, v6, v14
	v_lshlrev_b32_e32 v14, 3, v23
	ds_write2_b64 v30, v[11:12], v[21:22] offset1:1
	ds_write2_b64 v30, v[15:16], v[17:18] offset0:2 offset1:3
	v_min_i32_e32 v13, v0, v13
	v_mad_u32_u24 v7, 0x88, v6, v14
	; wave barrier
	v_cmpx_lt_i32_e32 0, v13
	s_cbranch_execz .LBB149_12
; %bb.9:
	v_lshl_add_u32 v8, v0, 3, v7
	v_mov_b32_e32 v24, 0
	s_mov_b32 s2, 0
	.p2align	6
.LBB149_10:                             ; =>This Inner Loop Header: Depth=1
	v_sub_nc_u32_e32 v11, v13, v24
	v_lshrrev_b32_e32 v11, 1, v11
	v_add_nc_u32_e32 v16, v11, v24
	v_not_b32_e32 v11, v16
	v_lshl_add_u32 v12, v16, 3, v7
	v_lshl_add_u32 v14, v11, 3, v8
	ds_read_b64 v[11:12], v12
	ds_read_b64 v[14:15], v14 offset:32
	s_waitcnt lgkmcnt(0)
	v_cmp_lt_i64_e64 s0, v[14:15], v[11:12]
	v_add_nc_u32_e32 v11, 1, v16
	v_cndmask_b32_e64 v13, v13, v16, s0
	v_cndmask_b32_e64 v24, v11, v24, s0
	v_cmp_ge_i32_e64 s0, v24, v13
	s_or_b32 s2, s0, s2
	s_andn2_b32 exec_lo, exec_lo, s2
	s_cbranch_execnz .LBB149_10
; %bb.11:
	s_or_b32 exec_lo, exec_lo, s2
.LBB149_12:
	s_or_b32 exec_lo, exec_lo, s1
	v_mul_u32_u24_e32 v31, 0x88, v6
	v_add_nc_u32_e32 v6, v23, v0
	v_lshl_add_u32 v8, v24, 3, v7
	v_cmp_lt_i32_e64 s1, 3, v24
                                        ; implicit-def: $vgpr15_vgpr16
	v_sub_nc_u32_e32 v6, v6, v24
	v_lshl_add_u32 v7, v6, 3, v31
	v_add_nc_u32_e32 v6, v5, v0
	v_add_nc_u32_e32 v0, 8, v23
	ds_read_b64 v[11:12], v8
	ds_read_b64 v[13:14], v7 offset:32
	v_sub_nc_u32_e32 v6, v6, v24
	v_cmp_gt_i32_e64 s2, v0, v6
	s_waitcnt lgkmcnt(0)
	v_cmp_lt_i64_e64 s0, v[13:14], v[11:12]
	s_or_b32 s0, s1, s0
	s_and_b32 s0, s2, s0
	s_xor_b32 s1, s0, -1
	s_and_saveexec_b32 s2, s1
	s_xor_b32 s1, exec_lo, s2
; %bb.13:
	ds_read_b64 v[15:16], v8 offset:8
                                        ; implicit-def: $vgpr7
; %bb.14:
	s_or_saveexec_b32 s1, s1
	v_mov_b32_e32 v18, v14
	v_mov_b32_e32 v17, v13
	s_xor_b32 exec_lo, exec_lo, s1
	s_cbranch_execz .LBB149_16
; %bb.15:
	ds_read_b64 v[17:18], v7 offset:40
	s_waitcnt lgkmcnt(1)
	v_mov_b32_e32 v16, v12
	v_mov_b32_e32 v15, v11
.LBB149_16:
	s_or_b32 exec_lo, exec_lo, s1
	v_add_nc_u32_e32 v7, v24, v23
	v_add_nc_u32_e32 v21, 1, v6
	s_waitcnt lgkmcnt(0)
	v_cmp_lt_i64_e64 s1, v[17:18], v[15:16]
	v_add_nc_u32_e32 v8, 1, v7
	v_cndmask_b32_e64 v35, v6, v21, s0
                                        ; implicit-def: $vgpr21_vgpr22
	v_cndmask_b32_e64 v8, v8, v7, s0
	v_cmp_lt_i32_e64 s3, v35, v0
	v_cmp_ge_i32_e64 s2, v8, v5
	s_or_b32 s1, s2, s1
	s_and_b32 s1, s3, s1
	s_xor_b32 s2, s1, -1
	s_and_saveexec_b32 s3, s2
	s_xor_b32 s2, exec_lo, s3
; %bb.17:
	v_lshl_add_u32 v21, v8, 3, v31
	ds_read_b64 v[21:22], v21 offset:8
; %bb.18:
	s_or_saveexec_b32 s2, s2
	v_mov_b32_e32 v24, v18
	v_mov_b32_e32 v23, v17
	s_xor_b32 exec_lo, exec_lo, s2
	s_cbranch_execz .LBB149_20
; %bb.19:
	s_waitcnt lgkmcnt(0)
	v_lshl_add_u32 v21, v35, 3, v31
	ds_read_b64 v[23:24], v21 offset:8
	v_mov_b32_e32 v22, v16
	v_mov_b32_e32 v21, v15
.LBB149_20:
	s_or_b32 exec_lo, exec_lo, s2
	v_add_nc_u32_e32 v25, 1, v8
	v_add_nc_u32_e32 v26, 1, v35
	s_waitcnt lgkmcnt(0)
	v_cmp_lt_i64_e64 s2, v[23:24], v[21:22]
	v_cndmask_b32_e64 v37, v25, v8, s1
	v_cndmask_b32_e64 v36, v35, v26, s1
                                        ; implicit-def: $vgpr25_vgpr26
	v_cmp_ge_i32_e64 s3, v37, v5
	v_cmp_lt_i32_e64 s4, v36, v0
	s_or_b32 s2, s3, s2
	s_and_b32 s2, s4, s2
	s_xor_b32 s3, s2, -1
	s_and_saveexec_b32 s4, s3
	s_xor_b32 s3, exec_lo, s4
; %bb.21:
	v_lshl_add_u32 v25, v37, 3, v31
	ds_read_b64 v[25:26], v25 offset:8
; %bb.22:
	s_or_saveexec_b32 s3, s3
	v_mov_b32_e32 v28, v24
	v_mov_b32_e32 v27, v23
	s_xor_b32 exec_lo, exec_lo, s3
	s_cbranch_execz .LBB149_24
; %bb.23:
	s_waitcnt lgkmcnt(0)
	v_lshl_add_u32 v25, v36, 3, v31
	ds_read_b64 v[27:28], v25 offset:8
	v_mov_b32_e32 v26, v22
	v_mov_b32_e32 v25, v21
.LBB149_24:
	s_or_b32 exec_lo, exec_lo, s3
	v_add_nc_u32_e32 v38, 1, v37
	v_add_nc_u32_e32 v39, 1, v36
	v_cndmask_b32_e64 v8, v8, v35, s1
	v_cndmask_b32_e64 v40, v37, v36, s2
	s_waitcnt lgkmcnt(0)
	v_cmp_lt_i64_e64 s3, v[27:28], v[25:26]
	v_cndmask_b32_e64 v35, v38, v37, s2
	v_cndmask_b32_e64 v36, v36, v39, s2
	v_cndmask_b32_e64 v7, v7, v6, s0
	v_cndmask_b32_e32 v6, v34, v20, vcc_lo
	v_cmp_ge_i32_e64 s4, v35, v5
	v_cndmask_b32_e32 v5, v33, v19, vcc_lo
	v_cmp_lt_i32_e32 vcc_lo, v36, v0
	; wave barrier
	ds_write2_b64 v30, v[1:2], v[9:10] offset0:2 offset1:3
	s_or_b32 s3, s4, s3
	v_lshl_add_u32 v1, v7, 3, v31
	s_and_b32 vcc_lo, vcc_lo, s3
	v_lshl_add_u32 v2, v8, 3, v31
	v_cndmask_b32_e32 v0, v35, v36, vcc_lo
	ds_write2_b64 v30, v[5:6], v[3:4] offset1:1
	v_lshl_add_u32 v3, v40, 3, v31
	; wave barrier
	v_lshl_add_u32 v6, v0, 3, v31
	v_cndmask_b32_e64 v10, v22, v24, s2
	ds_read_b64 v[0:1], v1
	ds_read_b64 v[4:5], v2
	;; [unrolled: 1-line block ×4, first 2 shown]
	v_cndmask_b32_e64 v16, v16, v18, s1
	v_cndmask_b32_e64 v15, v15, v17, s1
	;; [unrolled: 1-line block ×3, first 2 shown]
	v_sub_nc_u32_e64 v24, v32, 8 clamp
	v_min_u32_e32 v8, 8, v32
	v_cndmask_b32_e64 v11, v11, v13, s0
	v_cndmask_b32_e32 v19, v26, v28, vcc_lo
	v_cndmask_b32_e64 v9, v21, v23, s2
	v_cndmask_b32_e32 v18, v25, v27, vcc_lo
	s_mov_b32 s0, exec_lo
	; wave barrier
	ds_write2_b64 v30, v[11:12], v[15:16] offset1:1
	ds_write2_b64 v30, v[9:10], v[18:19] offset0:2 offset1:3
	; wave barrier
	v_cmpx_lt_u32_e64 v24, v8
	s_cbranch_execz .LBB149_28
; %bb.25:
	s_mov_b32 s1, 0
	.p2align	6
.LBB149_26:                             ; =>This Inner Loop Header: Depth=1
	v_sub_nc_u32_e32 v9, v8, v24
	v_lshrrev_b32_e32 v9, 1, v9
	v_add_nc_u32_e32 v13, v9, v24
	v_not_b32_e32 v9, v13
	v_lshl_add_u32 v10, v13, 3, v31
	v_lshl_add_u32 v11, v9, 3, v30
	ds_read_b64 v[9:10], v10
	ds_read_b64 v[11:12], v11 offset:64
	s_waitcnt lgkmcnt(0)
	v_cmp_lt_i64_e32 vcc_lo, v[11:12], v[9:10]
	v_add_nc_u32_e32 v9, 1, v13
	v_cndmask_b32_e32 v8, v8, v13, vcc_lo
	v_cndmask_b32_e32 v24, v9, v24, vcc_lo
	v_cmp_ge_i32_e32 vcc_lo, v24, v8
	s_or_b32 s1, vcc_lo, s1
	s_andn2_b32 exec_lo, exec_lo, s1
	s_cbranch_execnz .LBB149_26
; %bb.27:
	s_or_b32 exec_lo, exec_lo, s1
.LBB149_28:
	s_or_b32 exec_lo, exec_lo, s0
	v_sub_nc_u32_e32 v12, v32, v24
	v_lshl_add_u32 v14, v24, 3, v31
	v_cmp_lt_i32_e64 s0, 7, v24
	v_lshl_add_u32 v16, v12, 3, v31
	v_add_nc_u32_e32 v25, 8, v12
                                        ; implicit-def: $vgpr12_vgpr13
	ds_read_b64 v[8:9], v14
	ds_read_b64 v[10:11], v16 offset:64
	v_cmp_gt_i32_e64 s1, 16, v25
	s_waitcnt lgkmcnt(0)
	v_cmp_lt_i64_e32 vcc_lo, v[10:11], v[8:9]
	s_or_b32 s0, s0, vcc_lo
	s_and_b32 vcc_lo, s1, s0
	s_xor_b32 s0, vcc_lo, -1
	s_and_saveexec_b32 s1, s0
	s_xor_b32 s0, exec_lo, s1
; %bb.29:
	ds_read_b64 v[12:13], v14 offset:8
                                        ; implicit-def: $vgpr16
; %bb.30:
	s_or_saveexec_b32 s0, s0
	v_mov_b32_e32 v15, v11
	v_mov_b32_e32 v14, v10
	s_xor_b32 exec_lo, exec_lo, s0
	s_cbranch_execz .LBB149_32
; %bb.31:
	ds_read_b64 v[14:15], v16 offset:72
	s_waitcnt lgkmcnt(1)
	v_mov_b32_e32 v13, v9
	v_mov_b32_e32 v12, v8
.LBB149_32:
	s_or_b32 exec_lo, exec_lo, s0
	v_add_nc_u32_e32 v16, 1, v24
	v_add_nc_u32_e32 v17, 1, v25
	s_waitcnt lgkmcnt(0)
	v_cmp_lt_i64_e64 s0, v[14:15], v[12:13]
                                        ; implicit-def: $vgpr22_vgpr23
	v_cndmask_b32_e32 v26, v16, v24, vcc_lo
	v_cndmask_b32_e32 v27, v25, v17, vcc_lo
	v_cmp_lt_i32_e64 s1, 7, v26
	v_cmp_gt_i32_e64 s2, 16, v27
	s_or_b32 s0, s1, s0
	s_and_b32 s0, s2, s0
	s_xor_b32 s1, s0, -1
	s_and_saveexec_b32 s2, s1
	s_xor_b32 s1, exec_lo, s2
; %bb.33:
	v_lshl_add_u32 v16, v26, 3, v31
	ds_read_b64 v[22:23], v16 offset:8
; %bb.34:
	s_or_saveexec_b32 s1, s1
	v_mov_b32_e32 v17, v15
	v_mov_b32_e32 v16, v14
	s_xor_b32 exec_lo, exec_lo, s1
	s_cbranch_execz .LBB149_36
; %bb.35:
	v_lshl_add_u32 v16, v27, 3, v31
	s_waitcnt lgkmcnt(0)
	v_mov_b32_e32 v23, v13
	v_mov_b32_e32 v22, v12
	ds_read_b64 v[16:17], v16 offset:8
.LBB149_36:
	s_or_b32 exec_lo, exec_lo, s1
	v_add_nc_u32_e32 v18, 1, v26
	v_add_nc_u32_e32 v19, 1, v27
	s_waitcnt lgkmcnt(0)
	v_cmp_ge_i64_e64 s1, v[16:17], v[22:23]
                                        ; implicit-def: $vgpr32
	v_cndmask_b32_e64 v34, v18, v26, s0
	v_cndmask_b32_e64 v28, v27, v19, s0
                                        ; implicit-def: $vgpr18_vgpr19
	v_cmp_gt_i32_e64 s2, 8, v34
	v_cmp_lt_i32_e64 s3, 15, v28
	s_and_b32 s1, s2, s1
	s_or_b32 s1, s3, s1
	s_and_saveexec_b32 s2, s1
	s_xor_b32 s1, exec_lo, s2
; %bb.37:
	v_lshl_add_u32 v18, v34, 3, v31
	v_add_nc_u32_e32 v32, 1, v34
	ds_read_b64 v[18:19], v18 offset:8
; %bb.38:
	s_or_saveexec_b32 s1, s1
	v_mov_b32_e32 v20, v22
	v_mov_b32_e32 v21, v23
	;; [unrolled: 1-line block ×3, first 2 shown]
	s_xor_b32 exec_lo, exec_lo, s1
	s_cbranch_execz .LBB149_40
; %bb.39:
	s_waitcnt lgkmcnt(0)
	v_lshl_add_u32 v18, v28, 3, v31
	v_mov_b32_e32 v21, v17
	v_mov_b32_e32 v20, v16
	;; [unrolled: 1-line block ×4, first 2 shown]
	ds_read_b64 v[35:36], v18 offset:8
	v_add_nc_u32_e32 v18, 1, v28
	v_mov_b32_e32 v28, v18
	v_mov_b32_e32 v18, v22
	;; [unrolled: 1-line block ×3, first 2 shown]
	s_waitcnt lgkmcnt(0)
	v_mov_b32_e32 v16, v35
	v_mov_b32_e32 v17, v36
.LBB149_40:
	s_or_b32 exec_lo, exec_lo, s1
	s_waitcnt lgkmcnt(0)
	v_cmp_lt_i64_e64 s1, v[16:17], v[18:19]
	v_cmp_lt_i32_e64 s2, 7, v32
	v_cmp_gt_i32_e64 s3, 16, v28
	v_cndmask_b32_e32 v23, v24, v25, vcc_lo
	v_cndmask_b32_e64 v22, v26, v27, s0
	s_or_b32 s1, s2, s1
	; wave barrier
	s_and_b32 s1, s3, s1
	v_lshl_add_u32 v23, v23, 3, v31
	ds_write2_b64 v30, v[0:1], v[4:5] offset1:1
	ds_write2_b64 v30, v[2:3], v[6:7] offset0:2 offset1:3
	v_cndmask_b32_e64 v4, v32, v28, s1
	v_lshl_add_u32 v2, v22, 3, v31
	; wave barrier
	ds_read_b64 v[0:1], v23
	v_lshl_add_u32 v5, v33, 3, v31
	v_lshl_add_u32 v6, v4, 3, v31
	ds_read_b64 v[2:3], v2
	ds_read_b64 v[4:5], v5
	;; [unrolled: 1-line block ×3, first 2 shown]
	v_cndmask_b32_e32 v8, v8, v10, vcc_lo
	v_cndmask_b32_e64 v10, v12, v14, s0
	v_cndmask_b32_e32 v9, v9, v11, vcc_lo
	v_cndmask_b32_e64 v13, v13, v15, s0
	v_cndmask_b32_e64 v11, v18, v16, s1
	;; [unrolled: 1-line block ×3, first 2 shown]
	s_add_u32 s0, s10, s6
	s_addc_u32 s1, s11, s7
	s_waitcnt lgkmcnt(3)
	v_add_co_u32 v0, vcc_lo, v0, v8
	v_add_co_ci_u32_e64 v1, null, v1, v9, vcc_lo
	s_waitcnt lgkmcnt(2)
	v_add_co_u32 v2, vcc_lo, v2, v10
	v_add_co_ci_u32_e64 v3, null, v3, v13, vcc_lo
	;; [unrolled: 3-line block ×3, first 2 shown]
	s_waitcnt lgkmcnt(0)
	v_add_co_u32 v6, vcc_lo, v6, v11
	v_lshlrev_b32_e32 v8, 3, v29
	v_add_co_ci_u32_e64 v7, null, v7, v17, vcc_lo
	global_store_dwordx4 v8, v[0:3], s[0:1]
	global_store_dwordx4 v8, v[4:7], s[0:1] offset:16
	s_endpgm
	.section	.rodata,"a",@progbits
	.p2align	6, 0x0
	.amdhsa_kernel _Z10sort_pairsILj256ELj4ELj4ExN10test_utils4lessEEvPKT2_PS2_T3_
		.amdhsa_group_segment_fixed_size 8704
		.amdhsa_private_segment_fixed_size 0
		.amdhsa_kernarg_size 20
		.amdhsa_user_sgpr_count 6
		.amdhsa_user_sgpr_private_segment_buffer 1
		.amdhsa_user_sgpr_dispatch_ptr 0
		.amdhsa_user_sgpr_queue_ptr 0
		.amdhsa_user_sgpr_kernarg_segment_ptr 1
		.amdhsa_user_sgpr_dispatch_id 0
		.amdhsa_user_sgpr_flat_scratch_init 0
		.amdhsa_user_sgpr_private_segment_size 0
		.amdhsa_wavefront_size32 1
		.amdhsa_uses_dynamic_stack 0
		.amdhsa_system_sgpr_private_segment_wavefront_offset 0
		.amdhsa_system_sgpr_workgroup_id_x 1
		.amdhsa_system_sgpr_workgroup_id_y 0
		.amdhsa_system_sgpr_workgroup_id_z 0
		.amdhsa_system_sgpr_workgroup_info 0
		.amdhsa_system_vgpr_workitem_id 0
		.amdhsa_next_free_vgpr 41
		.amdhsa_next_free_sgpr 12
		.amdhsa_reserve_vcc 1
		.amdhsa_reserve_flat_scratch 0
		.amdhsa_float_round_mode_32 0
		.amdhsa_float_round_mode_16_64 0
		.amdhsa_float_denorm_mode_32 3
		.amdhsa_float_denorm_mode_16_64 3
		.amdhsa_dx10_clamp 1
		.amdhsa_ieee_mode 1
		.amdhsa_fp16_overflow 0
		.amdhsa_workgroup_processor_mode 1
		.amdhsa_memory_ordered 1
		.amdhsa_forward_progress 1
		.amdhsa_shared_vgpr_count 0
		.amdhsa_exception_fp_ieee_invalid_op 0
		.amdhsa_exception_fp_denorm_src 0
		.amdhsa_exception_fp_ieee_div_zero 0
		.amdhsa_exception_fp_ieee_overflow 0
		.amdhsa_exception_fp_ieee_underflow 0
		.amdhsa_exception_fp_ieee_inexact 0
		.amdhsa_exception_int_div_zero 0
	.end_amdhsa_kernel
	.section	.text._Z10sort_pairsILj256ELj4ELj4ExN10test_utils4lessEEvPKT2_PS2_T3_,"axG",@progbits,_Z10sort_pairsILj256ELj4ELj4ExN10test_utils4lessEEvPKT2_PS2_T3_,comdat
.Lfunc_end149:
	.size	_Z10sort_pairsILj256ELj4ELj4ExN10test_utils4lessEEvPKT2_PS2_T3_, .Lfunc_end149-_Z10sort_pairsILj256ELj4ELj4ExN10test_utils4lessEEvPKT2_PS2_T3_
                                        ; -- End function
	.set _Z10sort_pairsILj256ELj4ELj4ExN10test_utils4lessEEvPKT2_PS2_T3_.num_vgpr, 41
	.set _Z10sort_pairsILj256ELj4ELj4ExN10test_utils4lessEEvPKT2_PS2_T3_.num_agpr, 0
	.set _Z10sort_pairsILj256ELj4ELj4ExN10test_utils4lessEEvPKT2_PS2_T3_.numbered_sgpr, 12
	.set _Z10sort_pairsILj256ELj4ELj4ExN10test_utils4lessEEvPKT2_PS2_T3_.num_named_barrier, 0
	.set _Z10sort_pairsILj256ELj4ELj4ExN10test_utils4lessEEvPKT2_PS2_T3_.private_seg_size, 0
	.set _Z10sort_pairsILj256ELj4ELj4ExN10test_utils4lessEEvPKT2_PS2_T3_.uses_vcc, 1
	.set _Z10sort_pairsILj256ELj4ELj4ExN10test_utils4lessEEvPKT2_PS2_T3_.uses_flat_scratch, 0
	.set _Z10sort_pairsILj256ELj4ELj4ExN10test_utils4lessEEvPKT2_PS2_T3_.has_dyn_sized_stack, 0
	.set _Z10sort_pairsILj256ELj4ELj4ExN10test_utils4lessEEvPKT2_PS2_T3_.has_recursion, 0
	.set _Z10sort_pairsILj256ELj4ELj4ExN10test_utils4lessEEvPKT2_PS2_T3_.has_indirect_call, 0
	.section	.AMDGPU.csdata,"",@progbits
; Kernel info:
; codeLenInByte = 2428
; TotalNumSgprs: 14
; NumVgprs: 41
; ScratchSize: 0
; MemoryBound: 0
; FloatMode: 240
; IeeeMode: 1
; LDSByteSize: 8704 bytes/workgroup (compile time only)
; SGPRBlocks: 0
; VGPRBlocks: 5
; NumSGPRsForWavesPerEU: 14
; NumVGPRsForWavesPerEU: 41
; Occupancy: 16
; WaveLimiterHint : 0
; COMPUTE_PGM_RSRC2:SCRATCH_EN: 0
; COMPUTE_PGM_RSRC2:USER_SGPR: 6
; COMPUTE_PGM_RSRC2:TRAP_HANDLER: 0
; COMPUTE_PGM_RSRC2:TGID_X_EN: 1
; COMPUTE_PGM_RSRC2:TGID_Y_EN: 0
; COMPUTE_PGM_RSRC2:TGID_Z_EN: 0
; COMPUTE_PGM_RSRC2:TIDIG_COMP_CNT: 0
	.section	.text._Z19sort_keys_segmentedILj256ELj4ELj4ExN10test_utils4lessEEvPKT2_PS2_PKjT3_,"axG",@progbits,_Z19sort_keys_segmentedILj256ELj4ELj4ExN10test_utils4lessEEvPKT2_PS2_PKjT3_,comdat
	.protected	_Z19sort_keys_segmentedILj256ELj4ELj4ExN10test_utils4lessEEvPKT2_PS2_PKjT3_ ; -- Begin function _Z19sort_keys_segmentedILj256ELj4ELj4ExN10test_utils4lessEEvPKT2_PS2_PKjT3_
	.globl	_Z19sort_keys_segmentedILj256ELj4ELj4ExN10test_utils4lessEEvPKT2_PS2_PKjT3_
	.p2align	8
	.type	_Z19sort_keys_segmentedILj256ELj4ELj4ExN10test_utils4lessEEvPKT2_PS2_PKjT3_,@function
_Z19sort_keys_segmentedILj256ELj4ELj4ExN10test_utils4lessEEvPKT2_PS2_PKjT3_: ; @_Z19sort_keys_segmentedILj256ELj4ELj4ExN10test_utils4lessEEvPKT2_PS2_PKjT3_
; %bb.0:
	s_clause 0x1
	s_load_dwordx2 s[0:1], s[4:5], 0x10
	s_load_dwordx4 s[8:11], s[4:5], 0x0
	v_lshrrev_b32_e32 v14, 2, v0
	v_mov_b32_e32 v1, 0
	v_lshl_or_b32 v0, s6, 6, v14
	v_mov_b32_e32 v4, v1
	v_mov_b32_e32 v5, v1
	;; [unrolled: 1-line block ×3, first 2 shown]
	v_lshlrev_b64 v[2:3], 2, v[0:1]
	v_lshlrev_b32_e32 v0, 4, v0
	v_lshlrev_b64 v[8:9], 3, v[0:1]
	v_mov_b32_e32 v0, v1
	s_waitcnt lgkmcnt(0)
	v_add_co_u32 v2, vcc_lo, s0, v2
	v_add_co_ci_u32_e64 v3, null, s1, v3, vcc_lo
	v_add_co_u32 v7, vcc_lo, s8, v8
	v_add_co_ci_u32_e64 v11, null, s9, v9, vcc_lo
	global_load_dword v19, v[2:3], off
	v_mbcnt_lo_u32_b32 v2, -1, 0
	v_mov_b32_e32 v3, v1
	v_lshlrev_b32_e32 v15, 2, v2
	v_mov_b32_e32 v2, v1
	v_and_b32_e32 v20, 12, v15
	v_lshlrev_b32_e32 v18, 3, v20
	v_add_co_u32 v10, vcc_lo, v7, v18
	v_add_co_ci_u32_e64 v11, null, 0, v11, vcc_lo
	v_mov_b32_e32 v7, v1
	s_waitcnt vmcnt(0)
	v_cmp_lt_u32_e32 vcc_lo, v20, v19
	s_and_saveexec_b32 s0, vcc_lo
	s_cbranch_execz .LBB150_2
; %bb.1:
	global_load_dwordx2 v[21:22], v[10:11], off
	v_mov_b32_e32 v23, v1
	v_mov_b32_e32 v24, v1
	;; [unrolled: 1-line block ×6, first 2 shown]
	s_waitcnt vmcnt(0)
	v_mov_b32_e32 v0, v21
	v_mov_b32_e32 v1, v22
	;; [unrolled: 1-line block ×8, first 2 shown]
.LBB150_2:
	s_or_b32 exec_lo, exec_lo, s0
	v_or_b32_e32 v12, 1, v20
	v_cmp_lt_u32_e64 s0, v12, v19
	s_and_saveexec_b32 s1, s0
	s_cbranch_execz .LBB150_4
; %bb.3:
	global_load_dwordx2 v[2:3], v[10:11], off offset:8
.LBB150_4:
	s_or_b32 exec_lo, exec_lo, s1
	v_or_b32_e32 v13, 2, v20
	v_cmp_lt_u32_e64 s1, v13, v19
	s_and_saveexec_b32 s2, s1
	s_cbranch_execz .LBB150_6
; %bb.5:
	global_load_dwordx2 v[4:5], v[10:11], off offset:16
.LBB150_6:
	;; [unrolled: 8-line block ×3, first 2 shown]
	s_or_b32 exec_lo, exec_lo, s3
	v_cmp_lt_i32_e64 s3, v13, v19
	v_cmp_lt_i32_e64 s4, v16, v19
	v_cmp_lt_i32_e64 s5, v12, v19
	s_mov_b32 s6, exec_lo
	s_or_b32 s3, s4, s3
	s_waitcnt vmcnt(0)
	v_cndmask_b32_e64 v7, 0x7fffffff, v7, s4
	v_cndmask_b32_e64 v5, 0x7fffffff, v5, s3
	v_cndmask_b32_e64 v4, -1, v4, s3
	s_or_b32 s3, s3, s5
	v_cndmask_b32_e64 v6, -1, v6, s4
	v_cndmask_b32_e64 v3, 0x7fffffff, v3, s3
	v_cndmask_b32_e64 v2, -1, v2, s3
	v_cmpx_lt_i32_e64 v20, v19
	s_cbranch_execz .LBB150_12
; %bb.9:
	v_cmp_gt_i64_e64 s3, v[2:3], v[0:1]
	v_cmp_lt_i64_e64 s4, v[6:7], v[4:5]
	v_cmp_lt_i64_e64 s5, v[2:3], v[0:1]
	v_cndmask_b32_e64 v11, v1, v3, s3
	v_cndmask_b32_e64 v10, v0, v2, s3
	v_cmp_gt_i64_e64 s3, v[6:7], v[4:5]
	v_cndmask_b32_e64 v13, v5, v7, s4
	v_cndmask_b32_e64 v12, v4, v6, s4
	;; [unrolled: 1-line block ×7, first 2 shown]
	v_cmp_lt_i64_e64 s5, v[12:13], v[10:11]
	v_cndmask_b32_e64 v22, v7, v5, s4
	v_cndmask_b32_e64 v5, v5, v7, s3
	;; [unrolled: 1-line block ×3, first 2 shown]
	v_cmp_gt_i64_e64 s3, v[12:13], v[10:11]
	v_cmp_lt_i64_e64 s4, v[12:13], v[0:1]
	v_cndmask_b32_e64 v3, v16, v13, s5
	v_cndmask_b32_e64 v23, v12, v10, s5
	v_cndmask_b32_e64 v24, v13, v11, s5
	v_cndmask_b32_e64 v2, v21, v12, s5
	v_cndmask_b32_e64 v6, v10, v12, s3
	v_cndmask_b32_e64 v16, v11, v13, s3
	v_cmp_gt_i64_e64 s3, v[10:11], v[4:5]
	v_cndmask_b32_e64 v21, v11, v13, s5
	v_cndmask_b32_e64 v25, v10, v12, s5
	;; [unrolled: 1-line block ×14, first 2 shown]
	s_mov_b32 s3, exec_lo
	v_cmpx_lt_i64_e64 v[12:13], v[10:11]
; %bb.10:
	v_mov_b32_e32 v2, v12
	v_mov_b32_e32 v3, v13
	;; [unrolled: 1-line block ×4, first 2 shown]
; %bb.11:
	s_or_b32 exec_lo, exec_lo, s3
.LBB150_12:
	s_or_b32 exec_lo, exec_lo, s6
	v_and_b32_e32 v10, 8, v15
	v_and_b32_e32 v12, 4, v15
	v_mad_u32_u24 v24, 0x88, v14, v18
	v_mul_u32_u24_e32 v21, 0x88, v14
	v_min_i32_e32 v10, v19, v10
	; wave barrier
	ds_write2_b64 v24, v[0:1], v[2:3] offset1:1
	s_mov_b32 s5, 0
	s_mov_b32 s4, exec_lo
	v_add_nc_u32_e32 v11, 4, v10
	v_lshlrev_b32_e32 v16, 3, v10
	ds_write2_b64 v24, v[4:5], v[6:7] offset0:2 offset1:3
	; wave barrier
	v_min_i32_e32 v26, v19, v11
	v_mad_u32_u24 v0, 0x88, v14, v16
	v_add_nc_u32_e32 v11, 4, v26
	v_sub_nc_u32_e32 v15, v26, v10
	v_min_i32_e32 v25, v19, v11
	v_min_i32_e32 v11, v19, v12
	v_sub_nc_u32_e32 v12, v25, v26
	v_sub_nc_u32_e32 v13, v11, v12
	v_cmp_ge_i32_e64 s3, v11, v12
	v_cndmask_b32_e64 v12, 0, v13, s3
	v_min_i32_e32 v13, v11, v15
	v_cmpx_lt_i32_e64 v12, v13
	s_cbranch_execz .LBB150_16
; %bb.13:
	v_lshlrev_b32_e32 v1, 3, v26
	v_lshlrev_b32_e32 v2, 3, v11
	v_add3_u32 v1, v21, v1, v2
	.p2align	6
.LBB150_14:                             ; =>This Inner Loop Header: Depth=1
	v_sub_nc_u32_e32 v2, v13, v12
	v_lshrrev_b32_e32 v2, 1, v2
	v_add_nc_u32_e32 v6, v2, v12
	v_not_b32_e32 v2, v6
	v_lshl_add_u32 v3, v6, 3, v0
	v_lshl_add_u32 v4, v2, 3, v1
	ds_read_b64 v[2:3], v3
	ds_read_b64 v[4:5], v4
	s_waitcnt lgkmcnt(0)
	v_cmp_lt_i64_e64 s3, v[4:5], v[2:3]
	v_add_nc_u32_e32 v2, 1, v6
	v_cndmask_b32_e64 v13, v13, v6, s3
	v_cndmask_b32_e64 v12, v2, v12, s3
	v_cmp_ge_i32_e64 s3, v12, v13
	s_or_b32 s5, s3, s5
	s_andn2_b32 exec_lo, exec_lo, s5
	s_cbranch_execnz .LBB150_14
; %bb.15:
	s_or_b32 exec_lo, exec_lo, s5
.LBB150_16:
	s_or_b32 exec_lo, exec_lo, s4
	v_add_nc_u32_e32 v1, v26, v11
	v_lshl_add_u32 v6, v12, 3, v0
	v_add_nc_u32_e32 v10, v12, v10
                                        ; implicit-def: $vgpr4_vgpr5
	v_sub_nc_u32_e32 v11, v1, v12
	v_cmp_le_i32_e64 s4, v26, v10
	v_lshl_add_u32 v13, v11, 3, v21
	v_cmp_gt_i32_e64 s5, v25, v11
	ds_read_b64 v[0:1], v6
	ds_read_b64 v[2:3], v13
	s_waitcnt lgkmcnt(0)
	v_cmp_lt_i64_e64 s3, v[2:3], v[0:1]
	s_or_b32 s3, s4, s3
	s_and_b32 s3, s5, s3
	s_xor_b32 s4, s3, -1
	s_and_saveexec_b32 s5, s4
	s_xor_b32 s4, exec_lo, s5
; %bb.17:
	ds_read_b64 v[4:5], v6 offset:8
                                        ; implicit-def: $vgpr13
; %bb.18:
	s_or_saveexec_b32 s4, s4
	v_mov_b32_e32 v7, v3
	v_mov_b32_e32 v6, v2
	s_xor_b32 exec_lo, exec_lo, s4
	s_cbranch_execz .LBB150_20
; %bb.19:
	ds_read_b64 v[6:7], v13 offset:8
	s_waitcnt lgkmcnt(1)
	v_mov_b32_e32 v5, v1
	v_mov_b32_e32 v4, v0
.LBB150_20:
	s_or_b32 exec_lo, exec_lo, s4
	v_add_nc_u32_e32 v12, 1, v10
	v_add_nc_u32_e32 v13, 1, v11
	s_waitcnt lgkmcnt(0)
	v_cmp_lt_i64_e64 s4, v[6:7], v[4:5]
	v_cndmask_b32_e64 v15, v12, v10, s3
	v_cndmask_b32_e64 v14, v11, v13, s3
                                        ; implicit-def: $vgpr10_vgpr11
	v_cmp_ge_i32_e64 s5, v15, v26
	v_cmp_lt_i32_e64 s6, v14, v25
	s_or_b32 s4, s5, s4
	s_and_b32 s4, s6, s4
	s_xor_b32 s5, s4, -1
	s_and_saveexec_b32 s6, s5
	s_xor_b32 s5, exec_lo, s6
; %bb.21:
	v_lshl_add_u32 v10, v15, 3, v21
	ds_read_b64 v[10:11], v10 offset:8
; %bb.22:
	s_or_saveexec_b32 s5, s5
	v_mov_b32_e32 v13, v7
	v_mov_b32_e32 v12, v6
	s_xor_b32 exec_lo, exec_lo, s5
	s_cbranch_execz .LBB150_24
; %bb.23:
	s_waitcnt lgkmcnt(0)
	v_lshl_add_u32 v10, v14, 3, v21
	ds_read_b64 v[12:13], v10 offset:8
	v_mov_b32_e32 v11, v5
	v_mov_b32_e32 v10, v4
.LBB150_24:
	s_or_b32 exec_lo, exec_lo, s5
	v_add_nc_u32_e32 v16, 1, v15
	v_add_nc_u32_e32 v17, 1, v14
	s_waitcnt lgkmcnt(0)
	v_cmp_lt_i64_e64 s5, v[12:13], v[10:11]
	v_cndmask_b32_e64 v23, v16, v15, s4
	v_cndmask_b32_e64 v28, v14, v17, s4
                                        ; implicit-def: $vgpr14_vgpr15
	v_cmp_ge_i32_e64 s6, v23, v26
	v_cmp_lt_i32_e64 s7, v28, v25
	s_or_b32 s5, s6, s5
	s_and_b32 s5, s7, s5
	s_xor_b32 s6, s5, -1
	s_and_saveexec_b32 s7, s6
	s_xor_b32 s6, exec_lo, s7
; %bb.25:
	v_lshl_add_u32 v14, v23, 3, v21
	ds_read_b64 v[14:15], v14 offset:8
; %bb.26:
	s_or_saveexec_b32 s6, s6
	v_mov_b32_e32 v17, v13
	v_mov_b32_e32 v16, v12
	s_xor_b32 exec_lo, exec_lo, s6
	s_cbranch_execz .LBB150_28
; %bb.27:
	s_waitcnt lgkmcnt(0)
	v_lshl_add_u32 v14, v28, 3, v21
	ds_read_b64 v[16:17], v14 offset:8
	v_mov_b32_e32 v15, v11
	v_mov_b32_e32 v14, v10
.LBB150_28:
	s_or_b32 exec_lo, exec_lo, s6
	v_min_i32_e32 v27, 0, v19
	v_cndmask_b32_e64 v10, v10, v12, s5
	v_add_nc_u32_e32 v12, 1, v23
	v_add_nc_u32_e32 v29, 1, v28
	v_cndmask_b32_e64 v6, v4, v6, s4
	v_add_nc_u32_e32 v22, 8, v27
	v_cndmask_b32_e64 v11, v11, v13, s5
	v_cndmask_b32_e64 v4, v12, v23, s5
	;; [unrolled: 1-line block ×4, first 2 shown]
	v_min_i32_e32 v22, v19, v22
	v_cndmask_b32_e64 v7, v5, v7, s4
	s_waitcnt lgkmcnt(0)
	v_cmp_lt_i64_e64 s4, v[16:17], v[14:15]
	v_cmp_ge_i32_e64 s5, v4, v26
	v_cmp_lt_i32_e64 s6, v3, v25
	v_add_nc_u32_e32 v30, 8, v22
	v_min_i32_e32 v1, v19, v20
	v_cndmask_b32_e64 v12, v0, v2, s3
	s_or_b32 s3, s5, s4
	v_sub_nc_u32_e32 v0, v22, v27
	v_min_i32_e32 v23, v19, v30
	s_and_b32 s3, s6, s3
	s_mov_b32 s5, 0
	v_cndmask_b32_e64 v15, v15, v17, s3
	v_cndmask_b32_e64 v14, v14, v16, s3
	v_sub_nc_u32_e32 v4, v23, v22
	s_mov_b32 s4, exec_lo
	; wave barrier
	ds_write2_b64 v24, v[12:13], v[6:7] offset1:1
	v_sub_nc_u32_e32 v2, v1, v4
	v_cmp_ge_i32_e64 s3, v1, v4
	ds_write2_b64 v24, v[10:11], v[14:15] offset0:2 offset1:3
	; wave barrier
	v_cndmask_b32_e64 v4, 0, v2, s3
	v_min_i32_e32 v2, v1, v0
	v_lshl_add_u32 v0, v27, 3, v21
	v_cmpx_lt_i32_e64 v4, v2
	s_cbranch_execz .LBB150_32
; %bb.29:
	v_lshlrev_b32_e32 v3, 3, v22
	v_lshlrev_b32_e32 v5, 3, v1
	v_add3_u32 v3, v21, v3, v5
	.p2align	6
.LBB150_30:                             ; =>This Inner Loop Header: Depth=1
	v_sub_nc_u32_e32 v5, v2, v4
	v_lshrrev_b32_e32 v5, 1, v5
	v_add_nc_u32_e32 v7, v5, v4
	v_not_b32_e32 v5, v7
	v_lshl_add_u32 v6, v7, 3, v0
	v_lshl_add_u32 v10, v5, 3, v3
	ds_read_b64 v[5:6], v6
	ds_read_b64 v[10:11], v10
	s_waitcnt lgkmcnt(0)
	v_cmp_lt_i64_e64 s3, v[10:11], v[5:6]
	v_add_nc_u32_e32 v5, 1, v7
	v_cndmask_b32_e64 v2, v2, v7, s3
	v_cndmask_b32_e64 v4, v5, v4, s3
	v_cmp_ge_i32_e64 s3, v4, v2
	s_or_b32 s5, s3, s5
	s_andn2_b32 exec_lo, exec_lo, s5
	s_cbranch_execnz .LBB150_30
; %bb.31:
	s_or_b32 exec_lo, exec_lo, s5
.LBB150_32:
	s_or_b32 exec_lo, exec_lo, s4
	v_add_nc_u32_e32 v1, v22, v1
	v_lshl_add_u32 v6, v4, 3, v0
	v_add_nc_u32_e32 v11, v4, v27
	v_sub_nc_u32_e32 v10, v1, v4
                                        ; implicit-def: $vgpr4_vgpr5
	v_cmp_le_i32_e64 s4, v22, v11
	v_lshl_add_u32 v12, v10, 3, v21
	v_cmp_gt_i32_e64 s5, v23, v10
	ds_read_b64 v[0:1], v6
	ds_read_b64 v[2:3], v12
	s_waitcnt lgkmcnt(0)
	v_cmp_lt_i64_e64 s3, v[2:3], v[0:1]
	s_or_b32 s3, s4, s3
	s_and_b32 s3, s5, s3
	s_xor_b32 s4, s3, -1
	s_and_saveexec_b32 s5, s4
	s_xor_b32 s4, exec_lo, s5
; %bb.33:
	ds_read_b64 v[4:5], v6 offset:8
                                        ; implicit-def: $vgpr12
; %bb.34:
	s_or_saveexec_b32 s4, s4
	v_mov_b32_e32 v7, v3
	v_mov_b32_e32 v6, v2
	s_xor_b32 exec_lo, exec_lo, s4
	s_cbranch_execz .LBB150_36
; %bb.35:
	ds_read_b64 v[6:7], v12 offset:8
	s_waitcnt lgkmcnt(1)
	v_mov_b32_e32 v5, v1
	v_mov_b32_e32 v4, v0
.LBB150_36:
	s_or_b32 exec_lo, exec_lo, s4
	v_add_nc_u32_e32 v12, 1, v11
	v_add_nc_u32_e32 v13, 1, v10
	s_waitcnt lgkmcnt(0)
	v_cmp_lt_i64_e64 s4, v[6:7], v[4:5]
	v_cndmask_b32_e64 v15, v12, v11, s3
	v_cndmask_b32_e64 v14, v10, v13, s3
                                        ; implicit-def: $vgpr10_vgpr11
	v_cmp_ge_i32_e64 s5, v15, v22
	v_cmp_lt_i32_e64 s6, v14, v23
	s_or_b32 s4, s5, s4
	s_and_b32 s4, s6, s4
	s_xor_b32 s5, s4, -1
	s_and_saveexec_b32 s6, s5
	s_xor_b32 s5, exec_lo, s6
; %bb.37:
	v_lshl_add_u32 v10, v15, 3, v21
	ds_read_b64 v[10:11], v10 offset:8
; %bb.38:
	s_or_saveexec_b32 s5, s5
	v_mov_b32_e32 v13, v7
	v_mov_b32_e32 v12, v6
	s_xor_b32 exec_lo, exec_lo, s5
	s_cbranch_execz .LBB150_40
; %bb.39:
	s_waitcnt lgkmcnt(0)
	v_lshl_add_u32 v10, v14, 3, v21
	ds_read_b64 v[12:13], v10 offset:8
	v_mov_b32_e32 v11, v5
	v_mov_b32_e32 v10, v4
.LBB150_40:
	s_or_b32 exec_lo, exec_lo, s5
	v_add_nc_u32_e32 v16, 1, v15
	v_add_nc_u32_e32 v17, 1, v14
	s_waitcnt lgkmcnt(0)
	v_cmp_lt_i64_e64 s5, v[12:13], v[10:11]
                                        ; implicit-def: $vgpr20
	v_cndmask_b32_e64 v24, v16, v15, s4
	v_cndmask_b32_e64 v19, v14, v17, s4
                                        ; implicit-def: $vgpr14_vgpr15
	v_cmp_ge_i32_e64 s6, v24, v22
	v_cmp_lt_i32_e64 s7, v19, v23
	s_or_b32 s5, s6, s5
	s_and_b32 s5, s7, s5
	s_xor_b32 s6, s5, -1
	s_and_saveexec_b32 s7, s6
	s_xor_b32 s6, exec_lo, s7
; %bb.41:
	v_lshl_add_u32 v14, v24, 3, v21
	v_add_nc_u32_e32 v20, 1, v24
                                        ; implicit-def: $vgpr21
                                        ; implicit-def: $vgpr24
	ds_read_b64 v[14:15], v14 offset:8
; %bb.42:
	s_or_saveexec_b32 s6, s6
	v_mov_b32_e32 v17, v13
	v_mov_b32_e32 v16, v12
	s_xor_b32 exec_lo, exec_lo, s6
	s_cbranch_execz .LBB150_44
; %bb.43:
	s_waitcnt lgkmcnt(0)
	v_lshl_add_u32 v14, v19, 3, v21
	v_add_nc_u32_e32 v19, 1, v19
	v_mov_b32_e32 v20, v24
	ds_read_b64 v[16:17], v14 offset:8
	v_mov_b32_e32 v15, v11
	v_mov_b32_e32 v14, v10
.LBB150_44:
	s_or_b32 exec_lo, exec_lo, s6
	v_add_co_u32 v8, s6, s10, v8
	v_add_co_ci_u32_e64 v9, null, s11, v9, s6
	v_add_co_u32 v8, s6, v8, v18
	v_add_co_ci_u32_e64 v9, null, 0, v9, s6
	s_and_saveexec_b32 s6, vcc_lo
	s_cbranch_execnz .LBB150_49
; %bb.45:
	s_or_b32 exec_lo, exec_lo, s6
	s_and_saveexec_b32 s3, s0
	s_cbranch_execnz .LBB150_50
.LBB150_46:
	s_or_b32 exec_lo, exec_lo, s3
	s_and_saveexec_b32 s0, s1
	s_cbranch_execnz .LBB150_51
.LBB150_47:
	s_or_b32 exec_lo, exec_lo, s0
	s_and_saveexec_b32 s0, s2
	s_cbranch_execnz .LBB150_52
.LBB150_48:
	s_endpgm
.LBB150_49:
	v_cndmask_b32_e64 v1, v1, v3, s3
	v_cndmask_b32_e64 v0, v0, v2, s3
	global_store_dwordx2 v[8:9], v[0:1], off
	s_or_b32 exec_lo, exec_lo, s6
	s_and_saveexec_b32 s3, s0
	s_cbranch_execz .LBB150_46
.LBB150_50:
	v_cndmask_b32_e64 v1, v5, v7, s4
	v_cndmask_b32_e64 v0, v4, v6, s4
	global_store_dwordx2 v[8:9], v[0:1], off offset:8
	s_or_b32 exec_lo, exec_lo, s3
	s_and_saveexec_b32 s0, s1
	s_cbranch_execz .LBB150_47
.LBB150_51:
	v_cndmask_b32_e64 v1, v11, v13, s5
	v_cndmask_b32_e64 v0, v10, v12, s5
	global_store_dwordx2 v[8:9], v[0:1], off offset:16
	s_or_b32 exec_lo, exec_lo, s0
	s_and_saveexec_b32 s0, s2
	s_cbranch_execz .LBB150_48
.LBB150_52:
	s_waitcnt lgkmcnt(0)
	v_cmp_lt_i64_e32 vcc_lo, v[16:17], v[14:15]
	v_cmp_ge_i32_e64 s0, v20, v22
	v_cmp_lt_i32_e64 s1, v19, v23
	s_or_b32 s0, s0, vcc_lo
	s_and_b32 vcc_lo, s1, s0
	v_cndmask_b32_e32 v1, v15, v17, vcc_lo
	v_cndmask_b32_e32 v0, v14, v16, vcc_lo
	global_store_dwordx2 v[8:9], v[0:1], off offset:24
	s_endpgm
	.section	.rodata,"a",@progbits
	.p2align	6, 0x0
	.amdhsa_kernel _Z19sort_keys_segmentedILj256ELj4ELj4ExN10test_utils4lessEEvPKT2_PS2_PKjT3_
		.amdhsa_group_segment_fixed_size 8704
		.amdhsa_private_segment_fixed_size 0
		.amdhsa_kernarg_size 28
		.amdhsa_user_sgpr_count 6
		.amdhsa_user_sgpr_private_segment_buffer 1
		.amdhsa_user_sgpr_dispatch_ptr 0
		.amdhsa_user_sgpr_queue_ptr 0
		.amdhsa_user_sgpr_kernarg_segment_ptr 1
		.amdhsa_user_sgpr_dispatch_id 0
		.amdhsa_user_sgpr_flat_scratch_init 0
		.amdhsa_user_sgpr_private_segment_size 0
		.amdhsa_wavefront_size32 1
		.amdhsa_uses_dynamic_stack 0
		.amdhsa_system_sgpr_private_segment_wavefront_offset 0
		.amdhsa_system_sgpr_workgroup_id_x 1
		.amdhsa_system_sgpr_workgroup_id_y 0
		.amdhsa_system_sgpr_workgroup_id_z 0
		.amdhsa_system_sgpr_workgroup_info 0
		.amdhsa_system_vgpr_workitem_id 0
		.amdhsa_next_free_vgpr 31
		.amdhsa_next_free_sgpr 12
		.amdhsa_reserve_vcc 1
		.amdhsa_reserve_flat_scratch 0
		.amdhsa_float_round_mode_32 0
		.amdhsa_float_round_mode_16_64 0
		.amdhsa_float_denorm_mode_32 3
		.amdhsa_float_denorm_mode_16_64 3
		.amdhsa_dx10_clamp 1
		.amdhsa_ieee_mode 1
		.amdhsa_fp16_overflow 0
		.amdhsa_workgroup_processor_mode 1
		.amdhsa_memory_ordered 1
		.amdhsa_forward_progress 1
		.amdhsa_shared_vgpr_count 0
		.amdhsa_exception_fp_ieee_invalid_op 0
		.amdhsa_exception_fp_denorm_src 0
		.amdhsa_exception_fp_ieee_div_zero 0
		.amdhsa_exception_fp_ieee_overflow 0
		.amdhsa_exception_fp_ieee_underflow 0
		.amdhsa_exception_fp_ieee_inexact 0
		.amdhsa_exception_int_div_zero 0
	.end_amdhsa_kernel
	.section	.text._Z19sort_keys_segmentedILj256ELj4ELj4ExN10test_utils4lessEEvPKT2_PS2_PKjT3_,"axG",@progbits,_Z19sort_keys_segmentedILj256ELj4ELj4ExN10test_utils4lessEEvPKT2_PS2_PKjT3_,comdat
.Lfunc_end150:
	.size	_Z19sort_keys_segmentedILj256ELj4ELj4ExN10test_utils4lessEEvPKT2_PS2_PKjT3_, .Lfunc_end150-_Z19sort_keys_segmentedILj256ELj4ELj4ExN10test_utils4lessEEvPKT2_PS2_PKjT3_
                                        ; -- End function
	.set _Z19sort_keys_segmentedILj256ELj4ELj4ExN10test_utils4lessEEvPKT2_PS2_PKjT3_.num_vgpr, 31
	.set _Z19sort_keys_segmentedILj256ELj4ELj4ExN10test_utils4lessEEvPKT2_PS2_PKjT3_.num_agpr, 0
	.set _Z19sort_keys_segmentedILj256ELj4ELj4ExN10test_utils4lessEEvPKT2_PS2_PKjT3_.numbered_sgpr, 12
	.set _Z19sort_keys_segmentedILj256ELj4ELj4ExN10test_utils4lessEEvPKT2_PS2_PKjT3_.num_named_barrier, 0
	.set _Z19sort_keys_segmentedILj256ELj4ELj4ExN10test_utils4lessEEvPKT2_PS2_PKjT3_.private_seg_size, 0
	.set _Z19sort_keys_segmentedILj256ELj4ELj4ExN10test_utils4lessEEvPKT2_PS2_PKjT3_.uses_vcc, 1
	.set _Z19sort_keys_segmentedILj256ELj4ELj4ExN10test_utils4lessEEvPKT2_PS2_PKjT3_.uses_flat_scratch, 0
	.set _Z19sort_keys_segmentedILj256ELj4ELj4ExN10test_utils4lessEEvPKT2_PS2_PKjT3_.has_dyn_sized_stack, 0
	.set _Z19sort_keys_segmentedILj256ELj4ELj4ExN10test_utils4lessEEvPKT2_PS2_PKjT3_.has_recursion, 0
	.set _Z19sort_keys_segmentedILj256ELj4ELj4ExN10test_utils4lessEEvPKT2_PS2_PKjT3_.has_indirect_call, 0
	.section	.AMDGPU.csdata,"",@progbits
; Kernel info:
; codeLenInByte = 2640
; TotalNumSgprs: 14
; NumVgprs: 31
; ScratchSize: 0
; MemoryBound: 1
; FloatMode: 240
; IeeeMode: 1
; LDSByteSize: 8704 bytes/workgroup (compile time only)
; SGPRBlocks: 0
; VGPRBlocks: 3
; NumSGPRsForWavesPerEU: 14
; NumVGPRsForWavesPerEU: 31
; Occupancy: 16
; WaveLimiterHint : 0
; COMPUTE_PGM_RSRC2:SCRATCH_EN: 0
; COMPUTE_PGM_RSRC2:USER_SGPR: 6
; COMPUTE_PGM_RSRC2:TRAP_HANDLER: 0
; COMPUTE_PGM_RSRC2:TGID_X_EN: 1
; COMPUTE_PGM_RSRC2:TGID_Y_EN: 0
; COMPUTE_PGM_RSRC2:TGID_Z_EN: 0
; COMPUTE_PGM_RSRC2:TIDIG_COMP_CNT: 0
	.section	.text._Z20sort_pairs_segmentedILj256ELj4ELj4ExN10test_utils4lessEEvPKT2_PS2_PKjT3_,"axG",@progbits,_Z20sort_pairs_segmentedILj256ELj4ELj4ExN10test_utils4lessEEvPKT2_PS2_PKjT3_,comdat
	.protected	_Z20sort_pairs_segmentedILj256ELj4ELj4ExN10test_utils4lessEEvPKT2_PS2_PKjT3_ ; -- Begin function _Z20sort_pairs_segmentedILj256ELj4ELj4ExN10test_utils4lessEEvPKT2_PS2_PKjT3_
	.globl	_Z20sort_pairs_segmentedILj256ELj4ELj4ExN10test_utils4lessEEvPKT2_PS2_PKjT3_
	.p2align	8
	.type	_Z20sort_pairs_segmentedILj256ELj4ELj4ExN10test_utils4lessEEvPKT2_PS2_PKjT3_,@function
_Z20sort_pairs_segmentedILj256ELj4ELj4ExN10test_utils4lessEEvPKT2_PS2_PKjT3_: ; @_Z20sort_pairs_segmentedILj256ELj4ELj4ExN10test_utils4lessEEvPKT2_PS2_PKjT3_
; %bb.0:
	s_clause 0x1
	s_load_dwordx2 s[0:1], s[4:5], 0x10
	s_load_dwordx4 s[8:11], s[4:5], 0x0
	v_lshrrev_b32_e32 v35, 2, v0
	v_mov_b32_e32 v1, 0
	v_lshl_or_b32 v0, s6, 6, v35
	v_mov_b32_e32 v4, v1
	v_mov_b32_e32 v5, v1
	;; [unrolled: 1-line block ×3, first 2 shown]
	v_lshlrev_b64 v[2:3], 2, v[0:1]
	v_lshlrev_b32_e32 v0, 4, v0
	v_lshlrev_b64 v[18:19], 3, v[0:1]
	v_mov_b32_e32 v0, v1
	s_waitcnt lgkmcnt(0)
	v_add_co_u32 v2, vcc_lo, s0, v2
	v_add_co_ci_u32_e64 v3, null, s1, v3, vcc_lo
	v_add_co_u32 v7, vcc_lo, s8, v18
	v_add_co_ci_u32_e64 v9, null, s9, v19, vcc_lo
	global_load_dword v33, v[2:3], off
	v_mbcnt_lo_u32_b32 v2, -1, 0
	v_mov_b32_e32 v3, v1
	v_lshlrev_b32_e32 v36, 2, v2
	v_mov_b32_e32 v2, v1
	v_and_b32_e32 v34, 12, v36
	v_lshlrev_b32_e32 v32, 3, v34
	v_add_co_u32 v8, vcc_lo, v7, v32
	v_add_co_ci_u32_e64 v9, null, 0, v9, vcc_lo
	v_mov_b32_e32 v7, v1
	s_waitcnt vmcnt(0)
	v_cmp_lt_u32_e32 vcc_lo, v34, v33
	s_and_saveexec_b32 s0, vcc_lo
	s_cbranch_execz .LBB151_2
; %bb.1:
	global_load_dwordx2 v[10:11], v[8:9], off
	v_mov_b32_e32 v12, v1
	v_mov_b32_e32 v13, v1
	;; [unrolled: 1-line block ×6, first 2 shown]
	s_waitcnt vmcnt(0)
	v_mov_b32_e32 v0, v10
	v_mov_b32_e32 v1, v11
	;; [unrolled: 1-line block ×8, first 2 shown]
.LBB151_2:
	s_or_b32 exec_lo, exec_lo, s0
	v_or_b32_e32 v12, 1, v34
	v_cmp_lt_u32_e64 s0, v12, v33
	s_and_saveexec_b32 s1, s0
	s_cbranch_execz .LBB151_4
; %bb.3:
	global_load_dwordx2 v[2:3], v[8:9], off offset:8
.LBB151_4:
	s_or_b32 exec_lo, exec_lo, s1
	v_or_b32_e32 v10, 2, v34
	v_cmp_lt_u32_e64 s1, v10, v33
	s_and_saveexec_b32 s2, s1
	s_cbranch_execz .LBB151_6
; %bb.5:
	global_load_dwordx2 v[4:5], v[8:9], off offset:16
.LBB151_6:
	s_or_b32 exec_lo, exec_lo, s2
	v_or_b32_e32 v11, 3, v34
	v_cmp_lt_u32_e64 s2, v11, v33
	s_and_saveexec_b32 s3, s2
	s_cbranch_execz .LBB151_8
; %bb.7:
	global_load_dwordx2 v[6:7], v[8:9], off offset:24
.LBB151_8:
	s_or_b32 exec_lo, exec_lo, s3
	v_add_co_u32 v20, s3, v0, 1
	v_add_co_ci_u32_e64 v21, null, 0, v1, s3
	s_waitcnt vmcnt(0)
	v_add_co_u32 v22, s3, v2, 1
	v_add_co_ci_u32_e64 v23, null, 0, v3, s3
	v_add_co_u32 v24, s3, v4, 1
	v_add_co_ci_u32_e64 v25, null, 0, v5, s3
	v_cmp_lt_i32_e64 s3, v10, v33
	v_cmp_lt_i32_e64 s4, v11, v33
	v_add_co_u32 v10, s5, v6, 1
	v_add_co_ci_u32_e64 v11, null, 0, v7, s5
	v_cmp_lt_i32_e64 s5, v12, v33
	s_or_b32 s3, s4, s3
	v_cndmask_b32_e64 v9, 0x7fffffff, v7, s4
	v_cndmask_b32_e64 v27, 0x7fffffff, v5, s3
	v_cndmask_b32_e64 v26, -1, v4, s3
	s_or_b32 s3, s3, s5
	v_cndmask_b32_e64 v8, -1, v6, s4
	v_cndmask_b32_e64 v3, 0x7fffffff, v3, s3
	v_cndmask_b32_e64 v2, -1, v2, s3
	s_mov_b32 s6, exec_lo
	v_cmpx_lt_i32_e64 v34, v33
	s_cbranch_execz .LBB151_18
; %bb.9:
	v_cmp_lt_i64_e64 s3, v[2:3], v[0:1]
	v_mov_b32_e32 v29, v11
	v_mov_b32_e32 v6, v26
	;; [unrolled: 1-line block ×4, first 2 shown]
	s_mov_b32 s5, exec_lo
	v_cndmask_b32_e64 v5, v3, v1, s3
	v_cndmask_b32_e64 v4, v2, v0, s3
	;; [unrolled: 1-line block ×4, first 2 shown]
	v_cmpx_lt_i64_e64 v[8:9], v[26:27]
	s_cbranch_execz .LBB151_11
; %bb.10:
	v_mov_b32_e32 v0, v26
	v_mov_b32_e32 v1, v27
	;; [unrolled: 1-line block ×12, first 2 shown]
.LBB151_11:
	s_or_b32 exec_lo, exec_lo, s5
	v_mov_b32_e32 v17, v9
	v_cmp_lt_i64_e64 s4, v[26:27], v[4:5]
	v_mov_b32_e32 v16, v8
	v_mov_b32_e32 v15, v7
	;; [unrolled: 1-line block ×8, first 2 shown]
	v_cndmask_b32_e64 v31, v23, v21, s3
	v_cndmask_b32_e64 v30, v22, v20, s3
	v_mov_b32_e32 v7, v25
	s_and_saveexec_b32 s5, s4
	s_xor_b32 s4, exec_lo, s5
	s_cbranch_execz .LBB151_13
; %bb.12:
	v_mov_b32_e32 v17, v9
	v_mov_b32_e32 v16, v8
	;; [unrolled: 1-line block ×20, first 2 shown]
.LBB151_13:
	s_or_b32 exec_lo, exec_lo, s4
	v_cmp_lt_i64_e64 s4, v[4:5], v[2:3]
	v_mov_b32_e32 v27, v15
	v_mov_b32_e32 v8, v16
	;; [unrolled: 1-line block ×4, first 2 shown]
	s_mov_b32 s7, exec_lo
	v_cndmask_b32_e64 v3, v13, v11, s4
	v_cndmask_b32_e64 v2, v12, v10, s4
	;; [unrolled: 1-line block ×4, first 2 shown]
	v_mov_b32_e32 v10, v28
	v_mov_b32_e32 v11, v29
	v_cmpx_lt_i64_e64 v[8:9], v[14:15]
	s_cbranch_execz .LBB151_15
; %bb.14:
	v_mov_b32_e32 v4, v14
	v_mov_b32_e32 v5, v15
	;; [unrolled: 1-line block ×12, first 2 shown]
.LBB151_15:
	s_or_b32 exec_lo, exec_lo, s7
	v_cndmask_b32_e64 v12, v21, v23, s3
	v_cndmask_b32_e64 v13, v20, v22, s3
	;; [unrolled: 1-line block ×6, first 2 shown]
	s_mov_b32 s4, exec_lo
	v_mov_b32_e32 v23, v5
	v_mov_b32_e32 v22, v4
	v_cmpx_lt_i64_e64 v[14:15], v[2:3]
	s_cbranch_execz .LBB151_17
; %bb.16:
	v_mov_b32_e32 v27, v3
	v_mov_b32_e32 v23, v7
	;; [unrolled: 1-line block ×8, first 2 shown]
.LBB151_17:
	s_or_b32 exec_lo, exec_lo, s4
	v_mov_b32_e32 v25, v7
	v_mov_b32_e32 v24, v6
.LBB151_18:
	s_or_b32 exec_lo, exec_lo, s6
	v_and_b32_e32 v4, 8, v36
	v_and_b32_e32 v6, 4, v36
	v_mad_u32_u24 v31, 0x88, v35, v32
	v_mul_u32_u24_e32 v30, 0x88, v35
	v_min_i32_e32 v7, v33, v4
	v_min_i32_e32 v6, v33, v6
	; wave barrier
	v_mov_b32_e32 v12, v8
	ds_write2_b64 v31, v[0:1], v[2:3] offset1:1
	v_add_nc_u32_e32 v4, 4, v7
	v_lshlrev_b32_e32 v16, 3, v7
	s_mov_b32 s5, 0
	s_mov_b32 s4, exec_lo
	v_min_i32_e32 v4, v33, v4
	v_mad_u32_u24 v0, 0x88, v35, v16
	v_add_nc_u32_e32 v5, 4, v4
	v_sub_nc_u32_e32 v15, v4, v7
	v_min_i32_e32 v5, v33, v5
	v_min_i32_e32 v8, v6, v15
	v_sub_nc_u32_e32 v13, v5, v4
	v_sub_nc_u32_e32 v14, v6, v13
	v_cmp_ge_i32_e64 s3, v6, v13
	v_mov_b32_e32 v13, v9
	v_cndmask_b32_e64 v14, 0, v14, s3
	ds_write2_b64 v31, v[26:27], v[12:13] offset0:2 offset1:3
	; wave barrier
	v_cmpx_lt_i32_e64 v14, v8
	s_cbranch_execz .LBB151_22
; %bb.19:
	v_lshlrev_b32_e32 v1, 3, v4
	v_lshlrev_b32_e32 v2, 3, v6
	v_add3_u32 v1, v30, v1, v2
	.p2align	6
.LBB151_20:                             ; =>This Inner Loop Header: Depth=1
	v_sub_nc_u32_e32 v2, v8, v14
	v_lshrrev_b32_e32 v2, 1, v2
	v_add_nc_u32_e32 v9, v2, v14
	v_not_b32_e32 v2, v9
	v_lshl_add_u32 v3, v9, 3, v0
	v_lshl_add_u32 v12, v2, 3, v1
	ds_read_b64 v[2:3], v3
	ds_read_b64 v[12:13], v12
	s_waitcnt lgkmcnt(0)
	v_cmp_lt_i64_e64 s3, v[12:13], v[2:3]
	v_add_nc_u32_e32 v2, 1, v9
	v_cndmask_b32_e64 v8, v8, v9, s3
	v_cndmask_b32_e64 v14, v2, v14, s3
	v_cmp_ge_i32_e64 s3, v14, v8
	s_or_b32 s5, s3, s5
	s_andn2_b32 exec_lo, exec_lo, s5
	s_cbranch_execnz .LBB151_20
; %bb.21:
	s_or_b32 exec_lo, exec_lo, s5
.LBB151_22:
	s_or_b32 exec_lo, exec_lo, s4
	v_add_nc_u32_e32 v1, v4, v6
	v_add_nc_u32_e32 v7, v14, v7
	v_sub_nc_u32_e32 v6, v1, v14
	v_lshl_add_u32 v1, v14, 3, v0
	v_cmp_le_i32_e64 s4, v4, v7
                                        ; implicit-def: $vgpr14_vgpr15
	v_lshl_add_u32 v0, v6, 3, v30
	v_cmp_gt_i32_e64 s5, v5, v6
	ds_read_b64 v[8:9], v1
	ds_read_b64 v[12:13], v0
	s_waitcnt lgkmcnt(0)
	v_cmp_lt_i64_e64 s3, v[12:13], v[8:9]
	s_or_b32 s3, s4, s3
	s_and_b32 s3, s5, s3
	s_xor_b32 s4, s3, -1
	s_and_saveexec_b32 s5, s4
	s_xor_b32 s4, exec_lo, s5
; %bb.23:
	ds_read_b64 v[14:15], v1 offset:8
                                        ; implicit-def: $vgpr0
; %bb.24:
	s_or_saveexec_b32 s4, s4
	v_mov_b32_e32 v17, v13
	v_mov_b32_e32 v16, v12
	s_xor_b32 exec_lo, exec_lo, s4
	s_cbranch_execz .LBB151_26
; %bb.25:
	ds_read_b64 v[16:17], v0 offset:8
	s_waitcnt lgkmcnt(1)
	v_mov_b32_e32 v15, v9
	v_mov_b32_e32 v14, v8
.LBB151_26:
	s_or_b32 exec_lo, exec_lo, s4
	v_add_nc_u32_e32 v0, 1, v7
	v_add_nc_u32_e32 v1, 1, v6
	s_waitcnt lgkmcnt(0)
	v_cmp_lt_i64_e64 s4, v[16:17], v[14:15]
	v_cndmask_b32_e64 v35, v0, v7, s3
	v_cndmask_b32_e64 v36, v6, v1, s3
                                        ; implicit-def: $vgpr0_vgpr1
	v_cmp_ge_i32_e64 s5, v35, v4
	v_cmp_lt_i32_e64 s6, v36, v5
	s_or_b32 s4, s5, s4
	s_and_b32 s4, s6, s4
	s_xor_b32 s5, s4, -1
	s_and_saveexec_b32 s6, s5
	s_xor_b32 s5, exec_lo, s6
; %bb.27:
	v_lshl_add_u32 v0, v35, 3, v30
	ds_read_b64 v[0:1], v0 offset:8
; %bb.28:
	s_or_saveexec_b32 s5, s5
	v_mov_b32_e32 v2, v16
	v_mov_b32_e32 v3, v17
	s_xor_b32 exec_lo, exec_lo, s5
	s_cbranch_execz .LBB151_30
; %bb.29:
	s_waitcnt lgkmcnt(0)
	v_lshl_add_u32 v0, v36, 3, v30
	ds_read_b64 v[2:3], v0 offset:8
	v_mov_b32_e32 v0, v14
	v_mov_b32_e32 v1, v15
.LBB151_30:
	s_or_b32 exec_lo, exec_lo, s5
	v_add_nc_u32_e32 v26, 1, v35
	v_add_nc_u32_e32 v27, 1, v36
	s_waitcnt lgkmcnt(0)
	v_cmp_lt_i64_e64 s5, v[2:3], v[0:1]
	v_cndmask_b32_e64 v37, v26, v35, s4
	v_cndmask_b32_e64 v38, v36, v27, s4
                                        ; implicit-def: $vgpr26_vgpr27
	v_cmp_ge_i32_e64 s6, v37, v4
	v_cmp_lt_i32_e64 s7, v38, v5
	s_or_b32 s5, s6, s5
	s_and_b32 s5, s7, s5
	s_xor_b32 s6, s5, -1
	s_and_saveexec_b32 s7, s6
	s_xor_b32 s6, exec_lo, s7
; %bb.31:
	v_lshl_add_u32 v26, v37, 3, v30
	ds_read_b64 v[26:27], v26 offset:8
; %bb.32:
	s_or_saveexec_b32 s6, s6
	v_mov_b32_e32 v29, v3
	v_mov_b32_e32 v28, v2
	s_xor_b32 exec_lo, exec_lo, s6
	s_cbranch_execz .LBB151_34
; %bb.33:
	s_waitcnt lgkmcnt(0)
	v_lshl_add_u32 v26, v38, 3, v30
	ds_read_b64 v[28:29], v26 offset:8
	v_mov_b32_e32 v27, v1
	v_mov_b32_e32 v26, v0
.LBB151_34:
	s_or_b32 exec_lo, exec_lo, s6
	v_add_nc_u32_e32 v41, 1, v37
	v_cndmask_b32_e64 v40, v1, v3, s5
	v_add_nc_u32_e32 v1, 1, v38
	v_cndmask_b32_e64 v39, v0, v2, s5
	v_cndmask_b32_e64 v0, v37, v38, s5
	;; [unrolled: 1-line block ×3, first 2 shown]
	v_min_i32_e32 v37, 0, v33
	v_cndmask_b32_e64 v1, v38, v1, s5
	s_waitcnt lgkmcnt(0)
	v_cmp_lt_i64_e64 s5, v[28:29], v[26:27]
	v_cndmask_b32_e64 v3, v35, v36, s4
	v_cmp_ge_i32_e64 s6, v2, v4
	v_add_nc_u32_e32 v4, 8, v37
	v_cmp_lt_i32_e64 s7, v1, v5
	v_cndmask_b32_e64 v5, v7, v6, s3
	v_lshl_add_u32 v0, v0, 3, v30
	s_or_b32 s5, s6, s5
	v_min_i32_e32 v35, v33, v4
	s_and_b32 s5, s7, s5
	v_lshl_add_u32 v4, v5, 3, v30
	v_cndmask_b32_e64 v1, v2, v1, s5
	v_cndmask_b32_e64 v29, v27, v29, s5
	v_add_nc_u32_e32 v2, 8, v35
	; wave barrier
	ds_write2_b64 v31, v[20:21], v[22:23] offset1:1
	ds_write2_b64 v31, v[24:25], v[10:11] offset0:2 offset1:3
	v_min_i32_e32 v27, v33, v2
	v_lshl_add_u32 v2, v3, 3, v30
	v_lshl_add_u32 v3, v1, 3, v30
	; wave barrier
	ds_read_b64 v[4:5], v4
	ds_read_b64 v[6:7], v2
	ds_read_b64 v[0:1], v0
	ds_read_b64 v[2:3], v3
	v_min_i32_e32 v10, v33, v34
	v_sub_nc_u32_e32 v11, v27, v35
	v_cndmask_b32_e64 v15, v15, v17, s4
	v_cndmask_b32_e64 v14, v14, v16, s4
	;; [unrolled: 1-line block ×3, first 2 shown]
	v_sub_nc_u32_e32 v13, v35, v37
	v_sub_nc_u32_e32 v9, v10, v11
	v_cndmask_b32_e64 v16, v8, v12, s3
	v_cmp_ge_i32_e64 s3, v10, v11
	v_cndmask_b32_e64 v28, v26, v28, s5
	v_lshl_add_u32 v8, v37, 3, v30
	s_mov_b32 s5, 0
	s_mov_b32 s4, exec_lo
	v_cndmask_b32_e64 v12, 0, v9, s3
	v_min_i32_e32 v9, v10, v13
	; wave barrier
	ds_write2_b64 v31, v[16:17], v[14:15] offset1:1
	ds_write2_b64 v31, v[39:40], v[28:29] offset0:2 offset1:3
	; wave barrier
	v_cmpx_lt_i32_e64 v12, v9
	s_cbranch_execz .LBB151_38
; %bb.35:
	v_lshlrev_b32_e32 v11, 3, v35
	v_lshlrev_b32_e32 v13, 3, v10
	v_add3_u32 v11, v30, v11, v13
	.p2align	6
.LBB151_36:                             ; =>This Inner Loop Header: Depth=1
	v_sub_nc_u32_e32 v13, v9, v12
	v_lshrrev_b32_e32 v13, 1, v13
	v_add_nc_u32_e32 v17, v13, v12
	v_not_b32_e32 v13, v17
	v_lshl_add_u32 v14, v17, 3, v8
	v_lshl_add_u32 v15, v13, 3, v11
	ds_read_b64 v[13:14], v14
	ds_read_b64 v[15:16], v15
	s_waitcnt lgkmcnt(0)
	v_cmp_lt_i64_e64 s3, v[15:16], v[13:14]
	v_add_nc_u32_e32 v13, 1, v17
	v_cndmask_b32_e64 v9, v9, v17, s3
	v_cndmask_b32_e64 v12, v13, v12, s3
	v_cmp_ge_i32_e64 s3, v12, v9
	s_or_b32 s5, s3, s5
	s_andn2_b32 exec_lo, exec_lo, s5
	s_cbranch_execnz .LBB151_36
; %bb.37:
	s_or_b32 exec_lo, exec_lo, s5
.LBB151_38:
	s_or_b32 exec_lo, exec_lo, s4
	v_add_nc_u32_e32 v9, v35, v10
	v_lshl_add_u32 v14, v12, 3, v8
	v_add_nc_u32_e32 v28, v12, v37
	v_sub_nc_u32_e32 v26, v9, v12
                                        ; implicit-def: $vgpr12_vgpr13
	v_cmp_le_i32_e64 s4, v35, v28
	v_lshl_add_u32 v16, v26, 3, v30
	v_cmp_gt_i32_e64 s5, v27, v26
	ds_read_b64 v[8:9], v14
	ds_read_b64 v[10:11], v16
	s_waitcnt lgkmcnt(0)
	v_cmp_lt_i64_e64 s3, v[10:11], v[8:9]
	s_or_b32 s3, s4, s3
	s_and_b32 s3, s5, s3
	s_xor_b32 s4, s3, -1
	s_and_saveexec_b32 s5, s4
	s_xor_b32 s4, exec_lo, s5
; %bb.39:
	ds_read_b64 v[12:13], v14 offset:8
                                        ; implicit-def: $vgpr16
; %bb.40:
	s_or_saveexec_b32 s4, s4
	v_mov_b32_e32 v15, v11
	v_mov_b32_e32 v14, v10
	s_xor_b32 exec_lo, exec_lo, s4
	s_cbranch_execz .LBB151_42
; %bb.41:
	ds_read_b64 v[14:15], v16 offset:8
	s_waitcnt lgkmcnt(1)
	v_mov_b32_e32 v13, v9
	v_mov_b32_e32 v12, v8
.LBB151_42:
	s_or_b32 exec_lo, exec_lo, s4
	v_add_nc_u32_e32 v16, 1, v28
	v_add_nc_u32_e32 v17, 1, v26
	s_waitcnt lgkmcnt(0)
	v_cmp_lt_i64_e64 s4, v[14:15], v[12:13]
	v_cndmask_b32_e64 v29, v16, v28, s3
	v_cndmask_b32_e64 v33, v26, v17, s3
                                        ; implicit-def: $vgpr16_vgpr17
	v_cmp_ge_i32_e64 s5, v29, v35
	v_cmp_lt_i32_e64 s6, v33, v27
	s_or_b32 s4, s5, s4
	s_and_b32 s4, s6, s4
	s_xor_b32 s5, s4, -1
	s_and_saveexec_b32 s6, s5
	s_xor_b32 s5, exec_lo, s6
; %bb.43:
	v_lshl_add_u32 v16, v29, 3, v30
	ds_read_b64 v[16:17], v16 offset:8
; %bb.44:
	s_or_saveexec_b32 s5, s5
	v_mov_b32_e32 v21, v15
	v_mov_b32_e32 v20, v14
	s_xor_b32 exec_lo, exec_lo, s5
	s_cbranch_execz .LBB151_46
; %bb.45:
	s_waitcnt lgkmcnt(0)
	v_lshl_add_u32 v16, v33, 3, v30
	ds_read_b64 v[20:21], v16 offset:8
	v_mov_b32_e32 v17, v13
	v_mov_b32_e32 v16, v12
.LBB151_46:
	s_or_b32 exec_lo, exec_lo, s5
	v_add_nc_u32_e32 v22, 1, v29
	v_add_nc_u32_e32 v23, 1, v33
	s_waitcnt lgkmcnt(0)
	v_cmp_lt_i64_e64 s5, v[20:21], v[16:17]
                                        ; implicit-def: $vgpr37
	v_cndmask_b32_e64 v38, v22, v29, s4
	v_cndmask_b32_e64 v34, v33, v23, s4
                                        ; implicit-def: $vgpr22_vgpr23
	v_cmp_ge_i32_e64 s6, v38, v35
	v_cmp_lt_i32_e64 s7, v34, v27
	s_or_b32 s5, s6, s5
	s_and_b32 s5, s7, s5
	s_xor_b32 s6, s5, -1
	s_and_saveexec_b32 s7, s6
	s_xor_b32 s6, exec_lo, s7
; %bb.47:
	v_lshl_add_u32 v22, v38, 3, v30
	v_add_nc_u32_e32 v37, 1, v38
	ds_read_b64 v[22:23], v22 offset:8
; %bb.48:
	s_or_saveexec_b32 s6, s6
	v_mov_b32_e32 v25, v21
	v_mov_b32_e32 v36, v38
	;; [unrolled: 1-line block ×3, first 2 shown]
	s_xor_b32 exec_lo, exec_lo, s6
	s_cbranch_execz .LBB151_50
; %bb.49:
	s_waitcnt lgkmcnt(0)
	v_lshl_add_u32 v22, v34, 3, v30
	v_mov_b32_e32 v36, v34
	v_mov_b32_e32 v37, v38
	ds_read_b64 v[24:25], v22 offset:8
	v_add_nc_u32_e32 v22, 1, v34
	v_mov_b32_e32 v34, v22
	v_mov_b32_e32 v23, v17
	;; [unrolled: 1-line block ×3, first 2 shown]
.LBB151_50:
	s_or_b32 exec_lo, exec_lo, s6
	s_waitcnt lgkmcnt(0)
	v_cmp_lt_i64_e64 s6, v[24:25], v[22:23]
	v_cmp_ge_i32_e64 s7, v37, v35
	v_cmp_lt_i32_e64 s8, v34, v27
	v_cndmask_b32_e64 v27, v29, v33, s4
	; wave barrier
	s_or_b32 s6, s7, s6
	ds_write2_b64 v31, v[4:5], v[6:7] offset1:1
	ds_write2_b64 v31, v[0:1], v[2:3] offset0:2 offset1:3
	s_and_b32 s6, s8, s6
	v_lshl_add_u32 v0, v27, 3, v30
	v_cndmask_b32_e64 v23, v23, v25, s6
	v_cndmask_b32_e64 v25, v37, v34, s6
	v_lshl_add_u32 v1, v36, 3, v30
	; wave barrier
	v_lshl_add_u32 v2, v25, 3, v30
	ds_read_b64 v[6:7], v0
	ds_read_b64 v[4:5], v1
	;; [unrolled: 1-line block ×3, first 2 shown]
	v_cndmask_b32_e64 v1, v9, v11, s3
	v_cndmask_b32_e64 v0, v8, v10, s3
	;; [unrolled: 1-line block ×7, first 2 shown]
	s_and_saveexec_b32 s4, vcc_lo
	s_cbranch_execz .LBB151_52
; %bb.51:
	v_cndmask_b32_e64 v13, v28, v26, s3
	v_lshl_add_u32 v13, v13, 3, v30
	ds_read_b64 v[13:14], v13
	s_waitcnt lgkmcnt(0)
	v_add_co_u32 v0, s3, v13, v0
	v_add_co_ci_u32_e64 v1, null, v14, v1, s3
.LBB151_52:
	s_or_b32 exec_lo, exec_lo, s4
	s_waitcnt lgkmcnt(2)
	v_add_co_u32 v6, s3, v8, v6
	v_add_co_ci_u32_e64 v7, null, v9, v7, s3
	s_waitcnt lgkmcnt(1)
	v_add_co_u32 v4, s3, v11, v4
	v_add_co_ci_u32_e64 v5, null, v12, v5, s3
	;; [unrolled: 3-line block ×3, first 2 shown]
	v_cndmask_b32_e64 v8, v8, v6, s0
	v_cndmask_b32_e64 v6, v11, v4, s1
	v_add_co_u32 v4, s3, s10, v18
	v_cndmask_b32_e64 v9, v9, v7, s0
	v_cndmask_b32_e64 v7, v12, v5, s1
	v_add_co_ci_u32_e64 v5, null, s11, v19, s3
	v_add_co_u32 v4, s3, v4, v32
	v_cndmask_b32_e64 v3, v23, v3, s2
	v_cndmask_b32_e64 v2, v10, v2, s2
	v_add_co_ci_u32_e64 v5, null, 0, v5, s3
	s_and_saveexec_b32 s3, vcc_lo
	s_xor_b32 s3, exec_lo, s3
	s_cbranch_execnz .LBB151_57
; %bb.53:
	s_or_b32 exec_lo, exec_lo, s3
	s_and_saveexec_b32 s3, s0
	s_cbranch_execnz .LBB151_58
.LBB151_54:
	s_or_b32 exec_lo, exec_lo, s3
	s_and_saveexec_b32 s0, s1
	s_cbranch_execnz .LBB151_59
.LBB151_55:
	s_or_b32 exec_lo, exec_lo, s0
	s_and_saveexec_b32 s0, s2
	s_cbranch_execnz .LBB151_60
.LBB151_56:
	s_endpgm
.LBB151_57:
	global_store_dwordx2 v[4:5], v[0:1], off
	s_or_b32 exec_lo, exec_lo, s3
	s_and_saveexec_b32 s3, s0
	s_cbranch_execz .LBB151_54
.LBB151_58:
	global_store_dwordx2 v[4:5], v[8:9], off offset:8
	s_or_b32 exec_lo, exec_lo, s3
	s_and_saveexec_b32 s0, s1
	s_cbranch_execz .LBB151_55
.LBB151_59:
	global_store_dwordx2 v[4:5], v[6:7], off offset:16
	s_or_b32 exec_lo, exec_lo, s0
	s_and_saveexec_b32 s0, s2
	s_cbranch_execz .LBB151_56
.LBB151_60:
	global_store_dwordx2 v[4:5], v[2:3], off offset:24
	s_endpgm
	.section	.rodata,"a",@progbits
	.p2align	6, 0x0
	.amdhsa_kernel _Z20sort_pairs_segmentedILj256ELj4ELj4ExN10test_utils4lessEEvPKT2_PS2_PKjT3_
		.amdhsa_group_segment_fixed_size 8704
		.amdhsa_private_segment_fixed_size 0
		.amdhsa_kernarg_size 28
		.amdhsa_user_sgpr_count 6
		.amdhsa_user_sgpr_private_segment_buffer 1
		.amdhsa_user_sgpr_dispatch_ptr 0
		.amdhsa_user_sgpr_queue_ptr 0
		.amdhsa_user_sgpr_kernarg_segment_ptr 1
		.amdhsa_user_sgpr_dispatch_id 0
		.amdhsa_user_sgpr_flat_scratch_init 0
		.amdhsa_user_sgpr_private_segment_size 0
		.amdhsa_wavefront_size32 1
		.amdhsa_uses_dynamic_stack 0
		.amdhsa_system_sgpr_private_segment_wavefront_offset 0
		.amdhsa_system_sgpr_workgroup_id_x 1
		.amdhsa_system_sgpr_workgroup_id_y 0
		.amdhsa_system_sgpr_workgroup_id_z 0
		.amdhsa_system_sgpr_workgroup_info 0
		.amdhsa_system_vgpr_workitem_id 0
		.amdhsa_next_free_vgpr 42
		.amdhsa_next_free_sgpr 12
		.amdhsa_reserve_vcc 1
		.amdhsa_reserve_flat_scratch 0
		.amdhsa_float_round_mode_32 0
		.amdhsa_float_round_mode_16_64 0
		.amdhsa_float_denorm_mode_32 3
		.amdhsa_float_denorm_mode_16_64 3
		.amdhsa_dx10_clamp 1
		.amdhsa_ieee_mode 1
		.amdhsa_fp16_overflow 0
		.amdhsa_workgroup_processor_mode 1
		.amdhsa_memory_ordered 1
		.amdhsa_forward_progress 1
		.amdhsa_shared_vgpr_count 0
		.amdhsa_exception_fp_ieee_invalid_op 0
		.amdhsa_exception_fp_denorm_src 0
		.amdhsa_exception_fp_ieee_div_zero 0
		.amdhsa_exception_fp_ieee_overflow 0
		.amdhsa_exception_fp_ieee_underflow 0
		.amdhsa_exception_fp_ieee_inexact 0
		.amdhsa_exception_int_div_zero 0
	.end_amdhsa_kernel
	.section	.text._Z20sort_pairs_segmentedILj256ELj4ELj4ExN10test_utils4lessEEvPKT2_PS2_PKjT3_,"axG",@progbits,_Z20sort_pairs_segmentedILj256ELj4ELj4ExN10test_utils4lessEEvPKT2_PS2_PKjT3_,comdat
.Lfunc_end151:
	.size	_Z20sort_pairs_segmentedILj256ELj4ELj4ExN10test_utils4lessEEvPKT2_PS2_PKjT3_, .Lfunc_end151-_Z20sort_pairs_segmentedILj256ELj4ELj4ExN10test_utils4lessEEvPKT2_PS2_PKjT3_
                                        ; -- End function
	.set _Z20sort_pairs_segmentedILj256ELj4ELj4ExN10test_utils4lessEEvPKT2_PS2_PKjT3_.num_vgpr, 42
	.set _Z20sort_pairs_segmentedILj256ELj4ELj4ExN10test_utils4lessEEvPKT2_PS2_PKjT3_.num_agpr, 0
	.set _Z20sort_pairs_segmentedILj256ELj4ELj4ExN10test_utils4lessEEvPKT2_PS2_PKjT3_.numbered_sgpr, 12
	.set _Z20sort_pairs_segmentedILj256ELj4ELj4ExN10test_utils4lessEEvPKT2_PS2_PKjT3_.num_named_barrier, 0
	.set _Z20sort_pairs_segmentedILj256ELj4ELj4ExN10test_utils4lessEEvPKT2_PS2_PKjT3_.private_seg_size, 0
	.set _Z20sort_pairs_segmentedILj256ELj4ELj4ExN10test_utils4lessEEvPKT2_PS2_PKjT3_.uses_vcc, 1
	.set _Z20sort_pairs_segmentedILj256ELj4ELj4ExN10test_utils4lessEEvPKT2_PS2_PKjT3_.uses_flat_scratch, 0
	.set _Z20sort_pairs_segmentedILj256ELj4ELj4ExN10test_utils4lessEEvPKT2_PS2_PKjT3_.has_dyn_sized_stack, 0
	.set _Z20sort_pairs_segmentedILj256ELj4ELj4ExN10test_utils4lessEEvPKT2_PS2_PKjT3_.has_recursion, 0
	.set _Z20sort_pairs_segmentedILj256ELj4ELj4ExN10test_utils4lessEEvPKT2_PS2_PKjT3_.has_indirect_call, 0
	.section	.AMDGPU.csdata,"",@progbits
; Kernel info:
; codeLenInByte = 3232
; TotalNumSgprs: 14
; NumVgprs: 42
; ScratchSize: 0
; MemoryBound: 1
; FloatMode: 240
; IeeeMode: 1
; LDSByteSize: 8704 bytes/workgroup (compile time only)
; SGPRBlocks: 0
; VGPRBlocks: 5
; NumSGPRsForWavesPerEU: 14
; NumVGPRsForWavesPerEU: 42
; Occupancy: 16
; WaveLimiterHint : 0
; COMPUTE_PGM_RSRC2:SCRATCH_EN: 0
; COMPUTE_PGM_RSRC2:USER_SGPR: 6
; COMPUTE_PGM_RSRC2:TRAP_HANDLER: 0
; COMPUTE_PGM_RSRC2:TGID_X_EN: 1
; COMPUTE_PGM_RSRC2:TGID_Y_EN: 0
; COMPUTE_PGM_RSRC2:TGID_Z_EN: 0
; COMPUTE_PGM_RSRC2:TIDIG_COMP_CNT: 0
	.section	.text._Z9sort_keysILj256ELj4ELj8ExN10test_utils4lessEEvPKT2_PS2_T3_,"axG",@progbits,_Z9sort_keysILj256ELj4ELj8ExN10test_utils4lessEEvPKT2_PS2_T3_,comdat
	.protected	_Z9sort_keysILj256ELj4ELj8ExN10test_utils4lessEEvPKT2_PS2_T3_ ; -- Begin function _Z9sort_keysILj256ELj4ELj8ExN10test_utils4lessEEvPKT2_PS2_T3_
	.globl	_Z9sort_keysILj256ELj4ELj8ExN10test_utils4lessEEvPKT2_PS2_T3_
	.p2align	8
	.type	_Z9sort_keysILj256ELj4ELj8ExN10test_utils4lessEEvPKT2_PS2_T3_,@function
_Z9sort_keysILj256ELj4ELj8ExN10test_utils4lessEEvPKT2_PS2_T3_: ; @_Z9sort_keysILj256ELj4ELj8ExN10test_utils4lessEEvPKT2_PS2_T3_
; %bb.0:
	s_load_dwordx4 s[8:11], s[4:5], 0x0
	s_mov_b32 s7, 0
	s_lshl_b32 s6, s6, 11
	v_lshlrev_b32_e32 v1, 6, v0
	s_lshl_b64 s[12:13], s[6:7], 3
	v_lshlrev_b32_e32 v32, 3, v0
	v_mov_b32_e32 v9, 0
	s_waitcnt lgkmcnt(0)
	s_add_u32 s0, s8, s12
	s_addc_u32 s1, s9, s13
	s_clause 0x3
	global_load_dwordx4 v[10:13], v1, s[0:1]
	global_load_dwordx4 v[14:17], v1, s[0:1] offset:16
	global_load_dwordx4 v[18:21], v1, s[0:1] offset:32
	;; [unrolled: 1-line block ×3, first 2 shown]
	v_mbcnt_lo_u32_b32 v1, -1, 0
	; wave barrier
	v_lshlrev_b32_e32 v2, 3, v1
	v_lshrrev_b32_e32 v1, 2, v0
	v_and_b32_e32 v8, 16, v2
	v_and_b32_e32 v34, 24, v2
	;; [unrolled: 1-line block ×3, first 2 shown]
	v_lshlrev_b32_e32 v5, 3, v8
	v_lshlrev_b32_e32 v3, 3, v34
	v_or_b32_e32 v36, 8, v8
	v_mad_u32_u24 v0, 0x108, v1, v5
	v_mad_u32_u24 v35, 0x108, v1, v3
	v_sub_nc_u32_e32 v2, v36, v8
	v_min_i32_e32 v2, v4, v2
	s_waitcnt vmcnt(3)
	v_cmp_gt_i64_e32 vcc_lo, v[12:13], v[10:11]
	v_cmp_lt_i64_e64 s0, v[12:13], v[10:11]
	s_waitcnt vmcnt(2)
	v_cmp_gt_i64_e64 s1, v[16:17], v[14:15]
	v_cmp_lt_i64_e64 s2, v[16:17], v[14:15]
	s_waitcnt vmcnt(1)
	v_cmp_lt_i64_e64 s3, v[20:21], v[18:19]
	v_cmp_gt_i64_e64 s4, v[20:21], v[18:19]
	s_waitcnt vmcnt(0)
	v_cmp_lt_i64_e64 s5, v[24:25], v[22:23]
	v_cndmask_b32_e32 v6, v11, v13, vcc_lo
	v_cndmask_b32_e64 v11, v11, v13, s0
	v_cndmask_b32_e64 v13, v15, v17, s1
	;; [unrolled: 1-line block ×6, first 2 shown]
	v_cndmask_b32_e32 v5, v10, v12, vcc_lo
	v_cndmask_b32_e64 v10, v10, v12, s0
	v_cndmask_b32_e64 v12, v14, v16, s1
	;; [unrolled: 1-line block ×6, first 2 shown]
	v_cmp_gt_i64_e64 s6, v[24:25], v[22:23]
	v_cmp_gt_i64_e32 vcc_lo, v[14:15], v[5:6]
	v_cmp_lt_i64_e64 s0, v[14:15], v[5:6]
	v_cmp_lt_i64_e64 s1, v[16:17], v[12:13]
	v_cmp_gt_i64_e64 s2, v[16:17], v[12:13]
	v_cmp_lt_i64_e64 s3, v[20:21], v[18:19]
	v_cmp_gt_i64_e64 s4, v[20:21], v[18:19]
	v_cndmask_b32_e64 v23, v23, v25, s6
	v_cndmask_b32_e64 v22, v22, v24, s6
	v_cndmask_b32_e32 v25, v6, v15, vcc_lo
	v_cndmask_b32_e64 v3, v5, v14, s0
	v_cndmask_b32_e64 v7, v13, v17, s1
	v_cndmask_b32_e64 v13, v13, v17, s2
	v_cndmask_b32_e64 v17, v19, v21, s3
	v_cndmask_b32_e32 v24, v5, v14, vcc_lo
	v_cndmask_b32_e64 v5, v6, v15, s0
	v_cndmask_b32_e64 v6, v12, v16, s1
	;; [unrolled: 1-line block ×6, first 2 shown]
	v_cmp_gt_i64_e32 vcc_lo, v[18:19], v[22:23]
	v_cmp_lt_i64_e64 s0, v[14:15], v[10:11]
	v_cmp_gt_i64_e64 s1, v[6:7], v[24:25]
	v_cmp_lt_i64_e64 s2, v[6:7], v[24:25]
	v_cmp_lt_i64_e64 s3, v[16:17], v[12:13]
	v_cmp_gt_i64_e64 s4, v[16:17], v[12:13]
	v_cndmask_b32_e32 v27, v21, v23, vcc_lo
	v_cndmask_b32_e64 v14, v5, v11, s0
	v_cndmask_b32_e64 v18, v25, v7, s1
	;; [unrolled: 1-line block ×6, first 2 shown]
	v_cndmask_b32_e32 v26, v28, v22, vcc_lo
	v_cndmask_b32_e64 v19, v24, v6, s2
	v_cndmask_b32_e64 v17, v24, v6, s1
	;; [unrolled: 1-line block ×6, first 2 shown]
	v_cndmask_b32_e32 v23, v23, v21, vcc_lo
	v_cndmask_b32_e32 v22, v22, v28, vcc_lo
	v_cmp_gt_i64_e32 vcc_lo, v[19:20], v[13:14]
	v_cmp_lt_i64_e64 s0, v[19:20], v[13:14]
	v_cmp_lt_i64_e64 s1, v[6:7], v[17:18]
	v_cmp_gt_i64_e64 s2, v[6:7], v[17:18]
	v_cmp_lt_i64_e64 s3, v[26:27], v[24:25]
	v_cmp_gt_i64_e64 s4, v[26:27], v[24:25]
	v_cndmask_b32_e32 v15, v14, v20, vcc_lo
	v_cndmask_b32_e64 v20, v14, v20, s0
	v_cndmask_b32_e64 v28, v18, v7, s1
	;; [unrolled: 1-line block ×5, first 2 shown]
	v_cndmask_b32_e32 v14, v13, v19, vcc_lo
	v_cndmask_b32_e64 v19, v13, v19, s0
	v_cndmask_b32_e64 v27, v17, v6, s1
	;; [unrolled: 1-line block ×5, first 2 shown]
	v_cmp_gt_i64_e32 vcc_lo, v[19:20], v[10:11]
	v_cmp_lt_i64_e64 s0, v[19:20], v[10:11]
	v_cmp_gt_i64_e64 s1, v[27:28], v[14:15]
	v_cmp_lt_i64_e64 s2, v[27:28], v[14:15]
	v_cmp_lt_i64_e64 s3, v[17:18], v[6:7]
	v_cmp_gt_i64_e64 s4, v[17:18], v[6:7]
	v_cmp_lt_i64_e64 s5, v[22:23], v[24:25]
	v_cmp_gt_i64_e64 s6, v[22:23], v[24:25]
	v_cndmask_b32_e32 v12, v11, v20, vcc_lo
	v_cndmask_b32_e64 v16, v11, v20, s0
	v_cndmask_b32_e64 v20, v15, v28, s1
	v_cndmask_b32_e64 v26, v15, v28, s2
	v_cndmask_b32_e64 v28, v7, v18, s3
	v_cndmask_b32_e64 v7, v7, v18, s4
	v_cndmask_b32_e64 v18, v25, v23, s5
	v_cndmask_b32_e64 v23, v25, v23, s6
	v_cndmask_b32_e32 v11, v10, v19, vcc_lo
	v_cndmask_b32_e64 v15, v10, v19, s0
	v_cndmask_b32_e64 v19, v14, v27, s1
	;; [unrolled: 1-line block ×7, first 2 shown]
	v_cmp_gt_i64_e32 vcc_lo, v[25:26], v[11:12]
	v_cmp_lt_i64_e64 s0, v[25:26], v[11:12]
	v_cmp_lt_i64_e64 s1, v[27:28], v[19:20]
	v_cmp_gt_i64_e64 s2, v[27:28], v[19:20]
	v_cmp_lt_i64_e64 s3, v[17:18], v[6:7]
	v_cmp_gt_i64_e64 s4, v[17:18], v[6:7]
	v_cndmask_b32_e32 v13, v12, v26, vcc_lo
	v_cndmask_b32_e64 v21, v12, v26, s0
	v_cndmask_b32_e64 v29, v20, v28, s1
	;; [unrolled: 1-line block ×4, first 2 shown]
	v_cndmask_b32_e32 v12, v11, v25, vcc_lo
	v_cndmask_b32_e64 v20, v11, v25, s0
	v_cndmask_b32_e64 v28, v19, v27, s1
	;; [unrolled: 1-line block ×6, first 2 shown]
	v_cmp_lt_i64_e64 s0, v[25:26], v[15:16]
	v_cmp_lt_i64_e64 s1, v[20:21], v[15:16]
	v_cmp_gt_i64_e64 s2, v[20:21], v[15:16]
	v_cmp_gt_i64_e64 s3, v[28:29], v[12:13]
	v_cmp_lt_i64_e64 s4, v[28:29], v[12:13]
	v_cmp_lt_i64_e64 s5, v[37:38], v[30:31]
	v_cmp_gt_i64_e32 vcc_lo, v[6:7], v[22:23]
	v_cmp_gt_i64_e64 s6, v[37:38], v[30:31]
	v_cndmask_b32_e64 v6, v16, v21, s1
	v_cndmask_b32_e64 v11, v16, v21, s2
	v_cndmask_b32_e64 v14, v13, v29, s3
	v_cndmask_b32_e64 v17, v13, v29, s4
	v_cndmask_b32_e64 v19, v31, v38, s5
	v_cndmask_b32_e64 v21, v21, v16, s0
	v_cndmask_b32_e64 v10, v15, v20, s2
	v_cndmask_b32_e64 v16, v12, v28, s4
	v_cndmask_b32_e64 v13, v12, v28, s3
	v_cndmask_b32_e64 v18, v30, v37, s5
	v_cndmask_b32_e64 v24, v31, v38, s6
	v_cndmask_b32_e32 v26, v5, v23, vcc_lo
	v_cndmask_b32_e32 v25, v3, v22, vcc_lo
	v_cndmask_b32_e32 v39, v23, v5, vcc_lo
	v_cndmask_b32_e64 v23, v30, v37, s6
	v_cndmask_b32_e64 v7, v20, v15, s0
	v_cndmask_b32_e32 v38, v22, v3, vcc_lo
	v_cndmask_b32_e64 v5, v15, v20, s1
	v_cmp_gt_i64_e32 vcc_lo, v[16:17], v[10:11]
	v_cmp_lt_i64_e64 s0, v[16:17], v[10:11]
	v_cmp_lt_i64_e64 s1, v[18:19], v[13:14]
	v_cmp_gt_i64_e64 s2, v[18:19], v[13:14]
	v_cmp_lt_i64_e64 s3, v[25:26], v[23:24]
	v_cmp_gt_i64_e64 s4, v[25:26], v[23:24]
	v_cndmask_b32_e32 v12, v11, v17, vcc_lo
	v_cndmask_b32_e64 v15, v21, v17, s0
	v_cndmask_b32_e64 v17, v14, v19, s1
	;; [unrolled: 1-line block ×4, first 2 shown]
	v_cndmask_b32_e32 v11, v10, v16, vcc_lo
	v_cndmask_b32_e64 v16, v13, v18, s1
	v_cndmask_b32_e64 v21, v24, v26, s3
	;; [unrolled: 1-line block ×6, first 2 shown]
	s_mov_b32 s0, exec_lo
	ds_write2_b64 v35, v[5:6], v[14:15] offset1:1
	ds_write2_b64 v35, v[11:12], v[16:17] offset0:2 offset1:3
	ds_write2_b64 v35, v[18:19], v[20:21] offset0:4 offset1:5
	;; [unrolled: 1-line block ×3, first 2 shown]
	; wave barrier
	v_cmpx_lt_i32_e32 0, v2
	s_cbranch_execz .LBB152_4
; %bb.1:
	v_lshl_add_u32 v3, v4, 3, v0
	v_mov_b32_e32 v9, 0
	.p2align	6
.LBB152_2:                              ; =>This Inner Loop Header: Depth=1
	v_sub_nc_u32_e32 v5, v2, v9
	v_lshrrev_b32_e32 v5, 1, v5
	v_add_nc_u32_e32 v7, v5, v9
	v_not_b32_e32 v5, v7
	v_lshl_add_u32 v6, v7, 3, v0
	v_lshl_add_u32 v10, v5, 3, v3
	ds_read_b64 v[5:6], v6
	ds_read_b64 v[10:11], v10 offset:64
	s_waitcnt lgkmcnt(0)
	v_cmp_lt_i64_e32 vcc_lo, v[10:11], v[5:6]
	v_add_nc_u32_e32 v5, 1, v7
	v_cndmask_b32_e32 v2, v2, v7, vcc_lo
	v_cndmask_b32_e32 v9, v5, v9, vcc_lo
	v_cmp_ge_i32_e32 vcc_lo, v9, v2
	s_or_b32 s7, vcc_lo, s7
	s_andn2_b32 exec_lo, exec_lo, s7
	s_cbranch_execnz .LBB152_2
; %bb.3:
	s_or_b32 exec_lo, exec_lo, s7
.LBB152_4:
	s_or_b32 exec_lo, exec_lo, s0
	v_mul_u32_u24_e32 v33, 0x108, v1
	v_add_nc_u32_e32 v1, v8, v4
	v_lshl_add_u32 v6, v9, 3, v0
	v_add_nc_u32_e32 v4, v36, v4
	v_add_nc_u32_e32 v37, 16, v8
	v_cmp_lt_i32_e64 s0, 7, v9
	v_sub_nc_u32_e32 v1, v1, v9
	v_sub_nc_u32_e32 v10, v4, v9
                                        ; implicit-def: $vgpr4_vgpr5
	v_lshl_add_u32 v11, v1, 3, v33
	ds_read_b64 v[0:1], v6
	ds_read_b64 v[2:3], v11 offset:64
	v_cmp_gt_i32_e64 s1, v37, v10
	s_waitcnt lgkmcnt(0)
	v_cmp_lt_i64_e32 vcc_lo, v[2:3], v[0:1]
	s_or_b32 s0, s0, vcc_lo
	s_and_b32 vcc_lo, s1, s0
	s_xor_b32 s0, vcc_lo, -1
	s_and_saveexec_b32 s1, s0
	s_xor_b32 s0, exec_lo, s1
; %bb.5:
	ds_read_b64 v[4:5], v6 offset:8
                                        ; implicit-def: $vgpr11
; %bb.6:
	s_or_saveexec_b32 s0, s0
	v_mov_b32_e32 v7, v3
	v_mov_b32_e32 v6, v2
	s_xor_b32 exec_lo, exec_lo, s0
	s_cbranch_execz .LBB152_8
; %bb.7:
	ds_read_b64 v[6:7], v11 offset:72
	s_waitcnt lgkmcnt(1)
	v_mov_b32_e32 v5, v1
	v_mov_b32_e32 v4, v0
.LBB152_8:
	s_or_b32 exec_lo, exec_lo, s0
	v_add_nc_u32_e32 v8, v9, v8
	v_add_nc_u32_e32 v11, 1, v10
	s_waitcnt lgkmcnt(0)
	v_cmp_lt_i64_e64 s0, v[6:7], v[4:5]
	v_add_nc_u32_e32 v9, 1, v8
	v_cndmask_b32_e32 v12, v10, v11, vcc_lo
	v_cndmask_b32_e32 v13, v9, v8, vcc_lo
	v_cmp_lt_i32_e64 s2, v12, v37
                                        ; implicit-def: $vgpr8_vgpr9
	v_cmp_ge_i32_e64 s1, v13, v36
	s_or_b32 s0, s1, s0
	s_and_b32 s0, s2, s0
	s_xor_b32 s1, s0, -1
	s_and_saveexec_b32 s2, s1
	s_xor_b32 s1, exec_lo, s2
; %bb.9:
	v_lshl_add_u32 v8, v13, 3, v33
	ds_read_b64 v[8:9], v8 offset:8
; %bb.10:
	s_or_saveexec_b32 s1, s1
	v_mov_b32_e32 v11, v7
	v_mov_b32_e32 v10, v6
	s_xor_b32 exec_lo, exec_lo, s1
	s_cbranch_execz .LBB152_12
; %bb.11:
	s_waitcnt lgkmcnt(0)
	v_lshl_add_u32 v8, v12, 3, v33
	ds_read_b64 v[10:11], v8 offset:8
	v_mov_b32_e32 v9, v5
	v_mov_b32_e32 v8, v4
.LBB152_12:
	s_or_b32 exec_lo, exec_lo, s1
	v_add_nc_u32_e32 v14, 1, v13
	v_add_nc_u32_e32 v15, 1, v12
	s_waitcnt lgkmcnt(0)
	v_cmp_lt_i64_e64 s1, v[10:11], v[8:9]
	v_cndmask_b32_e64 v17, v14, v13, s0
	v_cndmask_b32_e64 v16, v12, v15, s0
                                        ; implicit-def: $vgpr12_vgpr13
	v_cmp_ge_i32_e64 s2, v17, v36
	v_cmp_lt_i32_e64 s3, v16, v37
	s_or_b32 s1, s2, s1
	s_and_b32 s1, s3, s1
	s_xor_b32 s2, s1, -1
	s_and_saveexec_b32 s3, s2
	s_xor_b32 s2, exec_lo, s3
; %bb.13:
	v_lshl_add_u32 v12, v17, 3, v33
	ds_read_b64 v[12:13], v12 offset:8
; %bb.14:
	s_or_saveexec_b32 s2, s2
	v_mov_b32_e32 v15, v11
	v_mov_b32_e32 v14, v10
	s_xor_b32 exec_lo, exec_lo, s2
	s_cbranch_execz .LBB152_16
; %bb.15:
	s_waitcnt lgkmcnt(0)
	v_lshl_add_u32 v12, v16, 3, v33
	ds_read_b64 v[14:15], v12 offset:8
	v_mov_b32_e32 v13, v9
	v_mov_b32_e32 v12, v8
.LBB152_16:
	s_or_b32 exec_lo, exec_lo, s2
	v_add_nc_u32_e32 v18, 1, v17
	v_add_nc_u32_e32 v19, 1, v16
	s_waitcnt lgkmcnt(0)
	v_cmp_lt_i64_e64 s2, v[14:15], v[12:13]
	v_cndmask_b32_e64 v21, v18, v17, s1
	v_cndmask_b32_e64 v20, v16, v19, s1
                                        ; implicit-def: $vgpr16_vgpr17
	v_cmp_ge_i32_e64 s3, v21, v36
	v_cmp_lt_i32_e64 s4, v20, v37
	s_or_b32 s2, s3, s2
	s_and_b32 s2, s4, s2
	s_xor_b32 s3, s2, -1
	s_and_saveexec_b32 s4, s3
	s_xor_b32 s3, exec_lo, s4
; %bb.17:
	v_lshl_add_u32 v16, v21, 3, v33
	ds_read_b64 v[16:17], v16 offset:8
; %bb.18:
	s_or_saveexec_b32 s3, s3
	v_mov_b32_e32 v19, v15
	v_mov_b32_e32 v18, v14
	s_xor_b32 exec_lo, exec_lo, s3
	s_cbranch_execz .LBB152_20
; %bb.19:
	s_waitcnt lgkmcnt(0)
	v_lshl_add_u32 v16, v20, 3, v33
	ds_read_b64 v[18:19], v16 offset:8
	v_mov_b32_e32 v17, v13
	v_mov_b32_e32 v16, v12
.LBB152_20:
	s_or_b32 exec_lo, exec_lo, s3
	v_add_nc_u32_e32 v22, 1, v21
	v_add_nc_u32_e32 v23, 1, v20
	s_waitcnt lgkmcnt(0)
	v_cmp_lt_i64_e64 s3, v[18:19], v[16:17]
	v_cndmask_b32_e64 v25, v22, v21, s2
	v_cndmask_b32_e64 v24, v20, v23, s2
                                        ; implicit-def: $vgpr20_vgpr21
	v_cmp_ge_i32_e64 s4, v25, v36
	v_cmp_lt_i32_e64 s5, v24, v37
	s_or_b32 s3, s4, s3
	s_and_b32 s3, s5, s3
	s_xor_b32 s4, s3, -1
	s_and_saveexec_b32 s5, s4
	s_xor_b32 s4, exec_lo, s5
; %bb.21:
	v_lshl_add_u32 v20, v25, 3, v33
	ds_read_b64 v[20:21], v20 offset:8
; %bb.22:
	s_or_saveexec_b32 s4, s4
	v_mov_b32_e32 v23, v19
	v_mov_b32_e32 v22, v18
	s_xor_b32 exec_lo, exec_lo, s4
	s_cbranch_execz .LBB152_24
; %bb.23:
	s_waitcnt lgkmcnt(0)
	v_lshl_add_u32 v20, v24, 3, v33
	ds_read_b64 v[22:23], v20 offset:8
	v_mov_b32_e32 v21, v17
	v_mov_b32_e32 v20, v16
.LBB152_24:
	s_or_b32 exec_lo, exec_lo, s4
	v_add_nc_u32_e32 v26, 1, v25
	v_add_nc_u32_e32 v27, 1, v24
	s_waitcnt lgkmcnt(0)
	v_cmp_lt_i64_e64 s4, v[22:23], v[20:21]
	v_cndmask_b32_e64 v29, v26, v25, s3
	v_cndmask_b32_e64 v28, v24, v27, s3
                                        ; implicit-def: $vgpr24_vgpr25
	v_cmp_ge_i32_e64 s5, v29, v36
	v_cmp_lt_i32_e64 s6, v28, v37
	s_or_b32 s4, s5, s4
	s_and_b32 s4, s6, s4
	s_xor_b32 s5, s4, -1
	s_and_saveexec_b32 s6, s5
	s_xor_b32 s5, exec_lo, s6
; %bb.25:
	v_lshl_add_u32 v24, v29, 3, v33
	ds_read_b64 v[24:25], v24 offset:8
; %bb.26:
	s_or_saveexec_b32 s5, s5
	v_mov_b32_e32 v27, v23
	v_mov_b32_e32 v26, v22
	s_xor_b32 exec_lo, exec_lo, s5
	s_cbranch_execz .LBB152_28
; %bb.27:
	s_waitcnt lgkmcnt(0)
	v_lshl_add_u32 v24, v28, 3, v33
	ds_read_b64 v[26:27], v24 offset:8
	v_mov_b32_e32 v25, v21
	v_mov_b32_e32 v24, v20
.LBB152_28:
	s_or_b32 exec_lo, exec_lo, s5
	v_add_nc_u32_e32 v30, 1, v29
	v_add_nc_u32_e32 v31, 1, v28
	s_waitcnt lgkmcnt(0)
	v_cmp_lt_i64_e64 s5, v[26:27], v[24:25]
	v_cndmask_b32_e64 v38, v30, v29, s4
	v_cndmask_b32_e64 v39, v28, v31, s4
                                        ; implicit-def: $vgpr28_vgpr29
	v_cmp_ge_i32_e64 s6, v38, v36
	v_cmp_lt_i32_e64 s7, v39, v37
	s_or_b32 s5, s6, s5
	s_and_b32 s5, s7, s5
	s_xor_b32 s6, s5, -1
	s_and_saveexec_b32 s7, s6
	s_xor_b32 s6, exec_lo, s7
; %bb.29:
	v_lshl_add_u32 v28, v38, 3, v33
	ds_read_b64 v[28:29], v28 offset:8
; %bb.30:
	s_or_saveexec_b32 s6, s6
	v_mov_b32_e32 v31, v27
	v_mov_b32_e32 v30, v26
	s_xor_b32 exec_lo, exec_lo, s6
	s_cbranch_execz .LBB152_32
; %bb.31:
	s_waitcnt lgkmcnt(0)
	v_lshl_add_u32 v28, v39, 3, v33
	ds_read_b64 v[30:31], v28 offset:8
	v_mov_b32_e32 v29, v25
	v_mov_b32_e32 v28, v24
.LBB152_32:
	s_or_b32 exec_lo, exec_lo, s6
	v_add_nc_u32_e32 v41, 1, v38
	v_add_nc_u32_e32 v40, 1, v39
	v_cndmask_b32_e64 v25, v25, v27, s5
	v_cndmask_b32_e64 v24, v24, v26, s5
	;; [unrolled: 1-line block ×6, first 2 shown]
	s_waitcnt lgkmcnt(0)
	v_cmp_lt_i64_e64 s1, v[30:31], v[28:29]
	v_cndmask_b32_e64 v13, v13, v15, s2
	v_cndmask_b32_e64 v12, v12, v14, s2
	v_cmp_ge_i32_e64 s2, v27, v36
	v_cndmask_b32_e64 v17, v17, v19, s3
	v_cndmask_b32_e64 v16, v16, v18, s3
	v_cmp_lt_i32_e64 s3, v26, v37
	v_cndmask_b32_e64 v5, v5, v7, s0
	v_cndmask_b32_e64 v4, v4, v6, s0
	s_or_b32 s0, s2, s1
	v_cndmask_b32_e32 v3, v1, v3, vcc_lo
	v_cndmask_b32_e32 v2, v0, v2, vcc_lo
	v_sub_nc_u32_e64 v0, v34, 16 clamp
	v_min_u32_e32 v1, 16, v34
	s_and_b32 vcc_lo, s3, s0
	v_cndmask_b32_e64 v21, v21, v23, s4
	v_cndmask_b32_e64 v20, v20, v22, s4
	v_cndmask_b32_e32 v7, v29, v31, vcc_lo
	v_cndmask_b32_e32 v6, v28, v30, vcc_lo
	s_mov_b32 s0, exec_lo
	; wave barrier
	ds_write2_b64 v35, v[2:3], v[4:5] offset1:1
	ds_write2_b64 v35, v[8:9], v[12:13] offset0:2 offset1:3
	ds_write2_b64 v35, v[16:17], v[20:21] offset0:4 offset1:5
	;; [unrolled: 1-line block ×3, first 2 shown]
	; wave barrier
	v_cmpx_lt_u32_e64 v0, v1
	s_cbranch_execz .LBB152_36
; %bb.33:
	s_mov_b32 s1, 0
	.p2align	6
.LBB152_34:                             ; =>This Inner Loop Header: Depth=1
	v_sub_nc_u32_e32 v2, v1, v0
	v_lshrrev_b32_e32 v2, 1, v2
	v_add_nc_u32_e32 v6, v2, v0
	v_not_b32_e32 v2, v6
	v_lshl_add_u32 v3, v6, 3, v33
	v_lshl_add_u32 v4, v2, 3, v35
	ds_read_b64 v[2:3], v3
	ds_read_b64 v[4:5], v4 offset:128
	s_waitcnt lgkmcnt(0)
	v_cmp_lt_i64_e32 vcc_lo, v[4:5], v[2:3]
	v_add_nc_u32_e32 v2, 1, v6
	v_cndmask_b32_e32 v1, v1, v6, vcc_lo
	v_cndmask_b32_e32 v0, v2, v0, vcc_lo
	v_cmp_ge_i32_e32 vcc_lo, v0, v1
	s_or_b32 s1, vcc_lo, s1
	s_andn2_b32 exec_lo, exec_lo, s1
	s_cbranch_execnz .LBB152_34
; %bb.35:
	s_or_b32 exec_lo, exec_lo, s1
.LBB152_36:
	s_or_b32 exec_lo, exec_lo, s0
	v_sub_nc_u32_e32 v1, v34, v0
	v_lshl_add_u32 v8, v0, 3, v33
	v_cmp_lt_i32_e64 s0, 15, v0
                                        ; implicit-def: $vgpr6_vgpr7
	v_lshl_add_u32 v10, v1, 3, v33
	v_add_nc_u32_e32 v1, 16, v1
	ds_read_b64 v[2:3], v8
	ds_read_b64 v[4:5], v10 offset:128
	v_cmp_gt_i32_e64 s1, 32, v1
	s_waitcnt lgkmcnt(0)
	v_cmp_lt_i64_e32 vcc_lo, v[4:5], v[2:3]
	s_or_b32 s0, s0, vcc_lo
	s_and_b32 vcc_lo, s1, s0
	s_xor_b32 s0, vcc_lo, -1
	s_and_saveexec_b32 s1, s0
	s_xor_b32 s0, exec_lo, s1
; %bb.37:
	ds_read_b64 v[6:7], v8 offset:8
                                        ; implicit-def: $vgpr10
; %bb.38:
	s_or_saveexec_b32 s0, s0
	v_mov_b32_e32 v9, v5
	v_mov_b32_e32 v8, v4
	s_xor_b32 exec_lo, exec_lo, s0
	s_cbranch_execz .LBB152_40
; %bb.39:
	ds_read_b64 v[8:9], v10 offset:136
	s_waitcnt lgkmcnt(1)
	v_mov_b32_e32 v7, v3
	v_mov_b32_e32 v6, v2
.LBB152_40:
	s_or_b32 exec_lo, exec_lo, s0
	v_add_nc_u32_e32 v10, 1, v0
	v_add_nc_u32_e32 v11, 1, v1
	s_waitcnt lgkmcnt(0)
	v_cmp_lt_i64_e64 s0, v[8:9], v[6:7]
	v_cndmask_b32_e32 v14, v10, v0, vcc_lo
	v_cndmask_b32_e32 v0, v1, v11, vcc_lo
                                        ; implicit-def: $vgpr10_vgpr11
	v_cmp_lt_i32_e64 s1, 15, v14
	v_cmp_gt_i32_e64 s2, 32, v0
	s_or_b32 s0, s1, s0
	s_and_b32 s0, s2, s0
	s_xor_b32 s1, s0, -1
	s_and_saveexec_b32 s2, s1
	s_xor_b32 s1, exec_lo, s2
; %bb.41:
	v_lshl_add_u32 v1, v14, 3, v33
	ds_read_b64 v[10:11], v1 offset:8
; %bb.42:
	s_or_saveexec_b32 s1, s1
	v_mov_b32_e32 v13, v9
	v_mov_b32_e32 v12, v8
	s_xor_b32 exec_lo, exec_lo, s1
	s_cbranch_execz .LBB152_44
; %bb.43:
	v_lshl_add_u32 v1, v0, 3, v33
	s_waitcnt lgkmcnt(0)
	v_mov_b32_e32 v11, v7
	v_mov_b32_e32 v10, v6
	ds_read_b64 v[12:13], v1 offset:8
.LBB152_44:
	s_or_b32 exec_lo, exec_lo, s1
	v_add_nc_u32_e32 v1, 1, v14
	v_add_nc_u32_e32 v15, 1, v0
	s_waitcnt lgkmcnt(0)
	v_cmp_lt_i64_e64 s1, v[12:13], v[10:11]
	v_cndmask_b32_e64 v1, v1, v14, s0
	v_cndmask_b32_e64 v0, v0, v15, s0
                                        ; implicit-def: $vgpr14_vgpr15
	v_cmp_lt_i32_e64 s2, 15, v1
	v_cmp_gt_i32_e64 s3, 32, v0
	s_or_b32 s1, s2, s1
	s_and_b32 s1, s3, s1
	s_xor_b32 s2, s1, -1
	s_and_saveexec_b32 s3, s2
	s_xor_b32 s2, exec_lo, s3
; %bb.45:
	v_lshl_add_u32 v14, v1, 3, v33
	ds_read_b64 v[14:15], v14 offset:8
; %bb.46:
	s_or_saveexec_b32 s2, s2
	v_mov_b32_e32 v17, v13
	v_mov_b32_e32 v16, v12
	s_xor_b32 exec_lo, exec_lo, s2
	s_cbranch_execz .LBB152_48
; %bb.47:
	s_waitcnt lgkmcnt(0)
	v_lshl_add_u32 v14, v0, 3, v33
	ds_read_b64 v[16:17], v14 offset:8
	v_mov_b32_e32 v15, v11
	v_mov_b32_e32 v14, v10
.LBB152_48:
	s_or_b32 exec_lo, exec_lo, s2
	v_add_nc_u32_e32 v18, 1, v1
	v_add_nc_u32_e32 v19, 1, v0
	s_waitcnt lgkmcnt(0)
	v_cmp_lt_i64_e64 s2, v[16:17], v[14:15]
	v_cndmask_b32_e64 v1, v18, v1, s1
	v_cndmask_b32_e64 v0, v0, v19, s1
                                        ; implicit-def: $vgpr18_vgpr19
	v_cmp_lt_i32_e64 s3, 15, v1
	v_cmp_gt_i32_e64 s4, 32, v0
	s_or_b32 s2, s3, s2
	s_and_b32 s2, s4, s2
	s_xor_b32 s3, s2, -1
	s_and_saveexec_b32 s4, s3
	s_xor_b32 s3, exec_lo, s4
; %bb.49:
	v_lshl_add_u32 v18, v1, 3, v33
	ds_read_b64 v[18:19], v18 offset:8
; %bb.50:
	s_or_saveexec_b32 s3, s3
	v_mov_b32_e32 v21, v17
	v_mov_b32_e32 v20, v16
	s_xor_b32 exec_lo, exec_lo, s3
	s_cbranch_execz .LBB152_52
; %bb.51:
	s_waitcnt lgkmcnt(0)
	v_lshl_add_u32 v18, v0, 3, v33
	ds_read_b64 v[20:21], v18 offset:8
	v_mov_b32_e32 v19, v15
	v_mov_b32_e32 v18, v14
.LBB152_52:
	s_or_b32 exec_lo, exec_lo, s3
	v_add_nc_u32_e32 v22, 1, v1
	v_add_nc_u32_e32 v23, 1, v0
	s_waitcnt lgkmcnt(0)
	v_cmp_lt_i64_e64 s3, v[20:21], v[18:19]
	v_cndmask_b32_e64 v1, v22, v1, s2
	v_cndmask_b32_e64 v0, v0, v23, s2
                                        ; implicit-def: $vgpr22_vgpr23
	v_cmp_lt_i32_e64 s4, 15, v1
	v_cmp_gt_i32_e64 s5, 32, v0
	s_or_b32 s3, s4, s3
	s_and_b32 s3, s5, s3
	s_xor_b32 s4, s3, -1
	s_and_saveexec_b32 s5, s4
	s_xor_b32 s4, exec_lo, s5
; %bb.53:
	v_lshl_add_u32 v22, v1, 3, v33
	ds_read_b64 v[22:23], v22 offset:8
; %bb.54:
	s_or_saveexec_b32 s4, s4
	v_mov_b32_e32 v25, v21
	v_mov_b32_e32 v24, v20
	s_xor_b32 exec_lo, exec_lo, s4
	s_cbranch_execz .LBB152_56
; %bb.55:
	s_waitcnt lgkmcnt(0)
	v_lshl_add_u32 v22, v0, 3, v33
	ds_read_b64 v[24:25], v22 offset:8
	v_mov_b32_e32 v23, v19
	v_mov_b32_e32 v22, v18
.LBB152_56:
	s_or_b32 exec_lo, exec_lo, s4
	v_add_nc_u32_e32 v26, 1, v1
	v_add_nc_u32_e32 v27, 1, v0
	s_waitcnt lgkmcnt(0)
	v_cmp_lt_i64_e64 s4, v[24:25], v[22:23]
                                        ; implicit-def: $vgpr28_vgpr29
	v_cndmask_b32_e64 v1, v26, v1, s3
	v_cndmask_b32_e64 v0, v0, v27, s3
	v_cmp_lt_i32_e64 s5, 15, v1
	v_cmp_gt_i32_e64 s6, 32, v0
	s_or_b32 s4, s5, s4
	s_and_b32 s4, s6, s4
	s_xor_b32 s5, s4, -1
	s_and_saveexec_b32 s6, s5
	s_xor_b32 s5, exec_lo, s6
; %bb.57:
	v_lshl_add_u32 v26, v1, 3, v33
	ds_read_b64 v[28:29], v26 offset:8
; %bb.58:
	s_or_saveexec_b32 s5, s5
	v_mov_b32_e32 v27, v25
	v_mov_b32_e32 v26, v24
	s_xor_b32 exec_lo, exec_lo, s5
	s_cbranch_execz .LBB152_60
; %bb.59:
	v_lshl_add_u32 v26, v0, 3, v33
	s_waitcnt lgkmcnt(0)
	v_mov_b32_e32 v29, v23
	v_mov_b32_e32 v28, v22
	ds_read_b64 v[26:27], v26 offset:8
.LBB152_60:
	s_or_b32 exec_lo, exec_lo, s5
	v_add_nc_u32_e32 v30, 1, v1
	v_add_nc_u32_e32 v31, 1, v0
	s_waitcnt lgkmcnt(0)
	v_cmp_ge_i64_e64 s5, v[26:27], v[28:29]
                                        ; implicit-def: $vgpr35
	v_cndmask_b32_e64 v36, v30, v1, s4
	v_cndmask_b32_e64 v34, v0, v31, s4
                                        ; implicit-def: $vgpr30_vgpr31
	v_cmp_gt_i32_e64 s6, 16, v36
	v_cmp_lt_i32_e64 s7, 31, v34
	s_and_b32 s5, s6, s5
	s_or_b32 s5, s7, s5
	s_and_saveexec_b32 s6, s5
	s_xor_b32 s5, exec_lo, s6
; %bb.61:
	v_lshl_add_u32 v0, v36, 3, v33
	v_add_nc_u32_e32 v35, 1, v36
                                        ; implicit-def: $vgpr33
                                        ; implicit-def: $vgpr36
	ds_read_b64 v[30:31], v0 offset:8
; %bb.62:
	s_or_saveexec_b32 s5, s5
	v_mov_b32_e32 v0, v28
	v_mov_b32_e32 v1, v29
	s_xor_b32 exec_lo, exec_lo, s5
	s_cbranch_execz .LBB152_64
; %bb.63:
	v_lshl_add_u32 v0, v34, 3, v33
	s_waitcnt lgkmcnt(0)
	v_mov_b32_e32 v31, v29
	v_add_nc_u32_e32 v34, 1, v34
	v_mov_b32_e32 v35, v36
	v_mov_b32_e32 v30, v28
	ds_read_b64 v[37:38], v0 offset:8
	v_mov_b32_e32 v0, v26
	v_mov_b32_e32 v1, v27
	s_waitcnt lgkmcnt(0)
	v_mov_b32_e32 v26, v37
	v_mov_b32_e32 v27, v38
.LBB152_64:
	s_or_b32 exec_lo, exec_lo, s5
	v_cndmask_b32_e64 v13, v11, v13, s1
	v_cndmask_b32_e64 v12, v10, v12, s1
	s_waitcnt lgkmcnt(0)
	v_cmp_lt_i64_e64 s1, v[26:27], v[30:31]
	v_cndmask_b32_e64 v15, v15, v17, s2
	v_cndmask_b32_e64 v14, v14, v16, s2
	v_cmp_lt_i32_e64 s2, 15, v35
	v_cndmask_b32_e64 v21, v19, v21, s3
	v_cndmask_b32_e64 v20, v18, v20, s3
	v_cmp_gt_i32_e64 s3, 32, v34
	v_cndmask_b32_e64 v7, v7, v9, s0
	v_cndmask_b32_e64 v6, v6, v8, s0
	s_or_b32 s0, s2, s1
	v_cndmask_b32_e32 v5, v3, v5, vcc_lo
	v_cndmask_b32_e32 v4, v2, v4, vcc_lo
	v_lshlrev_b32_e32 v8, 3, v32
	s_and_b32 vcc_lo, s3, s0
	v_cndmask_b32_e64 v23, v23, v25, s4
	v_cndmask_b32_e64 v22, v22, v24, s4
	s_add_u32 s0, s10, s12
	v_cndmask_b32_e32 v3, v31, v27, vcc_lo
	v_cndmask_b32_e32 v2, v30, v26, vcc_lo
	s_addc_u32 s1, s11, s13
	global_store_dwordx4 v8, v[4:7], s[0:1]
	global_store_dwordx4 v8, v[12:15], s[0:1] offset:16
	global_store_dwordx4 v8, v[20:23], s[0:1] offset:32
	;; [unrolled: 1-line block ×3, first 2 shown]
	s_endpgm
	.section	.rodata,"a",@progbits
	.p2align	6, 0x0
	.amdhsa_kernel _Z9sort_keysILj256ELj4ELj8ExN10test_utils4lessEEvPKT2_PS2_T3_
		.amdhsa_group_segment_fixed_size 16896
		.amdhsa_private_segment_fixed_size 0
		.amdhsa_kernarg_size 20
		.amdhsa_user_sgpr_count 6
		.amdhsa_user_sgpr_private_segment_buffer 1
		.amdhsa_user_sgpr_dispatch_ptr 0
		.amdhsa_user_sgpr_queue_ptr 0
		.amdhsa_user_sgpr_kernarg_segment_ptr 1
		.amdhsa_user_sgpr_dispatch_id 0
		.amdhsa_user_sgpr_flat_scratch_init 0
		.amdhsa_user_sgpr_private_segment_size 0
		.amdhsa_wavefront_size32 1
		.amdhsa_uses_dynamic_stack 0
		.amdhsa_system_sgpr_private_segment_wavefront_offset 0
		.amdhsa_system_sgpr_workgroup_id_x 1
		.amdhsa_system_sgpr_workgroup_id_y 0
		.amdhsa_system_sgpr_workgroup_id_z 0
		.amdhsa_system_sgpr_workgroup_info 0
		.amdhsa_system_vgpr_workitem_id 0
		.amdhsa_next_free_vgpr 42
		.amdhsa_next_free_sgpr 14
		.amdhsa_reserve_vcc 1
		.amdhsa_reserve_flat_scratch 0
		.amdhsa_float_round_mode_32 0
		.amdhsa_float_round_mode_16_64 0
		.amdhsa_float_denorm_mode_32 3
		.amdhsa_float_denorm_mode_16_64 3
		.amdhsa_dx10_clamp 1
		.amdhsa_ieee_mode 1
		.amdhsa_fp16_overflow 0
		.amdhsa_workgroup_processor_mode 1
		.amdhsa_memory_ordered 1
		.amdhsa_forward_progress 1
		.amdhsa_shared_vgpr_count 0
		.amdhsa_exception_fp_ieee_invalid_op 0
		.amdhsa_exception_fp_denorm_src 0
		.amdhsa_exception_fp_ieee_div_zero 0
		.amdhsa_exception_fp_ieee_overflow 0
		.amdhsa_exception_fp_ieee_underflow 0
		.amdhsa_exception_fp_ieee_inexact 0
		.amdhsa_exception_int_div_zero 0
	.end_amdhsa_kernel
	.section	.text._Z9sort_keysILj256ELj4ELj8ExN10test_utils4lessEEvPKT2_PS2_T3_,"axG",@progbits,_Z9sort_keysILj256ELj4ELj8ExN10test_utils4lessEEvPKT2_PS2_T3_,comdat
.Lfunc_end152:
	.size	_Z9sort_keysILj256ELj4ELj8ExN10test_utils4lessEEvPKT2_PS2_T3_, .Lfunc_end152-_Z9sort_keysILj256ELj4ELj8ExN10test_utils4lessEEvPKT2_PS2_T3_
                                        ; -- End function
	.set _Z9sort_keysILj256ELj4ELj8ExN10test_utils4lessEEvPKT2_PS2_T3_.num_vgpr, 42
	.set _Z9sort_keysILj256ELj4ELj8ExN10test_utils4lessEEvPKT2_PS2_T3_.num_agpr, 0
	.set _Z9sort_keysILj256ELj4ELj8ExN10test_utils4lessEEvPKT2_PS2_T3_.numbered_sgpr, 14
	.set _Z9sort_keysILj256ELj4ELj8ExN10test_utils4lessEEvPKT2_PS2_T3_.num_named_barrier, 0
	.set _Z9sort_keysILj256ELj4ELj8ExN10test_utils4lessEEvPKT2_PS2_T3_.private_seg_size, 0
	.set _Z9sort_keysILj256ELj4ELj8ExN10test_utils4lessEEvPKT2_PS2_T3_.uses_vcc, 1
	.set _Z9sort_keysILj256ELj4ELj8ExN10test_utils4lessEEvPKT2_PS2_T3_.uses_flat_scratch, 0
	.set _Z9sort_keysILj256ELj4ELj8ExN10test_utils4lessEEvPKT2_PS2_T3_.has_dyn_sized_stack, 0
	.set _Z9sort_keysILj256ELj4ELj8ExN10test_utils4lessEEvPKT2_PS2_T3_.has_recursion, 0
	.set _Z9sort_keysILj256ELj4ELj8ExN10test_utils4lessEEvPKT2_PS2_T3_.has_indirect_call, 0
	.section	.AMDGPU.csdata,"",@progbits
; Kernel info:
; codeLenInByte = 4084
; TotalNumSgprs: 16
; NumVgprs: 42
; ScratchSize: 0
; MemoryBound: 0
; FloatMode: 240
; IeeeMode: 1
; LDSByteSize: 16896 bytes/workgroup (compile time only)
; SGPRBlocks: 0
; VGPRBlocks: 5
; NumSGPRsForWavesPerEU: 16
; NumVGPRsForWavesPerEU: 42
; Occupancy: 14
; WaveLimiterHint : 0
; COMPUTE_PGM_RSRC2:SCRATCH_EN: 0
; COMPUTE_PGM_RSRC2:USER_SGPR: 6
; COMPUTE_PGM_RSRC2:TRAP_HANDLER: 0
; COMPUTE_PGM_RSRC2:TGID_X_EN: 1
; COMPUTE_PGM_RSRC2:TGID_Y_EN: 0
; COMPUTE_PGM_RSRC2:TGID_Z_EN: 0
; COMPUTE_PGM_RSRC2:TIDIG_COMP_CNT: 0
	.section	.text._Z10sort_pairsILj256ELj4ELj8ExN10test_utils4lessEEvPKT2_PS2_T3_,"axG",@progbits,_Z10sort_pairsILj256ELj4ELj8ExN10test_utils4lessEEvPKT2_PS2_T3_,comdat
	.protected	_Z10sort_pairsILj256ELj4ELj8ExN10test_utils4lessEEvPKT2_PS2_T3_ ; -- Begin function _Z10sort_pairsILj256ELj4ELj8ExN10test_utils4lessEEvPKT2_PS2_T3_
	.globl	_Z10sort_pairsILj256ELj4ELj8ExN10test_utils4lessEEvPKT2_PS2_T3_
	.p2align	8
	.type	_Z10sort_pairsILj256ELj4ELj8ExN10test_utils4lessEEvPKT2_PS2_T3_,@function
_Z10sort_pairsILj256ELj4ELj8ExN10test_utils4lessEEvPKT2_PS2_T3_: ; @_Z10sort_pairsILj256ELj4ELj8ExN10test_utils4lessEEvPKT2_PS2_T3_
; %bb.0:
	s_load_dwordx4 s[8:11], s[4:5], 0x0
	s_mov_b32 s1, 0
	s_lshl_b32 s0, s6, 11
	v_lshlrev_b32_e32 v9, 6, v0
	s_lshl_b64 s[12:13], s[0:1], 3
	s_waitcnt lgkmcnt(0)
	s_add_u32 s0, s8, s12
	s_addc_u32 s1, s9, s13
	s_clause 0x3
	global_load_dwordx4 v[1:4], v9, s[0:1]
	global_load_dwordx4 v[13:16], v9, s[0:1] offset:16
	global_load_dwordx4 v[5:8], v9, s[0:1] offset:48
	;; [unrolled: 1-line block ×3, first 2 shown]
	s_mov_b32 s0, exec_lo
	s_waitcnt vmcnt(3)
	v_add_co_u32 v23, vcc_lo, v3, 1
	v_add_co_ci_u32_e64 v24, null, 0, v4, vcc_lo
	v_add_co_u32 v17, vcc_lo, v1, 1
	v_mov_b32_e32 v20, v4
	v_mov_b32_e32 v21, v23
	v_add_co_ci_u32_e64 v18, null, 0, v2, vcc_lo
	v_mov_b32_e32 v19, v3
	v_mov_b32_e32 v22, v24
	v_cmpx_lt_i64_e64 v[3:4], v[1:2]
	s_cbranch_execz .LBB153_2
; %bb.1:
	v_mov_b32_e32 v20, v2
	v_mov_b32_e32 v22, v18
	;; [unrolled: 1-line block ×8, first 2 shown]
.LBB153_2:
	s_or_b32 exec_lo, exec_lo, s0
	s_waitcnt vmcnt(2)
	v_add_co_u32 v25, vcc_lo, v15, 1
	v_add_co_ci_u32_e64 v26, null, 0, v16, vcc_lo
	v_add_co_u32 v31, vcc_lo, v13, 1
	v_mov_b32_e32 v3, v15
	v_mov_b32_e32 v23, v25
	v_add_co_ci_u32_e64 v32, null, 0, v14, vcc_lo
	v_mov_b32_e32 v4, v16
	v_mov_b32_e32 v24, v26
	s_mov_b32 s0, exec_lo
	v_cmpx_lt_i64_e64 v[15:16], v[13:14]
	s_cbranch_execz .LBB153_4
; %bb.3:
	v_mov_b32_e32 v3, v13
	v_mov_b32_e32 v23, v31
	;; [unrolled: 1-line block ×8, first 2 shown]
.LBB153_4:
	s_or_b32 exec_lo, exec_lo, s0
	s_waitcnt vmcnt(0)
	v_add_co_u32 v27, vcc_lo, v11, 1
	v_add_co_ci_u32_e64 v28, null, 0, v12, vcc_lo
	v_add_co_u32 v35, vcc_lo, v9, 1
	v_mov_b32_e32 v16, v12
	v_mov_b32_e32 v25, v27
	v_add_co_ci_u32_e64 v36, null, 0, v10, vcc_lo
	v_mov_b32_e32 v15, v11
	v_mov_b32_e32 v26, v28
	s_mov_b32 s0, exec_lo
	v_cmpx_lt_i64_e64 v[11:12], v[9:10]
	s_cbranch_execz .LBB153_6
; %bb.5:
	v_mov_b32_e32 v16, v10
	v_mov_b32_e32 v25, v35
	;; [unrolled: 1-line block ×8, first 2 shown]
.LBB153_6:
	s_or_b32 exec_lo, exec_lo, s0
	v_add_co_u32 v29, vcc_lo, v7, 1
	v_add_co_ci_u32_e64 v30, null, 0, v8, vcc_lo
	v_add_co_u32 v37, vcc_lo, v5, 1
	v_mov_b32_e32 v12, v8
	v_mov_b32_e32 v27, v29
	v_add_co_ci_u32_e64 v38, null, 0, v6, vcc_lo
	v_mov_b32_e32 v11, v7
	v_mov_b32_e32 v28, v30
	s_mov_b32 s0, exec_lo
	v_cmpx_lt_i64_e64 v[7:8], v[5:6]
	s_cbranch_execz .LBB153_8
; %bb.7:
	v_mov_b32_e32 v12, v6
	v_mov_b32_e32 v27, v37
	;; [unrolled: 1-line block ×8, first 2 shown]
.LBB153_8:
	s_or_b32 exec_lo, exec_lo, s0
	v_mov_b32_e32 v7, v13
	v_mov_b32_e32 v29, v31
	;; [unrolled: 1-line block ×4, first 2 shown]
	s_mov_b32 s0, exec_lo
	v_cmpx_lt_i64_e64 v[13:14], v[19:20]
	s_xor_b32 s0, exec_lo, s0
	s_cbranch_execz .LBB153_10
; %bb.9:
	v_mov_b32_e32 v7, v19
	v_mov_b32_e32 v30, v22
	v_mov_b32_e32 v8, v20
	v_mov_b32_e32 v20, v14
	v_mov_b32_e32 v29, v21
	v_mov_b32_e32 v21, v31
	v_mov_b32_e32 v19, v13
	v_mov_b32_e32 v22, v32
.LBB153_10:
	s_or_b32 exec_lo, exec_lo, s0
	v_mov_b32_e32 v14, v10
	v_mov_b32_e32 v33, v35
	v_mov_b32_e32 v13, v9
	v_mov_b32_e32 v34, v36
	s_mov_b32 s0, exec_lo
	v_cmpx_lt_i64_e64 v[9:10], v[3:4]
	s_cbranch_execz .LBB153_12
; %bb.11:
	v_mov_b32_e32 v14, v4
	v_mov_b32_e32 v34, v24
	v_mov_b32_e32 v13, v3
	v_mov_b32_e32 v3, v9
	v_mov_b32_e32 v33, v23
	v_mov_b32_e32 v23, v35
	v_mov_b32_e32 v4, v10
	v_mov_b32_e32 v24, v36
.LBB153_12:
	s_or_b32 exec_lo, exec_lo, s0
	v_mov_b32_e32 v10, v6
	v_mov_b32_e32 v35, v37
	v_mov_b32_e32 v9, v5
	v_mov_b32_e32 v36, v38
	s_mov_b32 s0, exec_lo
	v_cmpx_lt_i64_e64 v[5:6], v[15:16]
	;; [unrolled: 18-line block ×23, first 2 shown]
	s_cbranch_execz .LBB153_56
; %bb.55:
	v_mov_b32_e32 v32, v24
	v_mov_b32_e32 v16, v8
	;; [unrolled: 1-line block ×8, first 2 shown]
.LBB153_56:
	s_or_b32 exec_lo, exec_lo, s0
	v_mbcnt_lo_u32_b32 v29, -1, 0
	v_lshrrev_b32_e32 v35, 2, v0
	v_lshlrev_b32_e32 v49, 3, v0
	v_mov_b32_e32 v0, 0
	v_lshlrev_b32_e32 v30, 3, v29
	; wave barrier
	s_mov_b32 s0, exec_lo
	v_and_b32_e32 v29, 16, v30
	v_and_b32_e32 v52, 24, v30
	;; [unrolled: 1-line block ×3, first 2 shown]
	v_or_b32_e32 v53, 8, v29
	v_lshlrev_b32_e32 v36, 3, v52
	v_lshlrev_b32_e32 v38, 3, v29
	v_sub_nc_u32_e32 v37, v53, v29
	v_mad_u32_u24 v50, 0x108, v35, v36
	ds_write2_b64 v50, v[1:2], v[19:20] offset1:1
	ds_write2_b64 v50, v[33:34], v[21:22] offset0:2 offset1:3
	v_min_i32_e32 v36, v30, v37
	v_mad_u32_u24 v1, 0x108, v35, v38
	ds_write2_b64 v50, v[27:28], v[23:24] offset0:4 offset1:5
	ds_write2_b64 v50, v[31:32], v[25:26] offset0:6 offset1:7
	; wave barrier
	v_cmpx_lt_i32_e32 0, v36
	s_cbranch_execz .LBB153_60
; %bb.57:
	v_lshl_add_u32 v2, v30, 3, v1
	v_mov_b32_e32 v0, 0
	s_mov_b32 s1, 0
	.p2align	6
.LBB153_58:                             ; =>This Inner Loop Header: Depth=1
	v_sub_nc_u32_e32 v19, v36, v0
	v_lshrrev_b32_e32 v19, 1, v19
	v_add_nc_u32_e32 v23, v19, v0
	v_not_b32_e32 v19, v23
	v_lshl_add_u32 v20, v23, 3, v1
	v_lshl_add_u32 v21, v19, 3, v2
	ds_read_b64 v[19:20], v20
	ds_read_b64 v[21:22], v21 offset:64
	s_waitcnt lgkmcnt(0)
	v_cmp_lt_i64_e32 vcc_lo, v[21:22], v[19:20]
	v_add_nc_u32_e32 v19, 1, v23
	v_cndmask_b32_e32 v36, v36, v23, vcc_lo
	v_cndmask_b32_e32 v0, v19, v0, vcc_lo
	v_cmp_ge_i32_e32 vcc_lo, v0, v36
	s_or_b32 s1, vcc_lo, s1
	s_andn2_b32 exec_lo, exec_lo, s1
	s_cbranch_execnz .LBB153_58
; %bb.59:
	s_or_b32 exec_lo, exec_lo, s1
.LBB153_60:
	s_or_b32 exec_lo, exec_lo, s0
	v_add_nc_u32_e32 v2, v29, v30
	v_mul_u32_u24_e32 v51, 0x108, v35
	v_lshl_add_u32 v25, v0, 3, v1
	v_add_nc_u32_e32 v54, 16, v29
	v_cmp_lt_i32_e64 s0, 7, v0
	v_sub_nc_u32_e32 v2, v2, v0
                                        ; implicit-def: $vgpr23_vgpr24
	v_lshl_add_u32 v1, v2, 3, v51
	v_add_nc_u32_e32 v2, v53, v30
	ds_read_b64 v[19:20], v25
	ds_read_b64 v[21:22], v1 offset:64
	v_sub_nc_u32_e32 v2, v2, v0
	v_cmp_gt_i32_e64 s1, v54, v2
	s_waitcnt lgkmcnt(0)
	v_cmp_lt_i64_e32 vcc_lo, v[21:22], v[19:20]
	s_or_b32 s0, s0, vcc_lo
	s_and_b32 vcc_lo, s1, s0
	s_xor_b32 s0, vcc_lo, -1
	s_and_saveexec_b32 s1, s0
	s_xor_b32 s0, exec_lo, s1
; %bb.61:
	ds_read_b64 v[23:24], v25 offset:8
                                        ; implicit-def: $vgpr1
; %bb.62:
	s_or_saveexec_b32 s0, s0
	v_mov_b32_e32 v26, v22
	v_mov_b32_e32 v25, v21
	s_xor_b32 exec_lo, exec_lo, s0
	s_cbranch_execz .LBB153_64
; %bb.63:
	ds_read_b64 v[25:26], v1 offset:72
	s_waitcnt lgkmcnt(1)
	v_mov_b32_e32 v24, v20
	v_mov_b32_e32 v23, v19
.LBB153_64:
	s_or_b32 exec_lo, exec_lo, s0
	v_add_nc_u32_e32 v55, v0, v29
	v_add_nc_u32_e32 v1, 1, v2
	s_waitcnt lgkmcnt(0)
	v_cmp_lt_i64_e64 s0, v[25:26], v[23:24]
                                        ; implicit-def: $vgpr27_vgpr28
	v_add_nc_u32_e32 v0, 1, v55
	v_cndmask_b32_e32 v57, v2, v1, vcc_lo
	v_cndmask_b32_e32 v56, v0, v55, vcc_lo
	v_cmp_lt_i32_e64 s2, v57, v54
	v_cmp_ge_i32_e64 s1, v56, v53
	s_or_b32 s0, s1, s0
	s_and_b32 s0, s2, s0
	s_xor_b32 s1, s0, -1
	s_and_saveexec_b32 s2, s1
	s_xor_b32 s1, exec_lo, s2
; %bb.65:
	v_lshl_add_u32 v0, v56, 3, v51
	ds_read_b64 v[27:28], v0 offset:8
; %bb.66:
	s_or_saveexec_b32 s1, s1
	v_mov_b32_e32 v30, v26
	v_mov_b32_e32 v29, v25
	s_xor_b32 exec_lo, exec_lo, s1
	s_cbranch_execz .LBB153_68
; %bb.67:
	v_lshl_add_u32 v0, v57, 3, v51
	s_waitcnt lgkmcnt(0)
	v_mov_b32_e32 v28, v24
	v_mov_b32_e32 v27, v23
	ds_read_b64 v[29:30], v0 offset:8
.LBB153_68:
	s_or_b32 exec_lo, exec_lo, s1
	v_add_nc_u32_e32 v0, 1, v56
	v_add_nc_u32_e32 v1, 1, v57
	s_waitcnt lgkmcnt(0)
	v_cmp_lt_i64_e64 s1, v[29:30], v[27:28]
                                        ; implicit-def: $vgpr31_vgpr32
	v_cndmask_b32_e64 v58, v0, v56, s0
	v_cndmask_b32_e64 v59, v57, v1, s0
	v_cmp_ge_i32_e64 s2, v58, v53
	v_cmp_lt_i32_e64 s3, v59, v54
	s_or_b32 s1, s2, s1
	s_and_b32 s1, s3, s1
	s_xor_b32 s2, s1, -1
	s_and_saveexec_b32 s3, s2
	s_xor_b32 s2, exec_lo, s3
; %bb.69:
	v_lshl_add_u32 v0, v58, 3, v51
	ds_read_b64 v[31:32], v0 offset:8
; %bb.70:
	s_or_saveexec_b32 s2, s2
	v_mov_b32_e32 v34, v30
	v_mov_b32_e32 v33, v29
	s_xor_b32 exec_lo, exec_lo, s2
	s_cbranch_execz .LBB153_72
; %bb.71:
	v_lshl_add_u32 v0, v59, 3, v51
	s_waitcnt lgkmcnt(0)
	v_mov_b32_e32 v32, v28
	v_mov_b32_e32 v31, v27
	ds_read_b64 v[33:34], v0 offset:8
.LBB153_72:
	s_or_b32 exec_lo, exec_lo, s2
	v_add_nc_u32_e32 v0, 1, v58
	v_add_nc_u32_e32 v1, 1, v59
	s_waitcnt lgkmcnt(0)
	v_cmp_lt_i64_e64 s2, v[33:34], v[31:32]
	v_cndmask_b32_e64 v60, v0, v58, s1
	v_cndmask_b32_e64 v61, v59, v1, s1
                                        ; implicit-def: $vgpr0_vgpr1
	v_cmp_ge_i32_e64 s3, v60, v53
	v_cmp_lt_i32_e64 s4, v61, v54
	s_or_b32 s2, s3, s2
	s_and_b32 s2, s4, s2
	s_xor_b32 s3, s2, -1
	s_and_saveexec_b32 s4, s3
	s_xor_b32 s3, exec_lo, s4
; %bb.73:
	v_lshl_add_u32 v0, v60, 3, v51
	ds_read_b64 v[0:1], v0 offset:8
; %bb.74:
	s_or_saveexec_b32 s3, s3
	v_mov_b32_e32 v36, v34
	v_mov_b32_e32 v35, v33
	s_xor_b32 exec_lo, exec_lo, s3
	s_cbranch_execz .LBB153_76
; %bb.75:
	s_waitcnt lgkmcnt(0)
	v_lshl_add_u32 v0, v61, 3, v51
	ds_read_b64 v[35:36], v0 offset:8
	v_mov_b32_e32 v0, v31
	v_mov_b32_e32 v1, v32
.LBB153_76:
	s_or_b32 exec_lo, exec_lo, s3
	v_add_nc_u32_e32 v37, 1, v60
	v_add_nc_u32_e32 v38, 1, v61
	s_waitcnt lgkmcnt(0)
	v_cmp_lt_i64_e64 s3, v[35:36], v[0:1]
                                        ; implicit-def: $vgpr39_vgpr40
	v_cndmask_b32_e64 v62, v37, v60, s2
	v_cndmask_b32_e64 v63, v61, v38, s2
	v_cmp_ge_i32_e64 s4, v62, v53
	v_cmp_lt_i32_e64 s5, v63, v54
	s_or_b32 s3, s4, s3
	s_and_b32 s3, s5, s3
	s_xor_b32 s4, s3, -1
	s_and_saveexec_b32 s5, s4
	s_xor_b32 s4, exec_lo, s5
; %bb.77:
	v_lshl_add_u32 v37, v62, 3, v51
	ds_read_b64 v[39:40], v37 offset:8
; %bb.78:
	s_or_saveexec_b32 s4, s4
	v_mov_b32_e32 v44, v36
	v_mov_b32_e32 v43, v35
	s_xor_b32 exec_lo, exec_lo, s4
	s_cbranch_execz .LBB153_80
; %bb.79:
	v_lshl_add_u32 v37, v63, 3, v51
	s_waitcnt lgkmcnt(0)
	v_mov_b32_e32 v40, v1
	v_mov_b32_e32 v39, v0
	ds_read_b64 v[43:44], v37 offset:8
.LBB153_80:
	s_or_b32 exec_lo, exec_lo, s4
	v_add_nc_u32_e32 v37, 1, v62
	v_add_nc_u32_e32 v38, 1, v63
	s_waitcnt lgkmcnt(0)
	v_cmp_lt_i64_e64 s4, v[43:44], v[39:40]
                                        ; implicit-def: $vgpr45_vgpr46
	v_cndmask_b32_e64 v64, v37, v62, s3
	v_cndmask_b32_e64 v65, v63, v38, s3
	v_cmp_ge_i32_e64 s5, v64, v53
	v_cmp_lt_i32_e64 s6, v65, v54
	s_or_b32 s4, s5, s4
	s_and_b32 s4, s6, s4
	s_xor_b32 s5, s4, -1
	s_and_saveexec_b32 s6, s5
	s_xor_b32 s5, exec_lo, s6
; %bb.81:
	v_lshl_add_u32 v37, v64, 3, v51
	ds_read_b64 v[45:46], v37 offset:8
; %bb.82:
	s_or_saveexec_b32 s5, s5
	v_mov_b32_e32 v48, v44
	v_mov_b32_e32 v47, v43
	s_xor_b32 exec_lo, exec_lo, s5
	s_cbranch_execz .LBB153_84
; %bb.83:
	v_lshl_add_u32 v37, v65, 3, v51
	s_waitcnt lgkmcnt(0)
	v_mov_b32_e32 v46, v40
	v_mov_b32_e32 v45, v39
	ds_read_b64 v[47:48], v37 offset:8
.LBB153_84:
	s_or_b32 exec_lo, exec_lo, s5
	v_add_nc_u32_e32 v37, 1, v64
	v_add_nc_u32_e32 v38, 1, v65
	s_waitcnt lgkmcnt(0)
	v_cmp_lt_i64_e64 s5, v[47:48], v[45:46]
	v_cndmask_b32_e64 v66, v37, v64, s4
	v_cndmask_b32_e64 v67, v65, v38, s4
                                        ; implicit-def: $vgpr37_vgpr38
	v_cmp_ge_i32_e64 s6, v66, v53
	v_cmp_lt_i32_e64 s7, v67, v54
	s_or_b32 s5, s6, s5
	s_and_b32 s5, s7, s5
	s_xor_b32 s6, s5, -1
	s_and_saveexec_b32 s7, s6
	s_xor_b32 s6, exec_lo, s7
; %bb.85:
	v_lshl_add_u32 v37, v66, 3, v51
	ds_read_b64 v[37:38], v37 offset:8
; %bb.86:
	s_or_saveexec_b32 s6, s6
	v_mov_b32_e32 v41, v47
	v_mov_b32_e32 v42, v48
	s_xor_b32 exec_lo, exec_lo, s6
	s_cbranch_execz .LBB153_88
; %bb.87:
	s_waitcnt lgkmcnt(0)
	v_lshl_add_u32 v37, v67, 3, v51
	ds_read_b64 v[41:42], v37 offset:8
	v_mov_b32_e32 v37, v45
	v_mov_b32_e32 v38, v46
.LBB153_88:
	s_or_b32 exec_lo, exec_lo, s6
	v_add_nc_u32_e32 v69, 1, v66
	v_add_nc_u32_e32 v68, 1, v67
	v_cndmask_b32_e64 v46, v46, v48, s5
	v_cndmask_b32_e64 v45, v45, v47, s5
	v_cndmask_b32_e64 v36, v1, v36, s3
	v_cndmask_b32_e64 v48, v69, v66, s5
	v_cndmask_b32_e64 v47, v67, v68, s5
	v_cndmask_b32_e64 v35, v0, v35, s3
	v_cndmask_b32_e64 v0, v62, v63, s3
	s_waitcnt lgkmcnt(0)
	v_cmp_lt_i64_e64 s3, v[41:42], v[37:38]
	v_cndmask_b32_e64 v40, v40, v44, s4
	v_cndmask_b32_e64 v39, v39, v43, s4
	;; [unrolled: 1-line block ×3, first 2 shown]
	v_cmp_ge_i32_e64 s4, v48, v53
	v_cndmask_b32_e64 v66, v66, v67, s5
	v_cmp_lt_i32_e64 s5, v47, v54
	v_cndmask_b32_e32 v2, v55, v2, vcc_lo
	v_cndmask_b32_e64 v53, v56, v57, s0
	s_or_b32 s3, s4, s3
	v_cndmask_b32_e64 v44, v58, v59, s1
	v_cndmask_b32_e64 v1, v60, v61, s2
	s_and_b32 s3, s5, s3
	v_cndmask_b32_e64 v32, v32, v34, s2
	v_cndmask_b32_e64 v34, v38, v42, s3
	;; [unrolled: 1-line block ×3, first 2 shown]
	v_lshl_add_u32 v2, v2, 3, v51
	; wave barrier
	ds_write2_b64 v50, v[17:18], v[3:4] offset1:1
	ds_write2_b64 v50, v[11:12], v[5:6] offset0:2 offset1:3
	ds_write2_b64 v50, v[13:14], v[7:8] offset0:4 offset1:5
	;; [unrolled: 1-line block ×3, first 2 shown]
	v_lshl_add_u32 v3, v53, 3, v51
	v_lshl_add_u32 v4, v44, 3, v51
	;; [unrolled: 1-line block ×5, first 2 shown]
	; wave barrier
	v_lshl_add_u32 v16, v66, 3, v51
	v_lshl_add_u32 v17, v38, 3, v51
	ds_read_b64 v[12:13], v2
	ds_read_b64 v[14:15], v3
	;; [unrolled: 1-line block ×8, first 2 shown]
	v_cndmask_b32_e64 v24, v24, v26, s0
	v_cndmask_b32_e64 v23, v23, v25, s0
	v_cndmask_b32_e32 v20, v20, v22, vcc_lo
	v_cndmask_b32_e32 v19, v19, v21, vcc_lo
	v_sub_nc_u32_e64 v48, v52, 16 clamp
	v_min_u32_e32 v16, 16, v52
	v_cndmask_b32_e64 v31, v31, v33, s2
	v_cndmask_b32_e64 v18, v28, v30, s1
	;; [unrolled: 1-line block ×4, first 2 shown]
	s_mov_b32 s0, exec_lo
	; wave barrier
	ds_write2_b64 v50, v[19:20], v[23:24] offset1:1
	ds_write2_b64 v50, v[17:18], v[31:32] offset0:2 offset1:3
	ds_write2_b64 v50, v[35:36], v[39:40] offset0:4 offset1:5
	;; [unrolled: 1-line block ×3, first 2 shown]
	; wave barrier
	v_cmpx_lt_u32_e64 v48, v16
	s_cbranch_execz .LBB153_92
; %bb.89:
	s_mov_b32 s1, 0
	.p2align	6
.LBB153_90:                             ; =>This Inner Loop Header: Depth=1
	v_sub_nc_u32_e32 v17, v16, v48
	v_lshrrev_b32_e32 v17, 1, v17
	v_add_nc_u32_e32 v21, v17, v48
	v_not_b32_e32 v17, v21
	v_lshl_add_u32 v18, v21, 3, v51
	v_lshl_add_u32 v19, v17, 3, v50
	ds_read_b64 v[17:18], v18
	ds_read_b64 v[19:20], v19 offset:128
	s_waitcnt lgkmcnt(0)
	v_cmp_lt_i64_e32 vcc_lo, v[19:20], v[17:18]
	v_add_nc_u32_e32 v17, 1, v21
	v_cndmask_b32_e32 v16, v16, v21, vcc_lo
	v_cndmask_b32_e32 v48, v17, v48, vcc_lo
	v_cmp_ge_i32_e32 vcc_lo, v48, v16
	s_or_b32 s1, vcc_lo, s1
	s_andn2_b32 exec_lo, exec_lo, s1
	s_cbranch_execnz .LBB153_90
; %bb.91:
	s_or_b32 exec_lo, exec_lo, s1
.LBB153_92:
	s_or_b32 exec_lo, exec_lo, s0
	v_sub_nc_u32_e32 v20, v52, v48
	v_lshl_add_u32 v22, v48, 3, v51
	v_cmp_lt_i32_e64 s0, 15, v48
	v_lshl_add_u32 v24, v20, 3, v51
	v_add_nc_u32_e32 v52, 16, v20
                                        ; implicit-def: $vgpr20_vgpr21
	ds_read_b64 v[16:17], v22
	ds_read_b64 v[18:19], v24 offset:128
	v_cmp_gt_i32_e64 s1, 32, v52
	s_waitcnt lgkmcnt(0)
	v_cmp_lt_i64_e32 vcc_lo, v[18:19], v[16:17]
	s_or_b32 s0, s0, vcc_lo
	s_and_b32 vcc_lo, s1, s0
	s_xor_b32 s0, vcc_lo, -1
	s_and_saveexec_b32 s1, s0
	s_xor_b32 s0, exec_lo, s1
; %bb.93:
	ds_read_b64 v[20:21], v22 offset:8
                                        ; implicit-def: $vgpr24
; %bb.94:
	s_or_saveexec_b32 s0, s0
	v_mov_b32_e32 v23, v19
	v_mov_b32_e32 v22, v18
	s_xor_b32 exec_lo, exec_lo, s0
	s_cbranch_execz .LBB153_96
; %bb.95:
	ds_read_b64 v[22:23], v24 offset:136
	s_waitcnt lgkmcnt(1)
	v_mov_b32_e32 v21, v17
	v_mov_b32_e32 v20, v16
.LBB153_96:
	s_or_b32 exec_lo, exec_lo, s0
	v_add_nc_u32_e32 v24, 1, v48
	v_add_nc_u32_e32 v25, 1, v52
	s_waitcnt lgkmcnt(0)
	v_cmp_lt_i64_e64 s0, v[22:23], v[20:21]
	v_cndmask_b32_e32 v53, v24, v48, vcc_lo
	v_cndmask_b32_e32 v54, v52, v25, vcc_lo
                                        ; implicit-def: $vgpr24_vgpr25
	v_cmp_lt_i32_e64 s1, 15, v53
	v_cmp_gt_i32_e64 s2, 32, v54
	s_or_b32 s0, s1, s0
	s_and_b32 s0, s2, s0
	s_xor_b32 s1, s0, -1
	s_and_saveexec_b32 s2, s1
	s_xor_b32 s1, exec_lo, s2
; %bb.97:
	v_lshl_add_u32 v24, v53, 3, v51
	ds_read_b64 v[24:25], v24 offset:8
; %bb.98:
	s_or_saveexec_b32 s1, s1
	v_mov_b32_e32 v27, v23
	v_mov_b32_e32 v26, v22
	s_xor_b32 exec_lo, exec_lo, s1
	s_cbranch_execz .LBB153_100
; %bb.99:
	s_waitcnt lgkmcnt(0)
	v_lshl_add_u32 v24, v54, 3, v51
	ds_read_b64 v[26:27], v24 offset:8
	v_mov_b32_e32 v25, v21
	v_mov_b32_e32 v24, v20
.LBB153_100:
	s_or_b32 exec_lo, exec_lo, s1
	v_add_nc_u32_e32 v28, 1, v53
	v_add_nc_u32_e32 v29, 1, v54
	s_waitcnt lgkmcnt(0)
	v_cmp_lt_i64_e64 s1, v[26:27], v[24:25]
	v_cndmask_b32_e64 v55, v28, v53, s0
	v_cndmask_b32_e64 v56, v54, v29, s0
                                        ; implicit-def: $vgpr28_vgpr29
	v_cmp_lt_i32_e64 s2, 15, v55
	v_cmp_gt_i32_e64 s3, 32, v56
	s_or_b32 s1, s2, s1
	s_and_b32 s1, s3, s1
	s_xor_b32 s2, s1, -1
	s_and_saveexec_b32 s3, s2
	s_xor_b32 s2, exec_lo, s3
; %bb.101:
	v_lshl_add_u32 v28, v55, 3, v51
	ds_read_b64 v[28:29], v28 offset:8
; %bb.102:
	s_or_saveexec_b32 s2, s2
	v_mov_b32_e32 v31, v27
	v_mov_b32_e32 v30, v26
	s_xor_b32 exec_lo, exec_lo, s2
	s_cbranch_execz .LBB153_104
; %bb.103:
	s_waitcnt lgkmcnt(0)
	v_lshl_add_u32 v28, v56, 3, v51
	ds_read_b64 v[30:31], v28 offset:8
	v_mov_b32_e32 v29, v25
	v_mov_b32_e32 v28, v24
.LBB153_104:
	s_or_b32 exec_lo, exec_lo, s2
	v_add_nc_u32_e32 v32, 1, v55
	v_add_nc_u32_e32 v33, 1, v56
	s_waitcnt lgkmcnt(0)
	v_cmp_lt_i64_e64 s2, v[30:31], v[28:29]
	v_cndmask_b32_e64 v57, v32, v55, s1
	v_cndmask_b32_e64 v58, v56, v33, s1
                                        ; implicit-def: $vgpr32_vgpr33
	v_cmp_lt_i32_e64 s3, 15, v57
	v_cmp_gt_i32_e64 s4, 32, v58
	s_or_b32 s2, s3, s2
	s_and_b32 s2, s4, s2
	s_xor_b32 s3, s2, -1
	s_and_saveexec_b32 s4, s3
	s_xor_b32 s3, exec_lo, s4
; %bb.105:
	v_lshl_add_u32 v32, v57, 3, v51
	ds_read_b64 v[32:33], v32 offset:8
; %bb.106:
	s_or_saveexec_b32 s3, s3
	v_mov_b32_e32 v35, v31
	v_mov_b32_e32 v34, v30
	s_xor_b32 exec_lo, exec_lo, s3
	s_cbranch_execz .LBB153_108
; %bb.107:
	s_waitcnt lgkmcnt(0)
	v_lshl_add_u32 v32, v58, 3, v51
	ds_read_b64 v[34:35], v32 offset:8
	v_mov_b32_e32 v33, v29
	v_mov_b32_e32 v32, v28
.LBB153_108:
	s_or_b32 exec_lo, exec_lo, s3
	v_add_nc_u32_e32 v36, 1, v57
	v_add_nc_u32_e32 v37, 1, v58
	s_waitcnt lgkmcnt(0)
	v_cmp_lt_i64_e64 s3, v[34:35], v[32:33]
                                        ; implicit-def: $vgpr38_vgpr39
	v_cndmask_b32_e64 v59, v36, v57, s2
	v_cndmask_b32_e64 v60, v58, v37, s2
	v_cmp_lt_i32_e64 s4, 15, v59
	v_cmp_gt_i32_e64 s5, 32, v60
	s_or_b32 s3, s4, s3
	s_and_b32 s3, s5, s3
	s_xor_b32 s4, s3, -1
	s_and_saveexec_b32 s5, s4
	s_xor_b32 s4, exec_lo, s5
; %bb.109:
	v_lshl_add_u32 v36, v59, 3, v51
	ds_read_b64 v[38:39], v36 offset:8
; %bb.110:
	s_or_saveexec_b32 s4, s4
	v_mov_b32_e32 v43, v35
	v_mov_b32_e32 v42, v34
	s_xor_b32 exec_lo, exec_lo, s4
	s_cbranch_execz .LBB153_112
; %bb.111:
	v_lshl_add_u32 v36, v60, 3, v51
	s_waitcnt lgkmcnt(0)
	v_mov_b32_e32 v39, v33
	v_mov_b32_e32 v38, v32
	ds_read_b64 v[42:43], v36 offset:8
.LBB153_112:
	s_or_b32 exec_lo, exec_lo, s4
	v_add_nc_u32_e32 v36, 1, v59
	v_add_nc_u32_e32 v37, 1, v60
	s_waitcnt lgkmcnt(0)
	v_cmp_lt_i64_e64 s4, v[42:43], v[38:39]
                                        ; implicit-def: $vgpr46_vgpr47
	v_cndmask_b32_e64 v62, v36, v59, s3
	v_cndmask_b32_e64 v63, v60, v37, s3
	v_cmp_lt_i32_e64 s5, 15, v62
	v_cmp_gt_i32_e64 s6, 32, v63
	s_or_b32 s4, s5, s4
	s_and_b32 s4, s6, s4
	s_xor_b32 s5, s4, -1
	s_and_saveexec_b32 s6, s5
	s_xor_b32 s5, exec_lo, s6
; %bb.113:
	v_lshl_add_u32 v36, v62, 3, v51
	ds_read_b64 v[46:47], v36 offset:8
; %bb.114:
	s_or_saveexec_b32 s5, s5
	v_mov_b32_e32 v36, v42
	v_mov_b32_e32 v37, v43
	s_xor_b32 exec_lo, exec_lo, s5
	s_cbranch_execz .LBB153_116
; %bb.115:
	v_lshl_add_u32 v36, v63, 3, v51
	s_waitcnt lgkmcnt(0)
	v_mov_b32_e32 v47, v39
	v_mov_b32_e32 v46, v38
	ds_read_b64 v[36:37], v36 offset:8
.LBB153_116:
	s_or_b32 exec_lo, exec_lo, s5
	v_add_nc_u32_e32 v40, 1, v62
	v_add_nc_u32_e32 v41, 1, v63
	s_waitcnt lgkmcnt(0)
	v_cmp_ge_i64_e64 s5, v[36:37], v[46:47]
                                        ; implicit-def: $vgpr44_vgpr45
                                        ; implicit-def: $vgpr64
	v_cndmask_b32_e64 v66, v40, v62, s4
	v_cndmask_b32_e64 v61, v63, v41, s4
	v_cmp_gt_i32_e64 s6, 16, v66
	v_cmp_lt_i32_e64 s7, 31, v61
	s_and_b32 s5, s6, s5
	s_or_b32 s5, s7, s5
	s_and_saveexec_b32 s6, s5
	s_xor_b32 s5, exec_lo, s6
; %bb.117:
	v_lshl_add_u32 v40, v66, 3, v51
	v_add_nc_u32_e32 v64, 1, v66
	ds_read_b64 v[44:45], v40 offset:8
; %bb.118:
	s_or_saveexec_b32 s5, s5
	v_mov_b32_e32 v40, v46
	v_mov_b32_e32 v41, v47
	;; [unrolled: 1-line block ×3, first 2 shown]
	s_xor_b32 exec_lo, exec_lo, s5
	s_cbranch_execz .LBB153_120
; %bb.119:
	v_lshl_add_u32 v40, v61, 3, v51
	s_waitcnt lgkmcnt(0)
	v_add_nc_u32_e32 v44, 1, v61
	v_mov_b32_e32 v65, v61
	v_mov_b32_e32 v64, v66
	ds_read_b64 v[67:68], v40 offset:8
	v_mov_b32_e32 v41, v37
	v_mov_b32_e32 v40, v36
	;; [unrolled: 1-line block ×5, first 2 shown]
	s_waitcnt lgkmcnt(0)
	v_mov_b32_e32 v36, v67
	v_mov_b32_e32 v37, v68
.LBB153_120:
	s_or_b32 exec_lo, exec_lo, s5
	v_cndmask_b32_e64 v25, v25, v27, s1
	v_cndmask_b32_e64 v24, v24, v26, s1
	;; [unrolled: 1-line block ×3, first 2 shown]
	v_cndmask_b32_e32 v27, v48, v52, vcc_lo
	v_cndmask_b32_e64 v21, v21, v23, s0
	v_cndmask_b32_e64 v23, v55, v56, s1
	s_waitcnt lgkmcnt(0)
	v_cmp_lt_i64_e64 s1, v[36:37], v[44:45]
	v_cndmask_b32_e64 v20, v20, v22, s0
	v_cmp_lt_i32_e64 s0, 15, v64
	; wave barrier
	ds_write2_b64 v50, v[12:13], v[14:15] offset1:1
	ds_write2_b64 v50, v[8:9], v[10:11] offset0:2 offset1:3
	ds_write2_b64 v50, v[4:5], v[6:7] offset0:4 offset1:5
	v_lshl_add_u32 v4, v27, 3, v51
	ds_write2_b64 v50, v[0:1], v[2:3] offset0:6 offset1:7
	v_lshl_add_u32 v2, v26, 3, v51
	v_cndmask_b32_e64 v22, v57, v58, s2
	v_cndmask_b32_e32 v17, v17, v19, vcc_lo
	v_cndmask_b32_e32 v16, v16, v18, vcc_lo
	v_cmp_gt_i32_e32 vcc_lo, 32, v61
	; wave barrier
	ds_read_b64 v[0:1], v4
	ds_read_b64 v[2:3], v2
	s_or_b32 s0, s0, s1
	v_lshl_add_u32 v4, v23, 3, v51
	v_cndmask_b32_e64 v19, v59, v60, s3
	v_lshl_add_u32 v6, v22, 3, v51
	v_cndmask_b32_e64 v18, v62, v63, s4
	s_and_b32 vcc_lo, vcc_lo, s0
	ds_read_b64 v[4:5], v4
	ds_read_b64 v[6:7], v6
	v_cndmask_b32_e32 v8, v64, v61, vcc_lo
	v_lshl_add_u32 v9, v19, 3, v51
	v_lshl_add_u32 v10, v18, 3, v51
	;; [unrolled: 1-line block ×3, first 2 shown]
	v_cndmask_b32_e32 v22, v45, v37, vcc_lo
	v_lshl_add_u32 v14, v8, 3, v51
	ds_read_b64 v[8:9], v9
	ds_read_b64 v[10:11], v10
	;; [unrolled: 1-line block ×4, first 2 shown]
	v_cndmask_b32_e32 v18, v44, v36, vcc_lo
	v_cndmask_b32_e64 v28, v28, v30, s2
	s_waitcnt lgkmcnt(7)
	v_add_co_u32 v0, vcc_lo, v0, v16
	v_add_co_ci_u32_e64 v1, null, v1, v17, vcc_lo
	s_waitcnt lgkmcnt(6)
	v_add_co_u32 v2, vcc_lo, v2, v20
	v_cndmask_b32_e64 v32, v32, v34, s3
	v_cndmask_b32_e64 v29, v29, v31, s2
	v_add_co_ci_u32_e64 v3, null, v3, v21, vcc_lo
	s_waitcnt lgkmcnt(5)
	v_add_co_u32 v4, vcc_lo, v4, v24
	v_cndmask_b32_e64 v38, v38, v42, s4
	v_cndmask_b32_e64 v33, v33, v35, s3
	v_add_co_ci_u32_e64 v5, null, v5, v25, vcc_lo
	s_waitcnt lgkmcnt(4)
	v_add_co_u32 v6, vcc_lo, v6, v28
	v_cndmask_b32_e64 v39, v39, v43, s4
	v_add_co_ci_u32_e64 v7, null, v7, v29, vcc_lo
	s_waitcnt lgkmcnt(3)
	v_add_co_u32 v8, vcc_lo, v8, v32
	v_add_co_ci_u32_e64 v9, null, v9, v33, vcc_lo
	s_waitcnt lgkmcnt(2)
	v_add_co_u32 v10, vcc_lo, v10, v38
	;; [unrolled: 3-line block ×3, first 2 shown]
	v_lshlrev_b32_e32 v16, 3, v49
	v_add_co_ci_u32_e64 v13, null, v13, v41, vcc_lo
	s_waitcnt lgkmcnt(0)
	v_add_co_u32 v14, vcc_lo, v14, v18
	s_add_u32 s0, s10, s12
	v_add_co_ci_u32_e64 v15, null, v15, v22, vcc_lo
	s_addc_u32 s1, s11, s13
	global_store_dwordx4 v16, v[0:3], s[0:1]
	global_store_dwordx4 v16, v[4:7], s[0:1] offset:16
	global_store_dwordx4 v16, v[8:11], s[0:1] offset:32
	;; [unrolled: 1-line block ×3, first 2 shown]
	s_endpgm
	.section	.rodata,"a",@progbits
	.p2align	6, 0x0
	.amdhsa_kernel _Z10sort_pairsILj256ELj4ELj8ExN10test_utils4lessEEvPKT2_PS2_T3_
		.amdhsa_group_segment_fixed_size 16896
		.amdhsa_private_segment_fixed_size 0
		.amdhsa_kernarg_size 20
		.amdhsa_user_sgpr_count 6
		.amdhsa_user_sgpr_private_segment_buffer 1
		.amdhsa_user_sgpr_dispatch_ptr 0
		.amdhsa_user_sgpr_queue_ptr 0
		.amdhsa_user_sgpr_kernarg_segment_ptr 1
		.amdhsa_user_sgpr_dispatch_id 0
		.amdhsa_user_sgpr_flat_scratch_init 0
		.amdhsa_user_sgpr_private_segment_size 0
		.amdhsa_wavefront_size32 1
		.amdhsa_uses_dynamic_stack 0
		.amdhsa_system_sgpr_private_segment_wavefront_offset 0
		.amdhsa_system_sgpr_workgroup_id_x 1
		.amdhsa_system_sgpr_workgroup_id_y 0
		.amdhsa_system_sgpr_workgroup_id_z 0
		.amdhsa_system_sgpr_workgroup_info 0
		.amdhsa_system_vgpr_workitem_id 0
		.amdhsa_next_free_vgpr 70
		.amdhsa_next_free_sgpr 14
		.amdhsa_reserve_vcc 1
		.amdhsa_reserve_flat_scratch 0
		.amdhsa_float_round_mode_32 0
		.amdhsa_float_round_mode_16_64 0
		.amdhsa_float_denorm_mode_32 3
		.amdhsa_float_denorm_mode_16_64 3
		.amdhsa_dx10_clamp 1
		.amdhsa_ieee_mode 1
		.amdhsa_fp16_overflow 0
		.amdhsa_workgroup_processor_mode 1
		.amdhsa_memory_ordered 1
		.amdhsa_forward_progress 1
		.amdhsa_shared_vgpr_count 0
		.amdhsa_exception_fp_ieee_invalid_op 0
		.amdhsa_exception_fp_denorm_src 0
		.amdhsa_exception_fp_ieee_div_zero 0
		.amdhsa_exception_fp_ieee_overflow 0
		.amdhsa_exception_fp_ieee_underflow 0
		.amdhsa_exception_fp_ieee_inexact 0
		.amdhsa_exception_int_div_zero 0
	.end_amdhsa_kernel
	.section	.text._Z10sort_pairsILj256ELj4ELj8ExN10test_utils4lessEEvPKT2_PS2_T3_,"axG",@progbits,_Z10sort_pairsILj256ELj4ELj8ExN10test_utils4lessEEvPKT2_PS2_T3_,comdat
.Lfunc_end153:
	.size	_Z10sort_pairsILj256ELj4ELj8ExN10test_utils4lessEEvPKT2_PS2_T3_, .Lfunc_end153-_Z10sort_pairsILj256ELj4ELj8ExN10test_utils4lessEEvPKT2_PS2_T3_
                                        ; -- End function
	.set _Z10sort_pairsILj256ELj4ELj8ExN10test_utils4lessEEvPKT2_PS2_T3_.num_vgpr, 70
	.set _Z10sort_pairsILj256ELj4ELj8ExN10test_utils4lessEEvPKT2_PS2_T3_.num_agpr, 0
	.set _Z10sort_pairsILj256ELj4ELj8ExN10test_utils4lessEEvPKT2_PS2_T3_.numbered_sgpr, 14
	.set _Z10sort_pairsILj256ELj4ELj8ExN10test_utils4lessEEvPKT2_PS2_T3_.num_named_barrier, 0
	.set _Z10sort_pairsILj256ELj4ELj8ExN10test_utils4lessEEvPKT2_PS2_T3_.private_seg_size, 0
	.set _Z10sort_pairsILj256ELj4ELj8ExN10test_utils4lessEEvPKT2_PS2_T3_.uses_vcc, 1
	.set _Z10sort_pairsILj256ELj4ELj8ExN10test_utils4lessEEvPKT2_PS2_T3_.uses_flat_scratch, 0
	.set _Z10sort_pairsILj256ELj4ELj8ExN10test_utils4lessEEvPKT2_PS2_T3_.has_dyn_sized_stack, 0
	.set _Z10sort_pairsILj256ELj4ELj8ExN10test_utils4lessEEvPKT2_PS2_T3_.has_recursion, 0
	.set _Z10sort_pairsILj256ELj4ELj8ExN10test_utils4lessEEvPKT2_PS2_T3_.has_indirect_call, 0
	.section	.AMDGPU.csdata,"",@progbits
; Kernel info:
; codeLenInByte = 5548
; TotalNumSgprs: 16
; NumVgprs: 70
; ScratchSize: 0
; MemoryBound: 1
; FloatMode: 240
; IeeeMode: 1
; LDSByteSize: 16896 bytes/workgroup (compile time only)
; SGPRBlocks: 0
; VGPRBlocks: 8
; NumSGPRsForWavesPerEU: 16
; NumVGPRsForWavesPerEU: 70
; Occupancy: 12
; WaveLimiterHint : 0
; COMPUTE_PGM_RSRC2:SCRATCH_EN: 0
; COMPUTE_PGM_RSRC2:USER_SGPR: 6
; COMPUTE_PGM_RSRC2:TRAP_HANDLER: 0
; COMPUTE_PGM_RSRC2:TGID_X_EN: 1
; COMPUTE_PGM_RSRC2:TGID_Y_EN: 0
; COMPUTE_PGM_RSRC2:TGID_Z_EN: 0
; COMPUTE_PGM_RSRC2:TIDIG_COMP_CNT: 0
	.section	.text._Z19sort_keys_segmentedILj256ELj4ELj8ExN10test_utils4lessEEvPKT2_PS2_PKjT3_,"axG",@progbits,_Z19sort_keys_segmentedILj256ELj4ELj8ExN10test_utils4lessEEvPKT2_PS2_PKjT3_,comdat
	.protected	_Z19sort_keys_segmentedILj256ELj4ELj8ExN10test_utils4lessEEvPKT2_PS2_PKjT3_ ; -- Begin function _Z19sort_keys_segmentedILj256ELj4ELj8ExN10test_utils4lessEEvPKT2_PS2_PKjT3_
	.globl	_Z19sort_keys_segmentedILj256ELj4ELj8ExN10test_utils4lessEEvPKT2_PS2_PKjT3_
	.p2align	8
	.type	_Z19sort_keys_segmentedILj256ELj4ELj8ExN10test_utils4lessEEvPKT2_PS2_PKjT3_,@function
_Z19sort_keys_segmentedILj256ELj4ELj8ExN10test_utils4lessEEvPKT2_PS2_PKjT3_: ; @_Z19sort_keys_segmentedILj256ELj4ELj8ExN10test_utils4lessEEvPKT2_PS2_PKjT3_
; %bb.0:
	s_clause 0x1
	s_load_dwordx2 s[0:1], s[4:5], 0x10
	s_load_dwordx4 s[16:19], s[4:5], 0x0
	v_lshrrev_b32_e32 v24, 2, v0
	v_mov_b32_e32 v1, 0
	v_lshl_or_b32 v0, s6, 6, v24
	v_lshlrev_b64 v[2:3], 2, v[0:1]
	v_lshlrev_b32_e32 v0, 5, v0
	v_lshlrev_b64 v[0:1], 3, v[0:1]
	s_waitcnt lgkmcnt(0)
	v_add_co_u32 v2, vcc_lo, s0, v2
	v_add_co_ci_u32_e64 v3, null, s1, v3, vcc_lo
	global_load_dword v35, v[2:3], off
	v_mbcnt_lo_u32_b32 v2, -1, 0
	v_lshlrev_b32_e32 v25, 3, v2
	v_add_co_u32 v2, vcc_lo, s16, v0
	v_add_co_ci_u32_e64 v3, null, s17, v1, vcc_lo
	v_and_b32_e32 v36, 24, v25
	v_lshlrev_b32_e32 v34, 3, v36
	v_add_co_u32 v4, vcc_lo, v2, v34
	v_add_co_ci_u32_e64 v5, null, 0, v3, vcc_lo
                                        ; implicit-def: $vgpr2_vgpr3
	s_waitcnt vmcnt(0)
	v_cmp_lt_u32_e32 vcc_lo, v36, v35
	s_and_saveexec_b32 s0, vcc_lo
	s_cbranch_execz .LBB154_2
; %bb.1:
	global_load_dwordx2 v[2:3], v[4:5], off
.LBB154_2:
	s_or_b32 exec_lo, exec_lo, s0
	v_or_b32_e32 v10, 1, v36
                                        ; implicit-def: $vgpr6_vgpr7
	v_cmp_lt_u32_e64 s0, v10, v35
	s_and_saveexec_b32 s1, s0
	s_cbranch_execz .LBB154_4
; %bb.3:
	global_load_dwordx2 v[6:7], v[4:5], off offset:8
.LBB154_4:
	s_or_b32 exec_lo, exec_lo, s1
	v_or_b32_e32 v11, 2, v36
                                        ; implicit-def: $vgpr8_vgpr9
	v_cmp_lt_u32_e64 s1, v11, v35
	s_and_saveexec_b32 s2, s1
	s_cbranch_execz .LBB154_6
; %bb.5:
	global_load_dwordx2 v[8:9], v[4:5], off offset:16
.LBB154_6:
	s_or_b32 exec_lo, exec_lo, s2
	v_or_b32_e32 v14, 3, v36
                                        ; implicit-def: $vgpr12_vgpr13
	v_cmp_lt_u32_e64 s2, v14, v35
	s_and_saveexec_b32 s3, s2
	s_cbranch_execz .LBB154_8
; %bb.7:
	global_load_dwordx2 v[12:13], v[4:5], off offset:24
.LBB154_8:
	s_or_b32 exec_lo, exec_lo, s3
	v_or_b32_e32 v15, 4, v36
                                        ; implicit-def: $vgpr16_vgpr17
	v_cmp_lt_u32_e64 s3, v15, v35
	s_and_saveexec_b32 s4, s3
	s_cbranch_execz .LBB154_10
; %bb.9:
	global_load_dwordx2 v[16:17], v[4:5], off offset:32
.LBB154_10:
	s_or_b32 exec_lo, exec_lo, s4
	v_or_b32_e32 v26, 5, v36
                                        ; implicit-def: $vgpr18_vgpr19
	v_cmp_lt_u32_e64 s4, v26, v35
	s_and_saveexec_b32 s5, s4
	s_cbranch_execz .LBB154_12
; %bb.11:
	global_load_dwordx2 v[18:19], v[4:5], off offset:40
.LBB154_12:
	s_or_b32 exec_lo, exec_lo, s5
	v_or_b32_e32 v27, 6, v36
                                        ; implicit-def: $vgpr20_vgpr21
	v_cmp_lt_u32_e64 s5, v27, v35
	s_and_saveexec_b32 s6, s5
	s_cbranch_execz .LBB154_14
; %bb.13:
	global_load_dwordx2 v[20:21], v[4:5], off offset:48
.LBB154_14:
	s_or_b32 exec_lo, exec_lo, s6
	v_or_b32_e32 v28, 7, v36
                                        ; implicit-def: $vgpr22_vgpr23
	v_cmp_lt_u32_e64 s6, v28, v35
	s_and_saveexec_b32 s7, s6
	s_cbranch_execz .LBB154_16
; %bb.15:
	global_load_dwordx2 v[22:23], v[4:5], off offset:56
.LBB154_16:
	s_or_b32 exec_lo, exec_lo, s7
	v_cmp_lt_i32_e64 s7, v10, v35
	v_cmp_lt_i32_e64 s8, v11, v35
	;; [unrolled: 1-line block ×3, first 2 shown]
	s_mov_b32 s10, exec_lo
	s_waitcnt vmcnt(0)
	v_cndmask_b32_e64 v11, 0x7fffffff, v7, s7
	v_cndmask_b32_e64 v10, -1, v6, s7
	v_cmp_lt_i32_e64 s7, v15, v35
	v_cndmask_b32_e64 v7, 0x7fffffff, v9, s8
	v_cndmask_b32_e64 v6, -1, v8, s8
	v_cndmask_b32_e64 v15, 0x7fffffff, v13, s9
	v_cndmask_b32_e64 v14, -1, v12, s9
	v_cndmask_b32_e64 v9, 0x7fffffff, v17, s7
	v_cmp_lt_i32_e64 s8, v26, v35
	v_cndmask_b32_e64 v8, -1, v16, s7
	v_cmp_lt_i32_e64 s7, v27, v35
	v_cmp_lt_i32_e64 s9, v28, v35
	v_cndmask_b32_e64 v17, 0x7fffffff, v19, s8
	v_cndmask_b32_e64 v16, -1, v18, s8
	v_cndmask_b32_e64 v13, 0x7fffffff, v21, s7
	v_cndmask_b32_e64 v12, -1, v20, s7
	;; [unrolled: 2-line block ×3, first 2 shown]
	v_cmpx_lt_i32_e64 v36, v35
	s_cbranch_execz .LBB154_18
; %bb.17:
	v_cmp_gt_i64_e64 s7, v[10:11], v[2:3]
	v_cmp_lt_i64_e64 s8, v[10:11], v[2:3]
	v_cmp_gt_i64_e64 s9, v[14:15], v[6:7]
	v_cndmask_b32_e64 v19, v3, v11, s7
	v_cndmask_b32_e64 v18, v2, v10, s7
	v_cmp_lt_i64_e64 s7, v[14:15], v[6:7]
	v_cndmask_b32_e64 v3, v3, v11, s8
	v_cndmask_b32_e64 v2, v2, v10, s8
	v_cmp_gt_i64_e64 s8, v[16:17], v[8:9]
	v_cndmask_b32_e64 v11, v7, v15, s9
	v_cndmask_b32_e64 v10, v6, v14, s9
	;; [unrolled: 1-line block ×3, first 2 shown]
	v_cmp_lt_i64_e64 s9, v[16:17], v[8:9]
	v_cndmask_b32_e64 v6, v6, v14, s7
	v_cmp_gt_i64_e64 s7, v[4:5], v[12:13]
	v_cndmask_b32_e64 v15, v9, v17, s8
	v_cndmask_b32_e64 v14, v8, v16, s8
	v_cmp_lt_i64_e64 s8, v[4:5], v[12:13]
	v_cndmask_b32_e64 v9, v9, v17, s9
	v_cndmask_b32_e64 v8, v8, v16, s9
	;; [unrolled: 1-line block ×4, first 2 shown]
	v_cmp_gt_i64_e64 s7, v[6:7], v[18:19]
	v_cndmask_b32_e64 v5, v13, v5, s8
	v_cmp_lt_i64_e64 s9, v[6:7], v[18:19]
	v_cndmask_b32_e64 v4, v12, v4, s8
	v_cmp_gt_i64_e64 s8, v[8:9], v[10:11]
	v_cndmask_b32_e64 v13, v19, v7, s7
	v_cndmask_b32_e64 v12, v18, v6, s7
	v_cmp_lt_i64_e64 s7, v[8:9], v[10:11]
	v_cndmask_b32_e64 v20, v18, v6, s9
	v_cndmask_b32_e64 v21, v19, v7, s9
	;; [unrolled: 1-line block ×4, first 2 shown]
	v_cmp_gt_i64_e64 s8, v[4:5], v[14:15]
	v_cndmask_b32_e64 v9, v11, v9, s7
	v_cmp_lt_i64_e64 s9, v[4:5], v[14:15]
	v_cndmask_b32_e64 v8, v10, v8, s7
	v_cmp_lt_i64_e64 s7, v[6:7], v[2:3]
	v_cndmask_b32_e64 v22, v14, v4, s8
	v_cndmask_b32_e64 v23, v15, v5, s8
	v_cmp_gt_i64_e64 s8, v[8:9], v[12:13]
	v_cndmask_b32_e64 v5, v15, v5, s9
	v_cndmask_b32_e64 v4, v14, v4, s9
	;; [unrolled: 1-line block ×6, first 2 shown]
	v_cmp_lt_i64_e64 s7, v[8:9], v[12:13]
	v_cndmask_b32_e64 v11, v13, v9, s8
	v_cndmask_b32_e64 v10, v12, v8, s8
	v_cmp_gt_i64_e64 s8, v[4:5], v[18:19]
	v_cmp_lt_i64_e64 s9, v[4:5], v[18:19]
	v_cndmask_b32_e64 v9, v13, v9, s7
	v_cndmask_b32_e64 v8, v12, v8, s7
	v_cmp_gt_i64_e64 s7, v[14:15], v[16:17]
	v_cndmask_b32_e64 v13, v19, v5, s8
	v_cndmask_b32_e64 v12, v18, v4, s8
	;; [unrolled: 1-line block ×3, first 2 shown]
	v_cmp_gt_i64_e64 s8, v[8:9], v[6:7]
	v_cndmask_b32_e64 v4, v18, v4, s9
	v_cndmask_b32_e64 v15, v17, v23, s7
	;; [unrolled: 1-line block ×5, first 2 shown]
	v_cmp_lt_i64_e64 s7, v[8:9], v[6:7]
	v_cndmask_b32_e64 v19, v7, v9, s8
	v_cmp_gt_i64_e64 s9, v[4:5], v[10:11]
	v_cndmask_b32_e64 v18, v6, v8, s8
	v_cmp_lt_i64_e64 s8, v[4:5], v[10:11]
	v_cndmask_b32_e64 v7, v7, v9, s7
	v_cndmask_b32_e64 v6, v6, v8, s7
	v_cmp_gt_i64_e64 s7, v[16:17], v[12:13]
	v_cndmask_b32_e64 v9, v11, v5, s9
	v_cndmask_b32_e64 v8, v10, v4, s9
	v_cndmask_b32_e64 v5, v11, v5, s8
	v_cndmask_b32_e64 v4, v10, v4, s8
	v_cmp_lt_i64_e64 s8, v[16:17], v[12:13]
	v_cndmask_b32_e64 v11, v13, v17, s7
	v_cmp_gt_i64_e64 s9, v[6:7], v[2:3]
	v_cndmask_b32_e64 v10, v12, v16, s7
	v_cmp_lt_i64_e64 s7, v[6:7], v[2:3]
	v_cndmask_b32_e64 v13, v13, v17, s8
	v_cndmask_b32_e64 v12, v12, v16, s8
	v_cmp_gt_i64_e64 s8, v[4:5], v[18:19]
	v_cndmask_b32_e64 v17, v3, v7, s9
	v_cndmask_b32_e64 v16, v2, v6, s9
	v_cndmask_b32_e64 v7, v3, v7, s7
	v_cndmask_b32_e64 v6, v2, v6, s7
	;; [unrolled: 12-line block ×4, first 2 shown]
	v_cmp_lt_i64_e64 s7, v[8:9], v[2:3]
	v_cndmask_b32_e64 v21, v3, v9, s8
	v_cndmask_b32_e64 v20, v2, v8, s8
	v_cmp_lt_i64_e64 s8, v[10:11], v[18:19]
	v_cmp_gt_i64_e64 s9, v[10:11], v[18:19]
	v_cndmask_b32_e64 v9, v3, v9, s7
	v_cndmask_b32_e64 v8, v2, v8, s7
	v_cmp_lt_i64_e64 s7, v[4:5], v[6:7]
	v_cndmask_b32_e64 v5, v19, v11, s8
	v_cndmask_b32_e64 v4, v18, v10, s8
	v_cmp_lt_i64_e64 s8, v[16:17], v[6:7]
	v_cndmask_b32_e64 v26, v18, v10, s9
	v_cndmask_b32_e64 v27, v19, v11, s9
	;; [unrolled: 1-line block ×3, first 2 shown]
	v_cmp_gt_i64_e64 s9, v[16:17], v[6:7]
	v_cndmask_b32_e64 v11, v17, v7, s7
	v_cmp_gt_i64_e64 s7, v[8:9], v[14:15]
	v_cndmask_b32_e64 v3, v7, v17, s8
	v_cndmask_b32_e64 v2, v6, v16, s8
	v_cmp_lt_i64_e64 s8, v[8:9], v[14:15]
	v_cndmask_b32_e64 v7, v7, v17, s9
	v_cndmask_b32_e64 v6, v6, v16, s9
	;; [unrolled: 1-line block ×4, first 2 shown]
	v_cmp_gt_i64_e64 s7, v[4:5], v[20:21]
	v_cndmask_b32_e64 v9, v15, v9, s8
	v_cmp_lt_i64_e64 s9, v[4:5], v[20:21]
	v_cndmask_b32_e64 v8, v14, v8, s8
	v_cmp_gt_i64_e64 s8, v[18:19], v[12:13]
	v_cndmask_b32_e64 v23, v21, v5, s7
	v_cndmask_b32_e64 v22, v20, v4, s7
	v_cmp_gt_i64_e64 s7, v[8:9], v[6:7]
	v_cndmask_b32_e64 v15, v21, v5, s9
	v_cndmask_b32_e64 v14, v20, v4, s9
	v_cmp_lt_i64_e64 s9, v[8:9], v[6:7]
	v_cndmask_b32_e64 v19, v27, v13, s8
	v_cndmask_b32_e64 v18, v26, v12, s8
	;; [unrolled: 1-line block ×4, first 2 shown]
	v_cmp_gt_i64_e64 s7, v[14:15], v[16:17]
	v_cndmask_b32_e64 v5, v13, v27, s8
	v_cndmask_b32_e64 v4, v12, v26, s8
	;; [unrolled: 1-line block ×4, first 2 shown]
	v_cmp_lt_i64_e64 s8, v[14:15], v[16:17]
	v_cndmask_b32_e64 v9, v17, v15, s7
	v_cmp_gt_i64_e64 s9, v[18:19], v[22:23]
	v_cndmask_b32_e64 v8, v16, v14, s7
	v_cmp_lt_i64_e64 s7, v[18:19], v[22:23]
	v_cndmask_b32_e64 v15, v17, v15, s8
	v_cndmask_b32_e64 v14, v16, v14, s8
	;; [unrolled: 1-line block ×6, first 2 shown]
.LBB154_18:
	s_or_b32 exec_lo, exec_lo, s10
	v_and_b32_e32 v18, 16, v25
	v_and_b32_e32 v20, 8, v25
	v_mad_u32_u24 v40, 0x108, v24, v34
	v_mul_u32_u24_e32 v37, 0x108, v24
	v_min_i32_e32 v18, v35, v18
	; wave barrier
	ds_write2_b64 v40, v[2:3], v[10:11] offset1:1
	ds_write2_b64 v40, v[6:7], v[14:15] offset0:2 offset1:3
	ds_write2_b64 v40, v[8:9], v[16:17] offset0:4 offset1:5
	s_mov_b32 s9, 0
	s_mov_b32 s8, exec_lo
	v_add_nc_u32_e32 v19, 8, v18
	v_lshlrev_b32_e32 v23, 3, v18
	ds_write2_b64 v40, v[12:13], v[4:5] offset0:6 offset1:7
	; wave barrier
	v_min_i32_e32 v39, v35, v19
	v_mad_u32_u24 v2, 0x108, v24, v23
	v_add_nc_u32_e32 v19, 8, v39
	v_sub_nc_u32_e32 v22, v39, v18
	v_min_i32_e32 v41, v35, v19
	v_min_i32_e32 v19, v35, v20
	v_sub_nc_u32_e32 v20, v41, v39
	v_sub_nc_u32_e32 v21, v19, v20
	v_cmp_ge_i32_e64 s7, v19, v20
	v_cndmask_b32_e64 v20, 0, v21, s7
	v_min_i32_e32 v21, v19, v22
	v_cmpx_lt_i32_e64 v20, v21
	s_cbranch_execz .LBB154_22
; %bb.19:
	v_lshlrev_b32_e32 v3, 3, v39
	v_lshlrev_b32_e32 v4, 3, v19
	v_add3_u32 v3, v37, v3, v4
	.p2align	6
.LBB154_20:                             ; =>This Inner Loop Header: Depth=1
	v_sub_nc_u32_e32 v4, v21, v20
	v_lshrrev_b32_e32 v4, 1, v4
	v_add_nc_u32_e32 v8, v4, v20
	v_not_b32_e32 v4, v8
	v_lshl_add_u32 v5, v8, 3, v2
	v_lshl_add_u32 v6, v4, 3, v3
	ds_read_b64 v[4:5], v5
	ds_read_b64 v[6:7], v6
	s_waitcnt lgkmcnt(0)
	v_cmp_lt_i64_e64 s7, v[6:7], v[4:5]
	v_add_nc_u32_e32 v4, 1, v8
	v_cndmask_b32_e64 v21, v21, v8, s7
	v_cndmask_b32_e64 v20, v4, v20, s7
	v_cmp_ge_i32_e64 s7, v20, v21
	s_or_b32 s9, s7, s9
	s_andn2_b32 exec_lo, exec_lo, s9
	s_cbranch_execnz .LBB154_20
; %bb.21:
	s_or_b32 exec_lo, exec_lo, s9
.LBB154_22:
	s_or_b32 exec_lo, exec_lo, s8
	v_add_nc_u32_e32 v3, v39, v19
	v_lshl_add_u32 v8, v20, 3, v2
	v_add_nc_u32_e32 v11, v20, v18
                                        ; implicit-def: $vgpr6_vgpr7
	v_sub_nc_u32_e32 v10, v3, v20
	v_cmp_le_i32_e64 s8, v39, v11
	v_lshl_add_u32 v12, v10, 3, v37
	v_cmp_gt_i32_e64 s9, v41, v10
	ds_read_b64 v[2:3], v8
	ds_read_b64 v[4:5], v12
	s_waitcnt lgkmcnt(0)
	v_cmp_lt_i64_e64 s7, v[4:5], v[2:3]
	s_or_b32 s7, s8, s7
	s_and_b32 s7, s9, s7
	s_xor_b32 s8, s7, -1
	s_and_saveexec_b32 s9, s8
	s_xor_b32 s8, exec_lo, s9
; %bb.23:
	ds_read_b64 v[6:7], v8 offset:8
                                        ; implicit-def: $vgpr12
; %bb.24:
	s_or_saveexec_b32 s8, s8
	v_mov_b32_e32 v9, v5
	v_mov_b32_e32 v8, v4
	s_xor_b32 exec_lo, exec_lo, s8
	s_cbranch_execz .LBB154_26
; %bb.25:
	ds_read_b64 v[8:9], v12 offset:8
	s_waitcnt lgkmcnt(1)
	v_mov_b32_e32 v7, v3
	v_mov_b32_e32 v6, v2
.LBB154_26:
	s_or_b32 exec_lo, exec_lo, s8
	v_add_nc_u32_e32 v12, 1, v11
	v_add_nc_u32_e32 v13, 1, v10
	s_waitcnt lgkmcnt(0)
	v_cmp_lt_i64_e64 s8, v[8:9], v[6:7]
	v_cndmask_b32_e64 v15, v12, v11, s7
	v_cndmask_b32_e64 v14, v10, v13, s7
                                        ; implicit-def: $vgpr10_vgpr11
	v_cmp_ge_i32_e64 s9, v15, v39
	v_cmp_lt_i32_e64 s10, v14, v41
	s_or_b32 s8, s9, s8
	s_and_b32 s8, s10, s8
	s_xor_b32 s9, s8, -1
	s_and_saveexec_b32 s10, s9
	s_xor_b32 s9, exec_lo, s10
; %bb.27:
	v_lshl_add_u32 v10, v15, 3, v37
	ds_read_b64 v[10:11], v10 offset:8
; %bb.28:
	s_or_saveexec_b32 s9, s9
	v_mov_b32_e32 v13, v9
	v_mov_b32_e32 v12, v8
	s_xor_b32 exec_lo, exec_lo, s9
	s_cbranch_execz .LBB154_30
; %bb.29:
	s_waitcnt lgkmcnt(0)
	v_lshl_add_u32 v10, v14, 3, v37
	ds_read_b64 v[12:13], v10 offset:8
	v_mov_b32_e32 v11, v7
	v_mov_b32_e32 v10, v6
.LBB154_30:
	s_or_b32 exec_lo, exec_lo, s9
	v_add_nc_u32_e32 v16, 1, v15
	v_add_nc_u32_e32 v17, 1, v14
	s_waitcnt lgkmcnt(0)
	v_cmp_lt_i64_e64 s9, v[12:13], v[10:11]
	v_cndmask_b32_e64 v19, v16, v15, s8
	v_cndmask_b32_e64 v18, v14, v17, s8
                                        ; implicit-def: $vgpr14_vgpr15
	v_cmp_ge_i32_e64 s10, v19, v39
	v_cmp_lt_i32_e64 s11, v18, v41
	s_or_b32 s9, s10, s9
	s_and_b32 s9, s11, s9
	s_xor_b32 s10, s9, -1
	s_and_saveexec_b32 s11, s10
	s_xor_b32 s10, exec_lo, s11
; %bb.31:
	v_lshl_add_u32 v14, v19, 3, v37
	ds_read_b64 v[14:15], v14 offset:8
; %bb.32:
	s_or_saveexec_b32 s10, s10
	v_mov_b32_e32 v17, v13
	v_mov_b32_e32 v16, v12
	s_xor_b32 exec_lo, exec_lo, s10
	s_cbranch_execz .LBB154_34
; %bb.33:
	s_waitcnt lgkmcnt(0)
	v_lshl_add_u32 v14, v18, 3, v37
	ds_read_b64 v[16:17], v14 offset:8
	v_mov_b32_e32 v15, v11
	v_mov_b32_e32 v14, v10
.LBB154_34:
	s_or_b32 exec_lo, exec_lo, s10
	v_add_nc_u32_e32 v20, 1, v19
	v_add_nc_u32_e32 v21, 1, v18
	s_waitcnt lgkmcnt(0)
	v_cmp_lt_i64_e64 s10, v[16:17], v[14:15]
	v_cndmask_b32_e64 v23, v20, v19, s9
	v_cndmask_b32_e64 v22, v18, v21, s9
                                        ; implicit-def: $vgpr18_vgpr19
	v_cmp_ge_i32_e64 s11, v23, v39
	v_cmp_lt_i32_e64 s12, v22, v41
	s_or_b32 s10, s11, s10
	s_and_b32 s10, s12, s10
	s_xor_b32 s11, s10, -1
	s_and_saveexec_b32 s12, s11
	s_xor_b32 s11, exec_lo, s12
; %bb.35:
	v_lshl_add_u32 v18, v23, 3, v37
	ds_read_b64 v[18:19], v18 offset:8
; %bb.36:
	s_or_saveexec_b32 s11, s11
	v_mov_b32_e32 v21, v17
	v_mov_b32_e32 v20, v16
	s_xor_b32 exec_lo, exec_lo, s11
	s_cbranch_execz .LBB154_38
; %bb.37:
	s_waitcnt lgkmcnt(0)
	v_lshl_add_u32 v18, v22, 3, v37
	ds_read_b64 v[20:21], v18 offset:8
	v_mov_b32_e32 v19, v15
	v_mov_b32_e32 v18, v14
.LBB154_38:
	s_or_b32 exec_lo, exec_lo, s11
	v_add_nc_u32_e32 v24, 1, v23
	v_add_nc_u32_e32 v25, 1, v22
	s_waitcnt lgkmcnt(0)
	v_cmp_lt_i64_e64 s11, v[20:21], v[18:19]
	v_cndmask_b32_e64 v27, v24, v23, s10
	v_cndmask_b32_e64 v26, v22, v25, s10
                                        ; implicit-def: $vgpr22_vgpr23
	v_cmp_ge_i32_e64 s12, v27, v39
	v_cmp_lt_i32_e64 s13, v26, v41
	s_or_b32 s11, s12, s11
	s_and_b32 s11, s13, s11
	s_xor_b32 s12, s11, -1
	s_and_saveexec_b32 s13, s12
	s_xor_b32 s12, exec_lo, s13
; %bb.39:
	v_lshl_add_u32 v22, v27, 3, v37
	ds_read_b64 v[22:23], v22 offset:8
; %bb.40:
	s_or_saveexec_b32 s12, s12
	v_mov_b32_e32 v25, v21
	v_mov_b32_e32 v24, v20
	s_xor_b32 exec_lo, exec_lo, s12
	s_cbranch_execz .LBB154_42
; %bb.41:
	s_waitcnt lgkmcnt(0)
	v_lshl_add_u32 v22, v26, 3, v37
	ds_read_b64 v[24:25], v22 offset:8
	v_mov_b32_e32 v23, v19
	v_mov_b32_e32 v22, v18
.LBB154_42:
	s_or_b32 exec_lo, exec_lo, s12
	v_add_nc_u32_e32 v28, 1, v27
	v_add_nc_u32_e32 v29, 1, v26
	s_waitcnt lgkmcnt(0)
	v_cmp_lt_i64_e64 s12, v[24:25], v[22:23]
	v_cndmask_b32_e64 v31, v28, v27, s11
	v_cndmask_b32_e64 v30, v26, v29, s11
                                        ; implicit-def: $vgpr26_vgpr27
	v_cmp_ge_i32_e64 s13, v31, v39
	v_cmp_lt_i32_e64 s14, v30, v41
	s_or_b32 s12, s13, s12
	s_and_b32 s12, s14, s12
	s_xor_b32 s13, s12, -1
	s_and_saveexec_b32 s14, s13
	s_xor_b32 s13, exec_lo, s14
; %bb.43:
	v_lshl_add_u32 v26, v31, 3, v37
	ds_read_b64 v[26:27], v26 offset:8
; %bb.44:
	s_or_saveexec_b32 s13, s13
	v_mov_b32_e32 v29, v25
	v_mov_b32_e32 v28, v24
	s_xor_b32 exec_lo, exec_lo, s13
	s_cbranch_execz .LBB154_46
; %bb.45:
	s_waitcnt lgkmcnt(0)
	v_lshl_add_u32 v26, v30, 3, v37
	ds_read_b64 v[28:29], v26 offset:8
	v_mov_b32_e32 v27, v23
	v_mov_b32_e32 v26, v22
.LBB154_46:
	s_or_b32 exec_lo, exec_lo, s13
	v_add_nc_u32_e32 v32, 1, v31
	v_add_nc_u32_e32 v33, 1, v30
	s_waitcnt lgkmcnt(0)
	v_cmp_lt_i64_e64 s13, v[28:29], v[26:27]
	v_cndmask_b32_e64 v38, v32, v31, s12
	v_cndmask_b32_e64 v43, v30, v33, s12
                                        ; implicit-def: $vgpr30_vgpr31
	v_cmp_ge_i32_e64 s14, v38, v39
	v_cmp_lt_i32_e64 s15, v43, v41
	s_or_b32 s13, s14, s13
	s_and_b32 s13, s15, s13
	s_xor_b32 s14, s13, -1
	s_and_saveexec_b32 s15, s14
	s_xor_b32 s14, exec_lo, s15
; %bb.47:
	v_lshl_add_u32 v30, v38, 3, v37
	ds_read_b64 v[30:31], v30 offset:8
; %bb.48:
	s_or_saveexec_b32 s14, s14
	v_mov_b32_e32 v33, v29
	v_mov_b32_e32 v32, v28
	s_xor_b32 exec_lo, exec_lo, s14
	s_cbranch_execz .LBB154_50
; %bb.49:
	s_waitcnt lgkmcnt(0)
	v_lshl_add_u32 v30, v43, 3, v37
	ds_read_b64 v[32:33], v30 offset:8
	v_mov_b32_e32 v31, v27
	v_mov_b32_e32 v30, v26
.LBB154_50:
	s_or_b32 exec_lo, exec_lo, s14
	v_add_nc_u32_e32 v45, 1, v38
	v_min_i32_e32 v42, 0, v35
	v_cndmask_b32_e64 v27, v27, v29, s13
	v_add_nc_u32_e32 v44, 1, v43
	v_cndmask_b32_e64 v10, v10, v12, s9
	v_cndmask_b32_e64 v29, v45, v38, s13
	v_add_nc_u32_e32 v38, 16, v42
	v_cndmask_b32_e64 v26, v26, v28, s13
	v_cndmask_b32_e64 v28, v43, v44, s13
	v_cndmask_b32_e64 v15, v15, v17, s10
	v_cndmask_b32_e64 v14, v14, v16, s10
	v_min_i32_e32 v38, v35, v38
	v_cndmask_b32_e64 v11, v11, v13, s9
	s_waitcnt lgkmcnt(0)
	v_cmp_lt_i64_e64 s9, v[32:33], v[30:31]
	v_cmp_ge_i32_e64 s10, v29, v39
	v_cndmask_b32_e64 v9, v7, v9, s8
	v_add_nc_u32_e32 v12, 16, v38
	v_cndmask_b32_e64 v8, v6, v8, s8
	v_cmp_lt_i32_e64 s8, v28, v41
	v_cndmask_b32_e64 v13, v3, v5, s7
	v_min_i32_e32 v3, v35, v36
	v_min_i32_e32 v39, v35, v12
	s_or_b32 s9, s10, s9
	v_cndmask_b32_e64 v12, v2, v4, s7
	s_and_b32 s7, s8, s9
	v_sub_nc_u32_e32 v4, v38, v42
	v_sub_nc_u32_e32 v5, v39, v38
	v_cndmask_b32_e64 v17, v31, v33, s7
	v_cndmask_b32_e64 v16, v30, v32, s7
	;; [unrolled: 1-line block ×3, first 2 shown]
	v_min_i32_e32 v4, v3, v4
	v_sub_nc_u32_e32 v2, v3, v5
	v_cmp_ge_i32_e64 s7, v3, v5
	v_cndmask_b32_e64 v22, v22, v24, s12
	v_cndmask_b32_e64 v19, v19, v21, s11
	v_cndmask_b32_e64 v18, v18, v20, s11
	s_mov_b32 s9, 0
	v_cndmask_b32_e64 v6, 0, v2, s7
	v_lshl_add_u32 v2, v42, 3, v37
	s_mov_b32 s8, exec_lo
	; wave barrier
	ds_write2_b64 v40, v[12:13], v[8:9] offset1:1
	ds_write2_b64 v40, v[10:11], v[14:15] offset0:2 offset1:3
	ds_write2_b64 v40, v[18:19], v[22:23] offset0:4 offset1:5
	;; [unrolled: 1-line block ×3, first 2 shown]
	; wave barrier
	v_cmpx_lt_i32_e64 v6, v4
	s_cbranch_execz .LBB154_54
; %bb.51:
	v_lshlrev_b32_e32 v5, 3, v38
	v_lshlrev_b32_e32 v7, 3, v3
	v_add3_u32 v5, v37, v5, v7
	.p2align	6
.LBB154_52:                             ; =>This Inner Loop Header: Depth=1
	v_sub_nc_u32_e32 v7, v4, v6
	v_lshrrev_b32_e32 v7, 1, v7
	v_add_nc_u32_e32 v11, v7, v6
	v_not_b32_e32 v7, v11
	v_lshl_add_u32 v8, v11, 3, v2
	v_lshl_add_u32 v9, v7, 3, v5
	ds_read_b64 v[7:8], v8
	ds_read_b64 v[9:10], v9
	s_waitcnt lgkmcnt(0)
	v_cmp_lt_i64_e64 s7, v[9:10], v[7:8]
	v_add_nc_u32_e32 v7, 1, v11
	v_cndmask_b32_e64 v4, v4, v11, s7
	v_cndmask_b32_e64 v6, v7, v6, s7
	v_cmp_ge_i32_e64 s7, v6, v4
	s_or_b32 s9, s7, s9
	s_andn2_b32 exec_lo, exec_lo, s9
	s_cbranch_execnz .LBB154_52
; %bb.53:
	s_or_b32 exec_lo, exec_lo, s9
.LBB154_54:
	s_or_b32 exec_lo, exec_lo, s8
	v_add_nc_u32_e32 v3, v38, v3
	v_lshl_add_u32 v8, v6, 3, v2
	v_add_nc_u32_e32 v11, v6, v42
	v_sub_nc_u32_e32 v10, v3, v6
                                        ; implicit-def: $vgpr6_vgpr7
	v_cmp_le_i32_e64 s8, v38, v11
	v_lshl_add_u32 v12, v10, 3, v37
	v_cmp_gt_i32_e64 s9, v39, v10
	ds_read_b64 v[2:3], v8
	ds_read_b64 v[4:5], v12
	s_waitcnt lgkmcnt(0)
	v_cmp_lt_i64_e64 s7, v[4:5], v[2:3]
	s_or_b32 s7, s8, s7
	s_and_b32 s7, s9, s7
	s_xor_b32 s8, s7, -1
	s_and_saveexec_b32 s9, s8
	s_xor_b32 s8, exec_lo, s9
; %bb.55:
	ds_read_b64 v[6:7], v8 offset:8
                                        ; implicit-def: $vgpr12
; %bb.56:
	s_or_saveexec_b32 s8, s8
	v_mov_b32_e32 v9, v5
	v_mov_b32_e32 v8, v4
	s_xor_b32 exec_lo, exec_lo, s8
	s_cbranch_execz .LBB154_58
; %bb.57:
	ds_read_b64 v[8:9], v12 offset:8
	s_waitcnt lgkmcnt(1)
	v_mov_b32_e32 v7, v3
	v_mov_b32_e32 v6, v2
.LBB154_58:
	s_or_b32 exec_lo, exec_lo, s8
	v_add_nc_u32_e32 v12, 1, v11
	v_add_nc_u32_e32 v13, 1, v10
	s_waitcnt lgkmcnt(0)
	v_cmp_lt_i64_e64 s8, v[8:9], v[6:7]
	v_cndmask_b32_e64 v15, v12, v11, s7
	v_cndmask_b32_e64 v14, v10, v13, s7
                                        ; implicit-def: $vgpr10_vgpr11
	v_cmp_ge_i32_e64 s9, v15, v38
	v_cmp_lt_i32_e64 s10, v14, v39
	s_or_b32 s8, s9, s8
	s_and_b32 s8, s10, s8
	s_xor_b32 s9, s8, -1
	s_and_saveexec_b32 s10, s9
	s_xor_b32 s9, exec_lo, s10
; %bb.59:
	v_lshl_add_u32 v10, v15, 3, v37
	ds_read_b64 v[10:11], v10 offset:8
; %bb.60:
	s_or_saveexec_b32 s9, s9
	v_mov_b32_e32 v13, v9
	v_mov_b32_e32 v12, v8
	s_xor_b32 exec_lo, exec_lo, s9
	s_cbranch_execz .LBB154_62
; %bb.61:
	s_waitcnt lgkmcnt(0)
	v_lshl_add_u32 v10, v14, 3, v37
	ds_read_b64 v[12:13], v10 offset:8
	v_mov_b32_e32 v11, v7
	v_mov_b32_e32 v10, v6
.LBB154_62:
	s_or_b32 exec_lo, exec_lo, s9
	v_add_nc_u32_e32 v16, 1, v15
	v_add_nc_u32_e32 v17, 1, v14
	s_waitcnt lgkmcnt(0)
	v_cmp_lt_i64_e64 s9, v[12:13], v[10:11]
	v_cndmask_b32_e64 v19, v16, v15, s8
	v_cndmask_b32_e64 v18, v14, v17, s8
                                        ; implicit-def: $vgpr14_vgpr15
	v_cmp_ge_i32_e64 s10, v19, v38
	v_cmp_lt_i32_e64 s11, v18, v39
	s_or_b32 s9, s10, s9
	s_and_b32 s9, s11, s9
	s_xor_b32 s10, s9, -1
	s_and_saveexec_b32 s11, s10
	s_xor_b32 s10, exec_lo, s11
; %bb.63:
	v_lshl_add_u32 v14, v19, 3, v37
	ds_read_b64 v[14:15], v14 offset:8
; %bb.64:
	s_or_saveexec_b32 s10, s10
	v_mov_b32_e32 v17, v13
	v_mov_b32_e32 v16, v12
	s_xor_b32 exec_lo, exec_lo, s10
	s_cbranch_execz .LBB154_66
; %bb.65:
	s_waitcnt lgkmcnt(0)
	v_lshl_add_u32 v14, v18, 3, v37
	ds_read_b64 v[16:17], v14 offset:8
	v_mov_b32_e32 v15, v11
	v_mov_b32_e32 v14, v10
.LBB154_66:
	s_or_b32 exec_lo, exec_lo, s10
	v_add_nc_u32_e32 v20, 1, v19
	v_add_nc_u32_e32 v21, 1, v18
	s_waitcnt lgkmcnt(0)
	v_cmp_lt_i64_e64 s10, v[16:17], v[14:15]
	v_cndmask_b32_e64 v23, v20, v19, s9
	v_cndmask_b32_e64 v22, v18, v21, s9
                                        ; implicit-def: $vgpr18_vgpr19
	v_cmp_ge_i32_e64 s11, v23, v38
	v_cmp_lt_i32_e64 s12, v22, v39
	s_or_b32 s10, s11, s10
	s_and_b32 s10, s12, s10
	s_xor_b32 s11, s10, -1
	s_and_saveexec_b32 s12, s11
	s_xor_b32 s11, exec_lo, s12
; %bb.67:
	v_lshl_add_u32 v18, v23, 3, v37
	ds_read_b64 v[18:19], v18 offset:8
; %bb.68:
	s_or_saveexec_b32 s11, s11
	v_mov_b32_e32 v21, v17
	v_mov_b32_e32 v20, v16
	s_xor_b32 exec_lo, exec_lo, s11
	s_cbranch_execz .LBB154_70
; %bb.69:
	s_waitcnt lgkmcnt(0)
	v_lshl_add_u32 v18, v22, 3, v37
	ds_read_b64 v[20:21], v18 offset:8
	v_mov_b32_e32 v19, v15
	v_mov_b32_e32 v18, v14
.LBB154_70:
	s_or_b32 exec_lo, exec_lo, s11
	v_add_nc_u32_e32 v24, 1, v23
	v_add_nc_u32_e32 v25, 1, v22
	s_waitcnt lgkmcnt(0)
	v_cmp_lt_i64_e64 s11, v[20:21], v[18:19]
	v_cndmask_b32_e64 v27, v24, v23, s10
	v_cndmask_b32_e64 v26, v22, v25, s10
                                        ; implicit-def: $vgpr22_vgpr23
	v_cmp_ge_i32_e64 s12, v27, v38
	v_cmp_lt_i32_e64 s13, v26, v39
	s_or_b32 s11, s12, s11
	s_and_b32 s11, s13, s11
	s_xor_b32 s12, s11, -1
	s_and_saveexec_b32 s13, s12
	s_xor_b32 s12, exec_lo, s13
; %bb.71:
	v_lshl_add_u32 v22, v27, 3, v37
	ds_read_b64 v[22:23], v22 offset:8
; %bb.72:
	s_or_saveexec_b32 s12, s12
	v_mov_b32_e32 v25, v21
	v_mov_b32_e32 v24, v20
	s_xor_b32 exec_lo, exec_lo, s12
	s_cbranch_execz .LBB154_74
; %bb.73:
	s_waitcnt lgkmcnt(0)
	v_lshl_add_u32 v22, v26, 3, v37
	ds_read_b64 v[24:25], v22 offset:8
	v_mov_b32_e32 v23, v19
	v_mov_b32_e32 v22, v18
.LBB154_74:
	s_or_b32 exec_lo, exec_lo, s12
	v_add_nc_u32_e32 v28, 1, v27
	v_add_nc_u32_e32 v29, 1, v26
	s_waitcnt lgkmcnt(0)
	v_cmp_lt_i64_e64 s12, v[24:25], v[22:23]
	v_cndmask_b32_e64 v31, v28, v27, s11
	v_cndmask_b32_e64 v30, v26, v29, s11
                                        ; implicit-def: $vgpr26_vgpr27
	v_cmp_ge_i32_e64 s13, v31, v38
	v_cmp_lt_i32_e64 s14, v30, v39
	s_or_b32 s12, s13, s12
	s_and_b32 s12, s14, s12
	s_xor_b32 s13, s12, -1
	s_and_saveexec_b32 s14, s13
	s_xor_b32 s13, exec_lo, s14
; %bb.75:
	v_lshl_add_u32 v26, v31, 3, v37
	ds_read_b64 v[26:27], v26 offset:8
; %bb.76:
	s_or_saveexec_b32 s13, s13
	v_mov_b32_e32 v29, v25
	v_mov_b32_e32 v28, v24
	s_xor_b32 exec_lo, exec_lo, s13
	s_cbranch_execz .LBB154_78
; %bb.77:
	s_waitcnt lgkmcnt(0)
	v_lshl_add_u32 v26, v30, 3, v37
	ds_read_b64 v[28:29], v26 offset:8
	v_mov_b32_e32 v27, v23
	v_mov_b32_e32 v26, v22
.LBB154_78:
	s_or_b32 exec_lo, exec_lo, s13
	v_add_nc_u32_e32 v32, 1, v31
	v_add_nc_u32_e32 v33, 1, v30
	s_waitcnt lgkmcnt(0)
	v_cmp_lt_i64_e64 s13, v[28:29], v[26:27]
                                        ; implicit-def: $vgpr36
	v_cndmask_b32_e64 v40, v32, v31, s12
	v_cndmask_b32_e64 v35, v30, v33, s12
                                        ; implicit-def: $vgpr30_vgpr31
	v_cmp_ge_i32_e64 s14, v40, v38
	v_cmp_lt_i32_e64 s15, v35, v39
	s_or_b32 s13, s14, s13
	s_and_b32 s13, s15, s13
	s_xor_b32 s14, s13, -1
	s_and_saveexec_b32 s15, s14
	s_xor_b32 s14, exec_lo, s15
; %bb.79:
	v_lshl_add_u32 v30, v40, 3, v37
	v_add_nc_u32_e32 v36, 1, v40
                                        ; implicit-def: $vgpr37
                                        ; implicit-def: $vgpr40
	ds_read_b64 v[30:31], v30 offset:8
; %bb.80:
	s_or_saveexec_b32 s14, s14
	v_mov_b32_e32 v33, v29
	v_mov_b32_e32 v32, v28
	s_xor_b32 exec_lo, exec_lo, s14
	s_cbranch_execz .LBB154_82
; %bb.81:
	s_waitcnt lgkmcnt(0)
	v_lshl_add_u32 v30, v35, 3, v37
	v_add_nc_u32_e32 v35, 1, v35
	v_mov_b32_e32 v36, v40
	ds_read_b64 v[32:33], v30 offset:8
	v_mov_b32_e32 v31, v27
	v_mov_b32_e32 v30, v26
.LBB154_82:
	s_or_b32 exec_lo, exec_lo, s14
	v_add_co_u32 v0, s14, s18, v0
	v_add_co_ci_u32_e64 v1, null, s19, v1, s14
	v_add_co_u32 v0, s14, v0, v34
	v_add_co_ci_u32_e64 v1, null, 0, v1, s14
	s_and_saveexec_b32 s14, vcc_lo
	s_cbranch_execnz .LBB154_91
; %bb.83:
	s_or_b32 exec_lo, exec_lo, s14
	s_and_saveexec_b32 s7, s0
	s_cbranch_execnz .LBB154_92
.LBB154_84:
	s_or_b32 exec_lo, exec_lo, s7
	s_and_saveexec_b32 s0, s1
	s_cbranch_execnz .LBB154_93
.LBB154_85:
	s_or_b32 exec_lo, exec_lo, s0
	s_and_saveexec_b32 s0, s2
	s_cbranch_execnz .LBB154_94
.LBB154_86:
	s_or_b32 exec_lo, exec_lo, s0
	s_and_saveexec_b32 s0, s3
	s_cbranch_execnz .LBB154_95
.LBB154_87:
	s_or_b32 exec_lo, exec_lo, s0
	s_and_saveexec_b32 s0, s4
	s_cbranch_execnz .LBB154_96
.LBB154_88:
	s_or_b32 exec_lo, exec_lo, s0
	s_and_saveexec_b32 s0, s5
	s_cbranch_execnz .LBB154_97
.LBB154_89:
	s_or_b32 exec_lo, exec_lo, s0
	s_and_saveexec_b32 s0, s6
	s_cbranch_execnz .LBB154_98
.LBB154_90:
	s_endpgm
.LBB154_91:
	v_cndmask_b32_e64 v3, v3, v5, s7
	v_cndmask_b32_e64 v2, v2, v4, s7
	global_store_dwordx2 v[0:1], v[2:3], off
	s_or_b32 exec_lo, exec_lo, s14
	s_and_saveexec_b32 s7, s0
	s_cbranch_execz .LBB154_84
.LBB154_92:
	v_cndmask_b32_e64 v3, v7, v9, s8
	v_cndmask_b32_e64 v2, v6, v8, s8
	global_store_dwordx2 v[0:1], v[2:3], off offset:8
	s_or_b32 exec_lo, exec_lo, s7
	s_and_saveexec_b32 s0, s1
	s_cbranch_execz .LBB154_85
.LBB154_93:
	v_cndmask_b32_e64 v3, v11, v13, s9
	v_cndmask_b32_e64 v2, v10, v12, s9
	global_store_dwordx2 v[0:1], v[2:3], off offset:16
	s_or_b32 exec_lo, exec_lo, s0
	s_and_saveexec_b32 s0, s2
	s_cbranch_execz .LBB154_86
.LBB154_94:
	v_cndmask_b32_e64 v3, v15, v17, s10
	v_cndmask_b32_e64 v2, v14, v16, s10
	global_store_dwordx2 v[0:1], v[2:3], off offset:24
	s_or_b32 exec_lo, exec_lo, s0
	s_and_saveexec_b32 s0, s3
	s_cbranch_execz .LBB154_87
.LBB154_95:
	v_cndmask_b32_e64 v3, v19, v21, s11
	v_cndmask_b32_e64 v2, v18, v20, s11
	global_store_dwordx2 v[0:1], v[2:3], off offset:32
	s_or_b32 exec_lo, exec_lo, s0
	s_and_saveexec_b32 s0, s4
	s_cbranch_execz .LBB154_88
.LBB154_96:
	v_cndmask_b32_e64 v3, v23, v25, s12
	v_cndmask_b32_e64 v2, v22, v24, s12
	global_store_dwordx2 v[0:1], v[2:3], off offset:40
	s_or_b32 exec_lo, exec_lo, s0
	s_and_saveexec_b32 s0, s5
	s_cbranch_execz .LBB154_89
.LBB154_97:
	v_cndmask_b32_e64 v3, v27, v29, s13
	v_cndmask_b32_e64 v2, v26, v28, s13
	global_store_dwordx2 v[0:1], v[2:3], off offset:48
	s_or_b32 exec_lo, exec_lo, s0
	s_and_saveexec_b32 s0, s6
	s_cbranch_execz .LBB154_90
.LBB154_98:
	s_waitcnt lgkmcnt(0)
	v_cmp_lt_i64_e32 vcc_lo, v[32:33], v[30:31]
	v_cmp_ge_i32_e64 s0, v36, v38
	v_cmp_lt_i32_e64 s1, v35, v39
	s_or_b32 s0, s0, vcc_lo
	s_and_b32 vcc_lo, s1, s0
	v_cndmask_b32_e32 v3, v31, v33, vcc_lo
	v_cndmask_b32_e32 v2, v30, v32, vcc_lo
	global_store_dwordx2 v[0:1], v[2:3], off offset:56
	s_endpgm
	.section	.rodata,"a",@progbits
	.p2align	6, 0x0
	.amdhsa_kernel _Z19sort_keys_segmentedILj256ELj4ELj8ExN10test_utils4lessEEvPKT2_PS2_PKjT3_
		.amdhsa_group_segment_fixed_size 16896
		.amdhsa_private_segment_fixed_size 0
		.amdhsa_kernarg_size 28
		.amdhsa_user_sgpr_count 6
		.amdhsa_user_sgpr_private_segment_buffer 1
		.amdhsa_user_sgpr_dispatch_ptr 0
		.amdhsa_user_sgpr_queue_ptr 0
		.amdhsa_user_sgpr_kernarg_segment_ptr 1
		.amdhsa_user_sgpr_dispatch_id 0
		.amdhsa_user_sgpr_flat_scratch_init 0
		.amdhsa_user_sgpr_private_segment_size 0
		.amdhsa_wavefront_size32 1
		.amdhsa_uses_dynamic_stack 0
		.amdhsa_system_sgpr_private_segment_wavefront_offset 0
		.amdhsa_system_sgpr_workgroup_id_x 1
		.amdhsa_system_sgpr_workgroup_id_y 0
		.amdhsa_system_sgpr_workgroup_id_z 0
		.amdhsa_system_sgpr_workgroup_info 0
		.amdhsa_system_vgpr_workitem_id 0
		.amdhsa_next_free_vgpr 46
		.amdhsa_next_free_sgpr 20
		.amdhsa_reserve_vcc 1
		.amdhsa_reserve_flat_scratch 0
		.amdhsa_float_round_mode_32 0
		.amdhsa_float_round_mode_16_64 0
		.amdhsa_float_denorm_mode_32 3
		.amdhsa_float_denorm_mode_16_64 3
		.amdhsa_dx10_clamp 1
		.amdhsa_ieee_mode 1
		.amdhsa_fp16_overflow 0
		.amdhsa_workgroup_processor_mode 1
		.amdhsa_memory_ordered 1
		.amdhsa_forward_progress 1
		.amdhsa_shared_vgpr_count 0
		.amdhsa_exception_fp_ieee_invalid_op 0
		.amdhsa_exception_fp_denorm_src 0
		.amdhsa_exception_fp_ieee_div_zero 0
		.amdhsa_exception_fp_ieee_overflow 0
		.amdhsa_exception_fp_ieee_underflow 0
		.amdhsa_exception_fp_ieee_inexact 0
		.amdhsa_exception_int_div_zero 0
	.end_amdhsa_kernel
	.section	.text._Z19sort_keys_segmentedILj256ELj4ELj8ExN10test_utils4lessEEvPKT2_PS2_PKjT3_,"axG",@progbits,_Z19sort_keys_segmentedILj256ELj4ELj8ExN10test_utils4lessEEvPKT2_PS2_PKjT3_,comdat
.Lfunc_end154:
	.size	_Z19sort_keys_segmentedILj256ELj4ELj8ExN10test_utils4lessEEvPKT2_PS2_PKjT3_, .Lfunc_end154-_Z19sort_keys_segmentedILj256ELj4ELj8ExN10test_utils4lessEEvPKT2_PS2_PKjT3_
                                        ; -- End function
	.set _Z19sort_keys_segmentedILj256ELj4ELj8ExN10test_utils4lessEEvPKT2_PS2_PKjT3_.num_vgpr, 46
	.set _Z19sort_keys_segmentedILj256ELj4ELj8ExN10test_utils4lessEEvPKT2_PS2_PKjT3_.num_agpr, 0
	.set _Z19sort_keys_segmentedILj256ELj4ELj8ExN10test_utils4lessEEvPKT2_PS2_PKjT3_.numbered_sgpr, 20
	.set _Z19sort_keys_segmentedILj256ELj4ELj8ExN10test_utils4lessEEvPKT2_PS2_PKjT3_.num_named_barrier, 0
	.set _Z19sort_keys_segmentedILj256ELj4ELj8ExN10test_utils4lessEEvPKT2_PS2_PKjT3_.private_seg_size, 0
	.set _Z19sort_keys_segmentedILj256ELj4ELj8ExN10test_utils4lessEEvPKT2_PS2_PKjT3_.uses_vcc, 1
	.set _Z19sort_keys_segmentedILj256ELj4ELj8ExN10test_utils4lessEEvPKT2_PS2_PKjT3_.uses_flat_scratch, 0
	.set _Z19sort_keys_segmentedILj256ELj4ELj8ExN10test_utils4lessEEvPKT2_PS2_PKjT3_.has_dyn_sized_stack, 0
	.set _Z19sort_keys_segmentedILj256ELj4ELj8ExN10test_utils4lessEEvPKT2_PS2_PKjT3_.has_recursion, 0
	.set _Z19sort_keys_segmentedILj256ELj4ELj8ExN10test_utils4lessEEvPKT2_PS2_PKjT3_.has_indirect_call, 0
	.section	.AMDGPU.csdata,"",@progbits
; Kernel info:
; codeLenInByte = 5184
; TotalNumSgprs: 22
; NumVgprs: 46
; ScratchSize: 0
; MemoryBound: 0
; FloatMode: 240
; IeeeMode: 1
; LDSByteSize: 16896 bytes/workgroup (compile time only)
; SGPRBlocks: 0
; VGPRBlocks: 5
; NumSGPRsForWavesPerEU: 22
; NumVGPRsForWavesPerEU: 46
; Occupancy: 14
; WaveLimiterHint : 0
; COMPUTE_PGM_RSRC2:SCRATCH_EN: 0
; COMPUTE_PGM_RSRC2:USER_SGPR: 6
; COMPUTE_PGM_RSRC2:TRAP_HANDLER: 0
; COMPUTE_PGM_RSRC2:TGID_X_EN: 1
; COMPUTE_PGM_RSRC2:TGID_Y_EN: 0
; COMPUTE_PGM_RSRC2:TGID_Z_EN: 0
; COMPUTE_PGM_RSRC2:TIDIG_COMP_CNT: 0
	.section	.text._Z20sort_pairs_segmentedILj256ELj4ELj8ExN10test_utils4lessEEvPKT2_PS2_PKjT3_,"axG",@progbits,_Z20sort_pairs_segmentedILj256ELj4ELj8ExN10test_utils4lessEEvPKT2_PS2_PKjT3_,comdat
	.protected	_Z20sort_pairs_segmentedILj256ELj4ELj8ExN10test_utils4lessEEvPKT2_PS2_PKjT3_ ; -- Begin function _Z20sort_pairs_segmentedILj256ELj4ELj8ExN10test_utils4lessEEvPKT2_PS2_PKjT3_
	.globl	_Z20sort_pairs_segmentedILj256ELj4ELj8ExN10test_utils4lessEEvPKT2_PS2_PKjT3_
	.p2align	8
	.type	_Z20sort_pairs_segmentedILj256ELj4ELj8ExN10test_utils4lessEEvPKT2_PS2_PKjT3_,@function
_Z20sort_pairs_segmentedILj256ELj4ELj8ExN10test_utils4lessEEvPKT2_PS2_PKjT3_: ; @_Z20sort_pairs_segmentedILj256ELj4ELj8ExN10test_utils4lessEEvPKT2_PS2_PKjT3_
; %bb.0:
	s_clause 0x1
	s_load_dwordx2 s[0:1], s[4:5], 0x10
	s_load_dwordx4 s[16:19], s[4:5], 0x0
	v_lshrrev_b32_e32 v46, 2, v0
	v_mov_b32_e32 v1, 0
                                        ; implicit-def: $vgpr6_vgpr7
	v_lshl_or_b32 v0, s6, 6, v46
	v_lshlrev_b64 v[2:3], 2, v[0:1]
	v_lshlrev_b32_e32 v0, 5, v0
	v_lshlrev_b64 v[0:1], 3, v[0:1]
	s_waitcnt lgkmcnt(0)
	v_add_co_u32 v2, vcc_lo, s0, v2
	v_add_co_ci_u32_e64 v3, null, s1, v3, vcc_lo
	global_load_dword v51, v[2:3], off
	v_mbcnt_lo_u32_b32 v2, -1, 0
	v_lshlrev_b32_e32 v47, 3, v2
	v_add_co_u32 v2, vcc_lo, s16, v0
	v_add_co_ci_u32_e64 v3, null, s17, v1, vcc_lo
	v_and_b32_e32 v52, 24, v47
	v_lshlrev_b32_e32 v50, 3, v52
	v_add_co_u32 v2, vcc_lo, v2, v50
	v_add_co_ci_u32_e64 v3, null, 0, v3, vcc_lo
	s_waitcnt vmcnt(0)
	v_cmp_lt_u32_e64 s6, v52, v51
	s_and_saveexec_b32 s0, s6
	s_cbranch_execz .LBB155_2
; %bb.1:
	global_load_dwordx2 v[6:7], v[2:3], off
.LBB155_2:
	s_or_b32 exec_lo, exec_lo, s0
	v_or_b32_e32 v16, 1, v52
                                        ; implicit-def: $vgpr34_vgpr35
	v_cmp_lt_u32_e64 s5, v16, v51
	s_and_saveexec_b32 s0, s5
	s_cbranch_execz .LBB155_4
; %bb.3:
	global_load_dwordx2 v[34:35], v[2:3], off offset:8
.LBB155_4:
	s_or_b32 exec_lo, exec_lo, s0
	v_or_b32_e32 v20, 2, v52
                                        ; implicit-def: $vgpr22_vgpr23
	v_cmp_lt_u32_e64 s4, v20, v51
	s_and_saveexec_b32 s0, s4
	s_cbranch_execz .LBB155_6
; %bb.5:
	global_load_dwordx2 v[22:23], v[2:3], off offset:16
.LBB155_6:
	s_or_b32 exec_lo, exec_lo, s0
	v_or_b32_e32 v28, 3, v52
                                        ; implicit-def: $vgpr36_vgpr37
	v_cmp_lt_u32_e64 s3, v28, v51
	s_and_saveexec_b32 s0, s3
	s_cbranch_execz .LBB155_8
; %bb.7:
	global_load_dwordx2 v[36:37], v[2:3], off offset:24
.LBB155_8:
	s_or_b32 exec_lo, exec_lo, s0
	v_or_b32_e32 v29, 4, v52
                                        ; implicit-def: $vgpr24_vgpr25
	v_cmp_lt_u32_e64 s2, v29, v51
	s_and_saveexec_b32 s0, s2
	s_cbranch_execz .LBB155_10
; %bb.9:
	global_load_dwordx2 v[24:25], v[2:3], off offset:32
.LBB155_10:
	s_or_b32 exec_lo, exec_lo, s0
	v_or_b32_e32 v32, 5, v52
                                        ; implicit-def: $vgpr38_vgpr39
	v_cmp_lt_u32_e64 s1, v32, v51
	s_and_saveexec_b32 s0, s1
	s_cbranch_execz .LBB155_12
; %bb.11:
	global_load_dwordx2 v[38:39], v[2:3], off offset:40
.LBB155_12:
	s_or_b32 exec_lo, exec_lo, s0
	v_or_b32_e32 v42, 6, v52
                                        ; implicit-def: $vgpr26_vgpr27
	v_cmp_lt_u32_e64 s0, v42, v51
	s_and_saveexec_b32 s7, s0
	s_cbranch_execz .LBB155_14
; %bb.13:
	global_load_dwordx2 v[26:27], v[2:3], off offset:48
.LBB155_14:
	s_or_b32 exec_lo, exec_lo, s7
	v_or_b32_e32 v43, 7, v52
                                        ; implicit-def: $vgpr40_vgpr41
	v_cmp_lt_u32_e32 vcc_lo, v43, v51
	s_and_saveexec_b32 s7, vcc_lo
	s_cbranch_execz .LBB155_16
; %bb.15:
	global_load_dwordx2 v[40:41], v[2:3], off offset:56
.LBB155_16:
	s_or_b32 exec_lo, exec_lo, s7
	s_waitcnt vmcnt(0)
	v_add_co_u32 v2, s7, v6, 1
	v_add_co_ci_u32_e64 v3, null, 0, v7, s7
	v_add_co_u32 v8, s7, v34, 1
	v_add_co_ci_u32_e64 v9, null, 0, v35, s7
	;; [unrolled: 2-line block ×7, first 2 shown]
	v_cmp_lt_i32_e64 s7, v16, v51
	v_add_co_u32 v16, s8, v40, 1
	v_add_co_ci_u32_e64 v17, null, 0, v41, s8
	v_cmp_lt_i32_e64 s8, v20, v51
	v_cndmask_b32_e64 v21, 0x7fffffff, v35, s7
	v_cndmask_b32_e64 v20, -1, v34, s7
	v_cmp_lt_i32_e64 s7, v28, v51
	v_cmp_lt_i32_e64 s9, v43, v51
	v_cndmask_b32_e64 v31, 0x7fffffff, v23, s8
	v_cndmask_b32_e64 v30, -1, v22, s8
	v_cmp_lt_i32_e64 s8, v29, v51
	v_cndmask_b32_e64 v23, 0x7fffffff, v37, s7
	v_cndmask_b32_e64 v22, -1, v36, s7
	;; [unrolled: 3-line block ×4, first 2 shown]
	v_cndmask_b32_e64 v25, 0x7fffffff, v27, s8
	v_cndmask_b32_e64 v24, -1, v26, s8
	v_cndmask_b32_e64 v27, 0x7fffffff, v41, s9
	v_cndmask_b32_e64 v26, -1, v40, s9
	s_mov_b32 s8, exec_lo
	v_cmpx_lt_i32_e64 v52, v51
	s_cbranch_execz .LBB155_74
; %bb.17:
	v_mov_b32_e32 v43, v9
	v_mov_b32_e32 v42, v8
	s_mov_b32 s9, exec_lo
	v_cmpx_lt_i64_e64 v[20:21], v[6:7]
	s_cbranch_execz .LBB155_19
; %bb.18:
	v_mov_b32_e32 v21, v7
	v_mov_b32_e32 v43, v3
	v_mov_b32_e32 v20, v6
	v_mov_b32_e32 v6, v34
	v_mov_b32_e32 v42, v2
	v_mov_b32_e32 v2, v8
	v_mov_b32_e32 v7, v35
	v_mov_b32_e32 v3, v9
.LBB155_19:
	s_or_b32 exec_lo, exec_lo, s9
	v_mov_b32_e32 v45, v13
	v_mov_b32_e32 v44, v12
	s_mov_b32 s9, exec_lo
	v_cmpx_lt_i64_e64 v[22:23], v[30:31]
	s_cbranch_execz .LBB155_21
; %bb.20:
	v_mov_b32_e32 v22, v30
	v_mov_b32_e32 v45, v11
	v_mov_b32_e32 v23, v31
	v_mov_b32_e32 v30, v36
	v_mov_b32_e32 v44, v10
	v_mov_b32_e32 v10, v12
	v_mov_b32_e32 v31, v37
	v_mov_b32_e32 v11, v13
.LBB155_21:
	s_or_b32 exec_lo, exec_lo, s9
	;; [unrolled: 16-line block ×4, first 2 shown]
	v_cmp_lt_i64_e64 s7, v[30:31], v[20:21]
	v_mov_b32_e32 v8, v30
	v_mov_b32_e32 v39, v11
	;; [unrolled: 1-line block ×4, first 2 shown]
	s_and_saveexec_b32 s9, s7
	s_xor_b32 s7, exec_lo, s9
	s_cbranch_execz .LBB155_27
; %bb.26:
	v_mov_b32_e32 v8, v20
	v_mov_b32_e32 v38, v42
	v_mov_b32_e32 v9, v21
	v_mov_b32_e32 v20, v30
	v_mov_b32_e32 v39, v43
	v_mov_b32_e32 v43, v11
	v_mov_b32_e32 v21, v31
	v_mov_b32_e32 v42, v10
.LBB155_27:
	s_or_b32 exec_lo, exec_lo, s7
	v_mov_b32_e32 v10, v32
	v_mov_b32_e32 v31, v15
	v_mov_b32_e32 v11, v33
	v_mov_b32_e32 v30, v14
	s_mov_b32 s9, exec_lo
	v_cmpx_lt_i64_e64 v[32:33], v[22:23]
	s_cbranch_execz .LBB155_29
; %bb.28:
	v_mov_b32_e32 v10, v22
	v_mov_b32_e32 v30, v44
	v_mov_b32_e32 v11, v23
	v_mov_b32_e32 v22, v32
	v_mov_b32_e32 v31, v45
	v_mov_b32_e32 v45, v15
	v_mov_b32_e32 v23, v33
	v_mov_b32_e32 v44, v14
.LBB155_29:
	s_or_b32 exec_lo, exec_lo, s9
	v_mov_b32_e32 v12, v24
	v_mov_b32_e32 v33, v5
	v_mov_b32_e32 v13, v25
	v_mov_b32_e32 v32, v4
	s_mov_b32 s9, exec_lo
	v_cmpx_lt_i64_e64 v[24:25], v[28:29]
	;; [unrolled: 18-line block ×23, first 2 shown]
	s_cbranch_execz .LBB155_73
; %bb.72:
	v_mov_b32_e32 v19, v5
	v_mov_b32_e32 v29, v25
	;; [unrolled: 1-line block ×8, first 2 shown]
.LBB155_73:
	s_or_b32 exec_lo, exec_lo, s9
.LBB155_74:
	s_or_b32 exec_lo, exec_lo, s8
	v_and_b32_e32 v34, 16, v47
	v_and_b32_e32 v36, 8, v47
	v_mad_u32_u24 v54, 0x108, v46, v50
	v_mul_u32_u24_e32 v53, 0x108, v46
	v_min_i32_e32 v34, v51, v34
	; wave barrier
	ds_write2_b64 v54, v[6:7], v[20:21] offset1:1
	ds_write2_b64 v54, v[30:31], v[22:23] offset0:2 offset1:3
	ds_write2_b64 v54, v[32:33], v[28:29] offset0:4 offset1:5
	s_mov_b32 s9, 0
	s_mov_b32 s8, exec_lo
	v_add_nc_u32_e32 v35, 8, v34
	v_lshlrev_b32_e32 v39, 3, v34
	ds_write2_b64 v54, v[24:25], v[26:27] offset0:6 offset1:7
	; wave barrier
	v_min_i32_e32 v55, v51, v35
	v_mad_u32_u24 v6, 0x108, v46, v39
	v_add_nc_u32_e32 v35, 8, v55
	v_sub_nc_u32_e32 v38, v55, v34
	v_min_i32_e32 v56, v51, v35
	v_min_i32_e32 v35, v51, v36
	v_sub_nc_u32_e32 v36, v56, v55
	v_sub_nc_u32_e32 v37, v35, v36
	v_cmp_ge_i32_e64 s7, v35, v36
	v_cndmask_b32_e64 v36, 0, v37, s7
	v_min_i32_e32 v37, v35, v38
	v_cmpx_lt_i32_e64 v36, v37
	s_cbranch_execz .LBB155_78
; %bb.75:
	v_lshlrev_b32_e32 v7, 3, v55
	v_lshlrev_b32_e32 v20, 3, v35
	v_add3_u32 v7, v53, v7, v20
	.p2align	6
.LBB155_76:                             ; =>This Inner Loop Header: Depth=1
	v_sub_nc_u32_e32 v20, v37, v36
	v_lshrrev_b32_e32 v20, 1, v20
	v_add_nc_u32_e32 v24, v20, v36
	v_not_b32_e32 v20, v24
	v_lshl_add_u32 v21, v24, 3, v6
	v_lshl_add_u32 v22, v20, 3, v7
	ds_read_b64 v[20:21], v21
	ds_read_b64 v[22:23], v22
	s_waitcnt lgkmcnt(0)
	v_cmp_lt_i64_e64 s7, v[22:23], v[20:21]
	v_add_nc_u32_e32 v20, 1, v24
	v_cndmask_b32_e64 v37, v37, v24, s7
	v_cndmask_b32_e64 v36, v20, v36, s7
	v_cmp_ge_i32_e64 s7, v36, v37
	s_or_b32 s9, s7, s9
	s_andn2_b32 exec_lo, exec_lo, s9
	s_cbranch_execnz .LBB155_76
; %bb.77:
	s_or_b32 exec_lo, exec_lo, s9
.LBB155_78:
	s_or_b32 exec_lo, exec_lo, s8
	v_add_nc_u32_e32 v7, v55, v35
	v_lshl_add_u32 v24, v36, 3, v6
	v_add_nc_u32_e32 v58, v36, v34
                                        ; implicit-def: $vgpr22_vgpr23
	v_sub_nc_u32_e32 v57, v7, v36
	v_cmp_le_i32_e64 s8, v55, v58
	v_lshl_add_u32 v26, v57, 3, v53
	v_cmp_gt_i32_e64 s9, v56, v57
	ds_read_b64 v[6:7], v24
	ds_read_b64 v[20:21], v26
	s_waitcnt lgkmcnt(0)
	v_cmp_lt_i64_e64 s7, v[20:21], v[6:7]
	s_or_b32 s7, s8, s7
	s_and_b32 s7, s9, s7
	s_xor_b32 s8, s7, -1
	s_and_saveexec_b32 s9, s8
	s_xor_b32 s8, exec_lo, s9
; %bb.79:
	ds_read_b64 v[22:23], v24 offset:8
                                        ; implicit-def: $vgpr26
; %bb.80:
	s_or_saveexec_b32 s8, s8
	v_mov_b32_e32 v25, v21
	v_mov_b32_e32 v24, v20
	s_xor_b32 exec_lo, exec_lo, s8
	s_cbranch_execz .LBB155_82
; %bb.81:
	ds_read_b64 v[24:25], v26 offset:8
	s_waitcnt lgkmcnt(1)
	v_mov_b32_e32 v23, v7
	v_mov_b32_e32 v22, v6
.LBB155_82:
	s_or_b32 exec_lo, exec_lo, s8
	v_add_nc_u32_e32 v26, 1, v58
	v_add_nc_u32_e32 v27, 1, v57
	s_waitcnt lgkmcnt(0)
	v_cmp_lt_i64_e64 s8, v[24:25], v[22:23]
	v_cndmask_b32_e64 v59, v26, v58, s7
	v_cndmask_b32_e64 v60, v57, v27, s7
                                        ; implicit-def: $vgpr26_vgpr27
	v_cmp_ge_i32_e64 s9, v59, v55
	v_cmp_lt_i32_e64 s10, v60, v56
	s_or_b32 s8, s9, s8
	s_and_b32 s8, s10, s8
	s_xor_b32 s9, s8, -1
	s_and_saveexec_b32 s10, s9
	s_xor_b32 s9, exec_lo, s10
; %bb.83:
	v_lshl_add_u32 v26, v59, 3, v53
	ds_read_b64 v[26:27], v26 offset:8
; %bb.84:
	s_or_saveexec_b32 s9, s9
	v_mov_b32_e32 v29, v25
	v_mov_b32_e32 v28, v24
	s_xor_b32 exec_lo, exec_lo, s9
	s_cbranch_execz .LBB155_86
; %bb.85:
	s_waitcnt lgkmcnt(0)
	v_lshl_add_u32 v26, v60, 3, v53
	ds_read_b64 v[28:29], v26 offset:8
	v_mov_b32_e32 v27, v23
	v_mov_b32_e32 v26, v22
.LBB155_86:
	s_or_b32 exec_lo, exec_lo, s9
	v_add_nc_u32_e32 v30, 1, v59
	v_add_nc_u32_e32 v31, 1, v60
	s_waitcnt lgkmcnt(0)
	v_cmp_lt_i64_e64 s9, v[28:29], v[26:27]
	v_cndmask_b32_e64 v61, v30, v59, s8
	v_cndmask_b32_e64 v62, v60, v31, s8
                                        ; implicit-def: $vgpr30_vgpr31
	v_cmp_ge_i32_e64 s10, v61, v55
	v_cmp_lt_i32_e64 s11, v62, v56
	s_or_b32 s9, s10, s9
	s_and_b32 s9, s11, s9
	s_xor_b32 s10, s9, -1
	s_and_saveexec_b32 s11, s10
	s_xor_b32 s10, exec_lo, s11
; %bb.87:
	v_lshl_add_u32 v30, v61, 3, v53
	ds_read_b64 v[30:31], v30 offset:8
; %bb.88:
	s_or_saveexec_b32 s10, s10
	v_mov_b32_e32 v33, v29
	v_mov_b32_e32 v32, v28
	s_xor_b32 exec_lo, exec_lo, s10
	s_cbranch_execz .LBB155_90
; %bb.89:
	s_waitcnt lgkmcnt(0)
	v_lshl_add_u32 v30, v62, 3, v53
	ds_read_b64 v[32:33], v30 offset:8
	v_mov_b32_e32 v31, v27
	v_mov_b32_e32 v30, v26
.LBB155_90:
	s_or_b32 exec_lo, exec_lo, s10
	v_add_nc_u32_e32 v34, 1, v61
	v_add_nc_u32_e32 v35, 1, v62
	s_waitcnt lgkmcnt(0)
	v_cmp_lt_i64_e64 s10, v[32:33], v[30:31]
                                        ; implicit-def: $vgpr36_vgpr37
	v_cndmask_b32_e64 v63, v34, v61, s9
	v_cndmask_b32_e64 v64, v62, v35, s9
	v_cmp_ge_i32_e64 s11, v63, v55
	v_cmp_lt_i32_e64 s12, v64, v56
	s_or_b32 s10, s11, s10
	s_and_b32 s10, s12, s10
	s_xor_b32 s11, s10, -1
	s_and_saveexec_b32 s12, s11
	s_xor_b32 s11, exec_lo, s12
; %bb.91:
	v_lshl_add_u32 v34, v63, 3, v53
	ds_read_b64 v[36:37], v34 offset:8
; %bb.92:
	s_or_saveexec_b32 s11, s11
	v_mov_b32_e32 v41, v33
	v_mov_b32_e32 v40, v32
	s_xor_b32 exec_lo, exec_lo, s11
	s_cbranch_execz .LBB155_94
; %bb.93:
	v_lshl_add_u32 v34, v64, 3, v53
	s_waitcnt lgkmcnt(0)
	v_mov_b32_e32 v37, v31
	v_mov_b32_e32 v36, v30
	ds_read_b64 v[40:41], v34 offset:8
.LBB155_94:
	s_or_b32 exec_lo, exec_lo, s11
	v_add_nc_u32_e32 v34, 1, v63
	v_add_nc_u32_e32 v35, 1, v64
	s_waitcnt lgkmcnt(0)
	v_cmp_lt_i64_e64 s11, v[40:41], v[36:37]
                                        ; implicit-def: $vgpr42_vgpr43
	v_cndmask_b32_e64 v65, v34, v63, s10
	v_cndmask_b32_e64 v66, v64, v35, s10
	v_cmp_ge_i32_e64 s12, v65, v55
	v_cmp_lt_i32_e64 s13, v66, v56
	s_or_b32 s11, s12, s11
	s_and_b32 s11, s13, s11
	s_xor_b32 s12, s11, -1
	s_and_saveexec_b32 s13, s12
	s_xor_b32 s12, exec_lo, s13
; %bb.95:
	v_lshl_add_u32 v34, v65, 3, v53
	ds_read_b64 v[42:43], v34 offset:8
; %bb.96:
	s_or_saveexec_b32 s12, s12
	v_mov_b32_e32 v45, v41
	v_mov_b32_e32 v44, v40
	s_xor_b32 exec_lo, exec_lo, s12
	s_cbranch_execz .LBB155_98
; %bb.97:
	v_lshl_add_u32 v34, v66, 3, v53
	s_waitcnt lgkmcnt(0)
	v_mov_b32_e32 v43, v37
	v_mov_b32_e32 v42, v36
	ds_read_b64 v[44:45], v34 offset:8
.LBB155_98:
	s_or_b32 exec_lo, exec_lo, s12
	v_add_nc_u32_e32 v34, 1, v65
	v_add_nc_u32_e32 v35, 1, v66
	s_waitcnt lgkmcnt(0)
	v_cmp_lt_i64_e64 s12, v[44:45], v[42:43]
                                        ; implicit-def: $vgpr46_vgpr47
	v_cndmask_b32_e64 v67, v34, v65, s11
	v_cndmask_b32_e64 v68, v66, v35, s11
	v_cmp_ge_i32_e64 s13, v67, v55
	v_cmp_lt_i32_e64 s14, v68, v56
	s_or_b32 s12, s13, s12
	s_and_b32 s12, s14, s12
	s_xor_b32 s13, s12, -1
	s_and_saveexec_b32 s14, s13
	s_xor_b32 s13, exec_lo, s14
; %bb.99:
	v_lshl_add_u32 v34, v67, 3, v53
	ds_read_b64 v[46:47], v34 offset:8
; %bb.100:
	s_or_saveexec_b32 s13, s13
	v_mov_b32_e32 v49, v45
	v_mov_b32_e32 v48, v44
	s_xor_b32 exec_lo, exec_lo, s13
	s_cbranch_execz .LBB155_102
; %bb.101:
	v_lshl_add_u32 v34, v68, 3, v53
	s_waitcnt lgkmcnt(0)
	v_mov_b32_e32 v47, v43
	v_mov_b32_e32 v46, v42
	ds_read_b64 v[48:49], v34 offset:8
.LBB155_102:
	s_or_b32 exec_lo, exec_lo, s13
	v_add_nc_u32_e32 v34, 1, v67
	v_add_nc_u32_e32 v35, 1, v68
	s_waitcnt lgkmcnt(0)
	v_cmp_lt_i64_e64 s13, v[48:49], v[46:47]
	v_cndmask_b32_e64 v69, v34, v67, s12
	v_cndmask_b32_e64 v70, v68, v35, s12
                                        ; implicit-def: $vgpr34_vgpr35
	v_cmp_ge_i32_e64 s14, v69, v55
	v_cmp_lt_i32_e64 s15, v70, v56
	s_or_b32 s13, s14, s13
	s_and_b32 s13, s15, s13
	s_xor_b32 s14, s13, -1
	s_and_saveexec_b32 s15, s14
	s_xor_b32 s14, exec_lo, s15
; %bb.103:
	v_lshl_add_u32 v34, v69, 3, v53
	ds_read_b64 v[34:35], v34 offset:8
; %bb.104:
	s_or_saveexec_b32 s14, s14
	v_mov_b32_e32 v38, v48
	v_mov_b32_e32 v39, v49
	s_xor_b32 exec_lo, exec_lo, s14
	s_cbranch_execz .LBB155_106
; %bb.105:
	s_waitcnt lgkmcnt(0)
	v_lshl_add_u32 v34, v70, 3, v53
	ds_read_b64 v[38:39], v34 offset:8
	v_mov_b32_e32 v34, v46
	v_mov_b32_e32 v35, v47
.LBB155_106:
	s_or_b32 exec_lo, exec_lo, s14
	v_add_nc_u32_e32 v72, 1, v69
	v_add_nc_u32_e32 v71, 1, v70
	v_cndmask_b32_e64 v24, v22, v24, s8
	v_min_i32_e32 v22, 0, v51
	v_cndmask_b32_e64 v47, v47, v49, s13
	v_cndmask_b32_e64 v49, v72, v69, s13
	;; [unrolled: 1-line block ×4, first 2 shown]
	; wave barrier
	ds_write2_b64 v54, v[2:3], v[8:9] offset1:1
	ds_write2_b64 v54, v[10:11], v[12:13] offset0:2 offset1:3
	v_add_nc_u32_e32 v2, 16, v22
	v_cndmask_b32_e64 v27, v27, v29, s9
	v_cndmask_b32_e64 v26, v26, v28, s9
	;; [unrolled: 1-line block ×3, first 2 shown]
	s_waitcnt lgkmcnt(2)
	v_cmp_lt_i64_e64 s9, v[38:39], v[34:35]
	v_cndmask_b32_e64 v31, v31, v33, s10
	v_cndmask_b32_e64 v30, v30, v32, s10
	;; [unrolled: 1-line block ×3, first 2 shown]
	v_cmp_ge_i32_e64 s10, v49, v55
	v_cndmask_b32_e64 v37, v37, v41, s11
	v_cndmask_b32_e64 v36, v36, v40, s11
	;; [unrolled: 1-line block ×3, first 2 shown]
	v_cmp_lt_i32_e64 s11, v48, v56
	v_min_i32_e32 v55, v51, v2
	v_cndmask_b32_e64 v25, v23, v25, s8
	v_cndmask_b32_e64 v23, v59, v60, s8
	s_or_b32 s8, s10, s9
	v_cndmask_b32_e64 v33, v58, v57, s7
	v_cndmask_b32_e64 v42, v42, v44, s12
	v_cndmask_b32_e64 v44, v67, v68, s12
	s_and_b32 s8, s11, s8
	v_add_nc_u32_e32 v8, 16, v55
	v_cndmask_b32_e64 v69, v69, v70, s13
	v_cndmask_b32_e64 v29, v35, v39, s8
	;; [unrolled: 1-line block ×3, first 2 shown]
	v_lshl_add_u32 v2, v33, 3, v53
	v_lshl_add_u32 v9, v40, 3, v53
	v_lshl_add_u32 v3, v23, 3, v53
	v_min_i32_e32 v56, v51, v8
	v_lshl_add_u32 v8, v44, 3, v53
	ds_write2_b64 v54, v[14:15], v[18:19] offset0:4 offset1:5
	ds_write2_b64 v54, v[4:5], v[16:17] offset0:6 offset1:7
	v_lshl_add_u32 v4, v28, 3, v53
	v_lshl_add_u32 v12, v69, 3, v53
	;; [unrolled: 1-line block ×4, first 2 shown]
	; wave barrier
	ds_read_b64 v[10:11], v2
	ds_read_b64 v[14:15], v3
	;; [unrolled: 1-line block ×8, first 2 shown]
	v_min_i32_e32 v23, v51, v52
	v_sub_nc_u32_e32 v35, v56, v55
	v_cndmask_b32_e64 v33, v7, v21, s7
	v_cndmask_b32_e64 v32, v6, v20, s7
	v_sub_nc_u32_e32 v7, v55, v22
	v_cndmask_b32_e64 v28, v34, v38, s8
	v_sub_nc_u32_e32 v6, v23, v35
	v_cmp_ge_i32_e64 s7, v23, v35
	v_cndmask_b32_e64 v43, v43, v45, s12
	v_min_i32_e32 v20, v23, v7
	v_lshl_add_u32 v7, v22, 3, v53
	s_mov_b32 s9, 0
	v_cndmask_b32_e64 v6, 0, v6, s7
	s_mov_b32 s8, exec_lo
	; wave barrier
	ds_write2_b64 v54, v[32:33], v[24:25] offset1:1
	ds_write2_b64 v54, v[26:27], v[30:31] offset0:2 offset1:3
	ds_write2_b64 v54, v[36:37], v[42:43] offset0:4 offset1:5
	;; [unrolled: 1-line block ×3, first 2 shown]
	; wave barrier
	v_cmpx_lt_i32_e64 v6, v20
	s_cbranch_execz .LBB155_110
; %bb.107:
	v_lshlrev_b32_e32 v21, 3, v55
	v_lshlrev_b32_e32 v24, 3, v23
	v_add3_u32 v21, v53, v21, v24
	.p2align	6
.LBB155_108:                            ; =>This Inner Loop Header: Depth=1
	v_sub_nc_u32_e32 v24, v20, v6
	v_lshrrev_b32_e32 v24, 1, v24
	v_add_nc_u32_e32 v28, v24, v6
	v_not_b32_e32 v24, v28
	v_lshl_add_u32 v25, v28, 3, v7
	v_lshl_add_u32 v26, v24, 3, v21
	ds_read_b64 v[24:25], v25
	ds_read_b64 v[26:27], v26
	s_waitcnt lgkmcnt(0)
	v_cmp_lt_i64_e64 s7, v[26:27], v[24:25]
	v_add_nc_u32_e32 v24, 1, v28
	v_cndmask_b32_e64 v20, v20, v28, s7
	v_cndmask_b32_e64 v6, v24, v6, s7
	v_cmp_ge_i32_e64 s7, v6, v20
	s_or_b32 s9, s7, s9
	s_andn2_b32 exec_lo, exec_lo, s9
	s_cbranch_execnz .LBB155_108
; %bb.109:
	s_or_b32 exec_lo, exec_lo, s9
.LBB155_110:
	s_or_b32 exec_lo, exec_lo, s8
	v_add_nc_u32_e32 v20, v55, v23
	v_add_nc_u32_e32 v52, v6, v22
	v_sub_nc_u32_e32 v51, v20, v6
	v_lshl_add_u32 v20, v6, 3, v7
	v_cmp_le_i32_e64 s8, v55, v52
                                        ; implicit-def: $vgpr6_vgpr7
	v_lshl_add_u32 v23, v51, 3, v53
	v_cmp_gt_i32_e64 s9, v56, v51
	ds_read_b64 v[24:25], v20
	ds_read_b64 v[26:27], v23
	s_waitcnt lgkmcnt(0)
	v_cmp_lt_i64_e64 s7, v[26:27], v[24:25]
	s_or_b32 s7, s8, s7
	s_and_b32 s7, s9, s7
	s_xor_b32 s8, s7, -1
	s_and_saveexec_b32 s9, s8
	s_xor_b32 s8, exec_lo, s9
; %bb.111:
	ds_read_b64 v[6:7], v20 offset:8
                                        ; implicit-def: $vgpr23
; %bb.112:
	s_or_saveexec_b32 s8, s8
	v_mov_b32_e32 v20, v26
	v_mov_b32_e32 v21, v27
	s_xor_b32 exec_lo, exec_lo, s8
	s_cbranch_execz .LBB155_114
; %bb.113:
	ds_read_b64 v[20:21], v23 offset:8
	s_waitcnt lgkmcnt(1)
	v_mov_b32_e32 v6, v24
	v_mov_b32_e32 v7, v25
.LBB155_114:
	s_or_b32 exec_lo, exec_lo, s8
	v_add_nc_u32_e32 v22, 1, v52
	v_add_nc_u32_e32 v23, 1, v51
	s_waitcnt lgkmcnt(0)
	v_cmp_lt_i64_e64 s8, v[20:21], v[6:7]
	v_cndmask_b32_e64 v57, v22, v52, s7
	v_cndmask_b32_e64 v58, v51, v23, s7
                                        ; implicit-def: $vgpr22_vgpr23
	v_cmp_ge_i32_e64 s9, v57, v55
	v_cmp_lt_i32_e64 s10, v58, v56
	s_or_b32 s8, s9, s8
	s_and_b32 s8, s10, s8
	s_xor_b32 s9, s8, -1
	s_and_saveexec_b32 s10, s9
	s_xor_b32 s9, exec_lo, s10
; %bb.115:
	v_lshl_add_u32 v22, v57, 3, v53
	ds_read_b64 v[22:23], v22 offset:8
; %bb.116:
	s_or_saveexec_b32 s9, s9
	v_mov_b32_e32 v29, v21
	v_mov_b32_e32 v28, v20
	s_xor_b32 exec_lo, exec_lo, s9
	s_cbranch_execz .LBB155_118
; %bb.117:
	s_waitcnt lgkmcnt(0)
	v_lshl_add_u32 v22, v58, 3, v53
	ds_read_b64 v[28:29], v22 offset:8
	v_mov_b32_e32 v23, v7
	v_mov_b32_e32 v22, v6
.LBB155_118:
	s_or_b32 exec_lo, exec_lo, s9
	v_add_nc_u32_e32 v30, 1, v57
	v_add_nc_u32_e32 v31, 1, v58
	s_waitcnt lgkmcnt(0)
	v_cmp_lt_i64_e64 s9, v[28:29], v[22:23]
	v_cndmask_b32_e64 v59, v30, v57, s8
	v_cndmask_b32_e64 v60, v58, v31, s8
                                        ; implicit-def: $vgpr30_vgpr31
	v_cmp_ge_i32_e64 s10, v59, v55
	v_cmp_lt_i32_e64 s11, v60, v56
	s_or_b32 s9, s10, s9
	s_and_b32 s9, s11, s9
	s_xor_b32 s10, s9, -1
	s_and_saveexec_b32 s11, s10
	s_xor_b32 s10, exec_lo, s11
; %bb.119:
	v_lshl_add_u32 v30, v59, 3, v53
	ds_read_b64 v[30:31], v30 offset:8
; %bb.120:
	s_or_saveexec_b32 s10, s10
	v_mov_b32_e32 v33, v29
	v_mov_b32_e32 v32, v28
	s_xor_b32 exec_lo, exec_lo, s10
	s_cbranch_execz .LBB155_122
; %bb.121:
	s_waitcnt lgkmcnt(0)
	v_lshl_add_u32 v30, v60, 3, v53
	ds_read_b64 v[32:33], v30 offset:8
	v_mov_b32_e32 v31, v23
	v_mov_b32_e32 v30, v22
.LBB155_122:
	s_or_b32 exec_lo, exec_lo, s10
	v_add_nc_u32_e32 v34, 1, v59
	v_add_nc_u32_e32 v35, 1, v60
	s_waitcnt lgkmcnt(0)
	v_cmp_lt_i64_e64 s10, v[32:33], v[30:31]
	v_cndmask_b32_e64 v61, v34, v59, s9
	v_cndmask_b32_e64 v62, v60, v35, s9
                                        ; implicit-def: $vgpr34_vgpr35
	v_cmp_ge_i32_e64 s11, v61, v55
	v_cmp_lt_i32_e64 s12, v62, v56
	s_or_b32 s10, s11, s10
	s_and_b32 s10, s12, s10
	s_xor_b32 s11, s10, -1
	s_and_saveexec_b32 s12, s11
	s_xor_b32 s11, exec_lo, s12
; %bb.123:
	v_lshl_add_u32 v34, v61, 3, v53
	ds_read_b64 v[34:35], v34 offset:8
; %bb.124:
	s_or_saveexec_b32 s11, s11
	v_mov_b32_e32 v37, v33
	v_mov_b32_e32 v36, v32
	s_xor_b32 exec_lo, exec_lo, s11
	s_cbranch_execz .LBB155_126
; %bb.125:
	s_waitcnt lgkmcnt(0)
	v_lshl_add_u32 v34, v62, 3, v53
	ds_read_b64 v[36:37], v34 offset:8
	v_mov_b32_e32 v35, v31
	v_mov_b32_e32 v34, v30
.LBB155_126:
	s_or_b32 exec_lo, exec_lo, s11
	v_add_nc_u32_e32 v38, 1, v61
	v_add_nc_u32_e32 v39, 1, v62
	s_waitcnt lgkmcnt(0)
	v_cmp_lt_i64_e64 s11, v[36:37], v[34:35]
	v_cndmask_b32_e64 v63, v38, v61, s10
	v_cndmask_b32_e64 v64, v62, v39, s10
                                        ; implicit-def: $vgpr38_vgpr39
	v_cmp_ge_i32_e64 s12, v63, v55
	v_cmp_lt_i32_e64 s13, v64, v56
	s_or_b32 s11, s12, s11
	s_and_b32 s11, s13, s11
	s_xor_b32 s12, s11, -1
	s_and_saveexec_b32 s13, s12
	s_xor_b32 s12, exec_lo, s13
; %bb.127:
	v_lshl_add_u32 v38, v63, 3, v53
	ds_read_b64 v[38:39], v38 offset:8
; %bb.128:
	s_or_saveexec_b32 s12, s12
	v_mov_b32_e32 v41, v37
	v_mov_b32_e32 v40, v36
	s_xor_b32 exec_lo, exec_lo, s12
	s_cbranch_execz .LBB155_130
; %bb.129:
	s_waitcnt lgkmcnt(0)
	v_lshl_add_u32 v38, v64, 3, v53
	ds_read_b64 v[40:41], v38 offset:8
	v_mov_b32_e32 v39, v35
	v_mov_b32_e32 v38, v34
.LBB155_130:
	s_or_b32 exec_lo, exec_lo, s12
	v_add_nc_u32_e32 v42, 1, v63
	v_add_nc_u32_e32 v43, 1, v64
	s_waitcnt lgkmcnt(0)
	v_cmp_lt_i64_e64 s12, v[40:41], v[38:39]
	v_cndmask_b32_e64 v65, v42, v63, s11
	v_cndmask_b32_e64 v66, v64, v43, s11
                                        ; implicit-def: $vgpr42_vgpr43
	v_cmp_ge_i32_e64 s13, v65, v55
	v_cmp_lt_i32_e64 s14, v66, v56
	s_or_b32 s12, s13, s12
	s_and_b32 s12, s14, s12
	s_xor_b32 s13, s12, -1
	s_and_saveexec_b32 s14, s13
	s_xor_b32 s13, exec_lo, s14
; %bb.131:
	v_lshl_add_u32 v42, v65, 3, v53
	ds_read_b64 v[42:43], v42 offset:8
; %bb.132:
	s_or_saveexec_b32 s13, s13
	v_mov_b32_e32 v45, v41
	v_mov_b32_e32 v44, v40
	s_xor_b32 exec_lo, exec_lo, s13
	s_cbranch_execz .LBB155_134
; %bb.133:
	s_waitcnt lgkmcnt(0)
	v_lshl_add_u32 v42, v66, 3, v53
	ds_read_b64 v[44:45], v42 offset:8
	v_mov_b32_e32 v43, v39
	v_mov_b32_e32 v42, v38
.LBB155_134:
	s_or_b32 exec_lo, exec_lo, s13
	v_add_nc_u32_e32 v46, 1, v65
	v_add_nc_u32_e32 v47, 1, v66
	s_waitcnt lgkmcnt(0)
	v_cmp_lt_i64_e64 s13, v[44:45], v[42:43]
                                        ; implicit-def: $vgpr69
	v_cndmask_b32_e64 v70, v46, v65, s12
	v_cndmask_b32_e64 v68, v66, v47, s12
                                        ; implicit-def: $vgpr46_vgpr47
	v_cmp_ge_i32_e64 s14, v70, v55
	v_cmp_lt_i32_e64 s15, v68, v56
	s_or_b32 s13, s14, s13
	s_and_b32 s13, s15, s13
	s_xor_b32 s14, s13, -1
	s_and_saveexec_b32 s15, s14
	s_xor_b32 s14, exec_lo, s15
; %bb.135:
	v_lshl_add_u32 v46, v70, 3, v53
	v_add_nc_u32_e32 v69, 1, v70
	ds_read_b64 v[46:47], v46 offset:8
; %bb.136:
	s_or_saveexec_b32 s14, s14
	v_mov_b32_e32 v49, v45
	v_mov_b32_e32 v67, v70
	;; [unrolled: 1-line block ×3, first 2 shown]
	s_xor_b32 exec_lo, exec_lo, s14
	s_cbranch_execz .LBB155_138
; %bb.137:
	s_waitcnt lgkmcnt(0)
	v_lshl_add_u32 v46, v68, 3, v53
	v_mov_b32_e32 v67, v68
	v_mov_b32_e32 v69, v70
	ds_read_b64 v[48:49], v46 offset:8
	v_add_nc_u32_e32 v46, 1, v68
	v_mov_b32_e32 v68, v46
	v_mov_b32_e32 v47, v43
	;; [unrolled: 1-line block ×3, first 2 shown]
.LBB155_138:
	s_or_b32 exec_lo, exec_lo, s14
	s_waitcnt lgkmcnt(0)
	v_cmp_lt_i64_e64 s14, v[48:49], v[46:47]
	v_cmp_ge_i32_e64 s15, v69, v55
	v_cmp_lt_i32_e64 s16, v68, v56
	v_cndmask_b32_e64 v57, v57, v58, s8
	v_cndmask_b32_e64 v59, v59, v60, s9
	;; [unrolled: 1-line block ×3, first 2 shown]
	s_or_b32 s14, s15, s14
	v_cndmask_b32_e64 v55, v63, v64, s11
	s_and_b32 s14, s16, s14
	v_cndmask_b32_e64 v65, v65, v66, s12
	v_cndmask_b32_e64 v58, v69, v68, s14
	; wave barrier
	ds_write2_b64 v54, v[10:11], v[14:15] offset1:1
	ds_write2_b64 v54, v[2:3], v[4:5] offset0:2 offset1:3
	ds_write2_b64 v54, v[16:17], v[18:19] offset0:4 offset1:5
	;; [unrolled: 1-line block ×3, first 2 shown]
	v_lshl_add_u32 v2, v57, 3, v53
	v_lshl_add_u32 v3, v59, 3, v53
	;; [unrolled: 1-line block ×5, first 2 shown]
	; wave barrier
	v_lshl_add_u32 v18, v67, 3, v53
	v_lshl_add_u32 v19, v58, 3, v53
	ds_read_b64 v[16:17], v2
	ds_read_b64 v[14:15], v3
	;; [unrolled: 1-line block ×7, first 2 shown]
	v_cndmask_b32_e64 v19, v25, v27, s7
	v_cndmask_b32_e64 v18, v24, v26, s7
	s_and_saveexec_b32 s15, s6
	s_cbranch_execz .LBB155_140
; %bb.139:
	v_cndmask_b32_e64 v24, v52, v51, s7
	v_lshl_add_u32 v24, v24, 3, v53
	ds_read_b64 v[24:25], v24
	s_waitcnt lgkmcnt(0)
	v_add_co_u32 v18, s7, v24, v18
	v_add_co_ci_u32_e64 v19, null, v25, v19, s7
.LBB155_140:
	s_or_b32 exec_lo, exec_lo, s15
	v_add_co_u32 v0, s7, s18, v0
	v_add_co_ci_u32_e64 v1, null, s19, v1, s7
	v_add_co_u32 v0, s7, v0, v50
	v_add_co_ci_u32_e64 v1, null, 0, v1, s7
	s_and_saveexec_b32 s7, s6
	s_xor_b32 s6, exec_lo, s7
	s_cbranch_execnz .LBB155_149
; %bb.141:
	s_or_b32 exec_lo, exec_lo, s6
	s_and_saveexec_b32 s6, s5
	s_cbranch_execnz .LBB155_150
.LBB155_142:
	s_or_b32 exec_lo, exec_lo, s6
	s_and_saveexec_b32 s5, s4
	s_cbranch_execnz .LBB155_151
.LBB155_143:
	s_or_b32 exec_lo, exec_lo, s5
	s_and_saveexec_b32 s4, s3
	s_cbranch_execnz .LBB155_152
.LBB155_144:
	s_or_b32 exec_lo, exec_lo, s4
	s_and_saveexec_b32 s3, s2
	s_cbranch_execnz .LBB155_153
.LBB155_145:
	s_or_b32 exec_lo, exec_lo, s3
	s_and_saveexec_b32 s2, s1
	s_cbranch_execnz .LBB155_154
.LBB155_146:
	s_or_b32 exec_lo, exec_lo, s2
	s_and_saveexec_b32 s1, s0
	s_cbranch_execnz .LBB155_155
.LBB155_147:
	s_or_b32 exec_lo, exec_lo, s1
	s_and_saveexec_b32 s0, vcc_lo
	s_cbranch_execnz .LBB155_156
.LBB155_148:
	s_endpgm
.LBB155_149:
	global_store_dwordx2 v[0:1], v[18:19], off
	s_or_b32 exec_lo, exec_lo, s6
	s_and_saveexec_b32 s6, s5
	s_cbranch_execz .LBB155_142
.LBB155_150:
	v_cndmask_b32_e64 v6, v6, v20, s8
	s_waitcnt lgkmcnt(6)
	v_cndmask_b32_e64 v16, 0, v16, s5
	v_cndmask_b32_e64 v7, v7, v21, s8
	;; [unrolled: 1-line block ×3, first 2 shown]
	v_add_co_u32 v6, s5, v16, v6
	v_add_co_ci_u32_e64 v7, null, v17, v7, s5
	global_store_dwordx2 v[0:1], v[6:7], off offset:8
	s_or_b32 exec_lo, exec_lo, s6
	s_and_saveexec_b32 s5, s4
	s_cbranch_execz .LBB155_143
.LBB155_151:
	v_cndmask_b32_e64 v6, v22, v28, s9
	s_waitcnt lgkmcnt(5)
	v_cndmask_b32_e64 v7, 0, v14, s4
	v_cndmask_b32_e64 v14, v23, v29, s9
	;; [unrolled: 1-line block ×3, first 2 shown]
	v_add_co_u32 v6, s4, v7, v6
	v_add_co_ci_u32_e64 v7, null, v15, v14, s4
	global_store_dwordx2 v[0:1], v[6:7], off offset:16
	s_or_b32 exec_lo, exec_lo, s5
	s_and_saveexec_b32 s4, s3
	s_cbranch_execz .LBB155_144
.LBB155_152:
	v_cndmask_b32_e64 v6, v30, v32, s10
	s_waitcnt lgkmcnt(4)
	v_cndmask_b32_e64 v7, 0, v12, s3
	v_cndmask_b32_e64 v12, v31, v33, s10
	;; [unrolled: 1-line block ×3, first 2 shown]
	v_add_co_u32 v6, s3, v7, v6
	v_add_co_ci_u32_e64 v7, null, v13, v12, s3
	global_store_dwordx2 v[0:1], v[6:7], off offset:24
	s_or_b32 exec_lo, exec_lo, s4
	s_and_saveexec_b32 s3, s2
	s_cbranch_execz .LBB155_145
.LBB155_153:
	v_cndmask_b32_e64 v6, v34, v36, s11
	s_waitcnt lgkmcnt(3)
	v_cndmask_b32_e64 v7, 0, v10, s2
	v_cndmask_b32_e64 v10, v35, v37, s11
	;; [unrolled: 1-line block ×3, first 2 shown]
	v_add_co_u32 v6, s2, v7, v6
	v_add_co_ci_u32_e64 v7, null, v11, v10, s2
	global_store_dwordx2 v[0:1], v[6:7], off offset:32
	s_or_b32 exec_lo, exec_lo, s3
	s_and_saveexec_b32 s2, s1
	s_cbranch_execz .LBB155_146
.LBB155_154:
	v_cndmask_b32_e64 v6, v38, v40, s12
	s_waitcnt lgkmcnt(2)
	v_cndmask_b32_e64 v7, 0, v8, s1
	v_cndmask_b32_e64 v8, v39, v41, s12
	;; [unrolled: 1-line block ×3, first 2 shown]
	v_add_co_u32 v6, s1, v7, v6
	v_add_co_ci_u32_e64 v7, null, v9, v8, s1
	global_store_dwordx2 v[0:1], v[6:7], off offset:40
	s_or_b32 exec_lo, exec_lo, s2
	s_and_saveexec_b32 s1, s0
	s_cbranch_execz .LBB155_147
.LBB155_155:
	v_cndmask_b32_e64 v6, v42, v44, s13
	s_waitcnt lgkmcnt(1)
	v_cndmask_b32_e64 v4, 0, v4, s0
	v_cndmask_b32_e64 v7, v43, v45, s13
	;; [unrolled: 1-line block ×3, first 2 shown]
	v_add_co_u32 v4, s0, v4, v6
	v_add_co_ci_u32_e64 v5, null, v5, v7, s0
	global_store_dwordx2 v[0:1], v[4:5], off offset:48
	s_or_b32 exec_lo, exec_lo, s1
	s_and_saveexec_b32 s0, vcc_lo
	s_cbranch_execz .LBB155_148
.LBB155_156:
	s_waitcnt lgkmcnt(1)
	v_cndmask_b32_e64 v4, v46, v48, s14
	s_waitcnt lgkmcnt(0)
	v_cndmask_b32_e32 v2, 0, v2, vcc_lo
	v_cndmask_b32_e64 v5, v47, v49, s14
	v_cndmask_b32_e32 v3, 0, v3, vcc_lo
	v_add_co_u32 v2, vcc_lo, v2, v4
	v_add_co_ci_u32_e64 v3, null, v3, v5, vcc_lo
	global_store_dwordx2 v[0:1], v[2:3], off offset:56
	s_endpgm
	.section	.rodata,"a",@progbits
	.p2align	6, 0x0
	.amdhsa_kernel _Z20sort_pairs_segmentedILj256ELj4ELj8ExN10test_utils4lessEEvPKT2_PS2_PKjT3_
		.amdhsa_group_segment_fixed_size 16896
		.amdhsa_private_segment_fixed_size 0
		.amdhsa_kernarg_size 28
		.amdhsa_user_sgpr_count 6
		.amdhsa_user_sgpr_private_segment_buffer 1
		.amdhsa_user_sgpr_dispatch_ptr 0
		.amdhsa_user_sgpr_queue_ptr 0
		.amdhsa_user_sgpr_kernarg_segment_ptr 1
		.amdhsa_user_sgpr_dispatch_id 0
		.amdhsa_user_sgpr_flat_scratch_init 0
		.amdhsa_user_sgpr_private_segment_size 0
		.amdhsa_wavefront_size32 1
		.amdhsa_uses_dynamic_stack 0
		.amdhsa_system_sgpr_private_segment_wavefront_offset 0
		.amdhsa_system_sgpr_workgroup_id_x 1
		.amdhsa_system_sgpr_workgroup_id_y 0
		.amdhsa_system_sgpr_workgroup_id_z 0
		.amdhsa_system_sgpr_workgroup_info 0
		.amdhsa_system_vgpr_workitem_id 0
		.amdhsa_next_free_vgpr 73
		.amdhsa_next_free_sgpr 20
		.amdhsa_reserve_vcc 1
		.amdhsa_reserve_flat_scratch 0
		.amdhsa_float_round_mode_32 0
		.amdhsa_float_round_mode_16_64 0
		.amdhsa_float_denorm_mode_32 3
		.amdhsa_float_denorm_mode_16_64 3
		.amdhsa_dx10_clamp 1
		.amdhsa_ieee_mode 1
		.amdhsa_fp16_overflow 0
		.amdhsa_workgroup_processor_mode 1
		.amdhsa_memory_ordered 1
		.amdhsa_forward_progress 1
		.amdhsa_shared_vgpr_count 0
		.amdhsa_exception_fp_ieee_invalid_op 0
		.amdhsa_exception_fp_denorm_src 0
		.amdhsa_exception_fp_ieee_div_zero 0
		.amdhsa_exception_fp_ieee_overflow 0
		.amdhsa_exception_fp_ieee_underflow 0
		.amdhsa_exception_fp_ieee_inexact 0
		.amdhsa_exception_int_div_zero 0
	.end_amdhsa_kernel
	.section	.text._Z20sort_pairs_segmentedILj256ELj4ELj8ExN10test_utils4lessEEvPKT2_PS2_PKjT3_,"axG",@progbits,_Z20sort_pairs_segmentedILj256ELj4ELj8ExN10test_utils4lessEEvPKT2_PS2_PKjT3_,comdat
.Lfunc_end155:
	.size	_Z20sort_pairs_segmentedILj256ELj4ELj8ExN10test_utils4lessEEvPKT2_PS2_PKjT3_, .Lfunc_end155-_Z20sort_pairs_segmentedILj256ELj4ELj8ExN10test_utils4lessEEvPKT2_PS2_PKjT3_
                                        ; -- End function
	.set _Z20sort_pairs_segmentedILj256ELj4ELj8ExN10test_utils4lessEEvPKT2_PS2_PKjT3_.num_vgpr, 73
	.set _Z20sort_pairs_segmentedILj256ELj4ELj8ExN10test_utils4lessEEvPKT2_PS2_PKjT3_.num_agpr, 0
	.set _Z20sort_pairs_segmentedILj256ELj4ELj8ExN10test_utils4lessEEvPKT2_PS2_PKjT3_.numbered_sgpr, 20
	.set _Z20sort_pairs_segmentedILj256ELj4ELj8ExN10test_utils4lessEEvPKT2_PS2_PKjT3_.num_named_barrier, 0
	.set _Z20sort_pairs_segmentedILj256ELj4ELj8ExN10test_utils4lessEEvPKT2_PS2_PKjT3_.private_seg_size, 0
	.set _Z20sort_pairs_segmentedILj256ELj4ELj8ExN10test_utils4lessEEvPKT2_PS2_PKjT3_.uses_vcc, 1
	.set _Z20sort_pairs_segmentedILj256ELj4ELj8ExN10test_utils4lessEEvPKT2_PS2_PKjT3_.uses_flat_scratch, 0
	.set _Z20sort_pairs_segmentedILj256ELj4ELj8ExN10test_utils4lessEEvPKT2_PS2_PKjT3_.has_dyn_sized_stack, 0
	.set _Z20sort_pairs_segmentedILj256ELj4ELj8ExN10test_utils4lessEEvPKT2_PS2_PKjT3_.has_recursion, 0
	.set _Z20sort_pairs_segmentedILj256ELj4ELj8ExN10test_utils4lessEEvPKT2_PS2_PKjT3_.has_indirect_call, 0
	.section	.AMDGPU.csdata,"",@progbits
; Kernel info:
; codeLenInByte = 6540
; TotalNumSgprs: 22
; NumVgprs: 73
; ScratchSize: 0
; MemoryBound: 0
; FloatMode: 240
; IeeeMode: 1
; LDSByteSize: 16896 bytes/workgroup (compile time only)
; SGPRBlocks: 0
; VGPRBlocks: 9
; NumSGPRsForWavesPerEU: 22
; NumVGPRsForWavesPerEU: 73
; Occupancy: 12
; WaveLimiterHint : 0
; COMPUTE_PGM_RSRC2:SCRATCH_EN: 0
; COMPUTE_PGM_RSRC2:USER_SGPR: 6
; COMPUTE_PGM_RSRC2:TRAP_HANDLER: 0
; COMPUTE_PGM_RSRC2:TGID_X_EN: 1
; COMPUTE_PGM_RSRC2:TGID_Y_EN: 0
; COMPUTE_PGM_RSRC2:TGID_Z_EN: 0
; COMPUTE_PGM_RSRC2:TIDIG_COMP_CNT: 0
	.section	.text._Z9sort_keysILj256ELj16ELj1ExN10test_utils4lessEEvPKT2_PS2_T3_,"axG",@progbits,_Z9sort_keysILj256ELj16ELj1ExN10test_utils4lessEEvPKT2_PS2_T3_,comdat
	.protected	_Z9sort_keysILj256ELj16ELj1ExN10test_utils4lessEEvPKT2_PS2_T3_ ; -- Begin function _Z9sort_keysILj256ELj16ELj1ExN10test_utils4lessEEvPKT2_PS2_T3_
	.globl	_Z9sort_keysILj256ELj16ELj1ExN10test_utils4lessEEvPKT2_PS2_T3_
	.p2align	8
	.type	_Z9sort_keysILj256ELj16ELj1ExN10test_utils4lessEEvPKT2_PS2_T3_,@function
_Z9sort_keysILj256ELj16ELj1ExN10test_utils4lessEEvPKT2_PS2_T3_: ; @_Z9sort_keysILj256ELj16ELj1ExN10test_utils4lessEEvPKT2_PS2_T3_
; %bb.0:
	s_load_dwordx4 s[0:3], s[4:5], 0x0
	s_mov_b32 s7, 0
	s_lshl_b32 s6, s6, 8
	v_lshlrev_b32_e32 v1, 3, v0
	s_lshl_b64 s[4:5], s[6:7], 3
	v_mbcnt_lo_u32_b32 v4, -1, 0
	v_lshrrev_b32_e32 v0, 4, v0
	v_mov_b32_e32 v9, 0
	v_and_b32_e32 v6, 14, v4
	v_and_b32_e32 v2, 15, v4
	;; [unrolled: 1-line block ×3, first 2 shown]
	v_or_b32_e32 v5, 1, v6
	v_lshlrev_b32_e32 v8, 3, v2
	v_sub_nc_u32_e32 v3, v5, v6
	s_waitcnt lgkmcnt(0)
	s_add_u32 s0, s0, s4
	s_addc_u32 s1, s1, s5
	global_load_dwordx2 v[10:11], v1, s[0:1]
	v_min_i32_e32 v12, v7, v3
	v_mad_u32_u24 v3, 0x88, v0, v8
	v_mul_u32_u24_e32 v0, 0x88, v0
	s_mov_b32 s0, exec_lo
	; wave barrier
	s_waitcnt vmcnt(0)
	ds_write_b64 v3, v[10:11]
	; wave barrier
	v_cmpx_lt_i32_e32 0, v12
	s_cbranch_execz .LBB156_4
; %bb.1:
	v_lshl_add_u32 v8, v6, 3, v0
	v_mov_b32_e32 v10, 1
	v_mov_b32_e32 v9, 0
	v_lshl_add_u32 v11, v7, 3, v8
	.p2align	6
.LBB156_2:                              ; =>This Inner Loop Header: Depth=1
	v_sub_nc_u32_e32 v12, v10, v9
	v_lshrrev_b32_e32 v12, 1, v12
	v_add_nc_u32_e32 v16, v12, v9
	v_not_b32_e32 v12, v16
	v_lshl_add_u32 v13, v16, 3, v8
	v_lshl_add_u32 v14, v12, 3, v11
	ds_read_b64 v[12:13], v13
	ds_read_b64 v[14:15], v14 offset:8
	s_waitcnt lgkmcnt(0)
	v_cmp_lt_i64_e32 vcc_lo, v[14:15], v[12:13]
	v_add_nc_u32_e32 v12, 1, v16
	v_cndmask_b32_e32 v10, v10, v16, vcc_lo
	v_cndmask_b32_e32 v9, v12, v9, vcc_lo
	v_cmp_ge_i32_e32 vcc_lo, v9, v10
	s_or_b32 s7, vcc_lo, s7
	s_andn2_b32 exec_lo, exec_lo, s7
	s_cbranch_execnz .LBB156_2
; %bb.3:
	s_or_b32 exec_lo, exec_lo, s7
.LBB156_4:
	s_or_b32 exec_lo, exec_lo, s0
	v_add_nc_u32_e32 v8, v6, v7
	v_lshlrev_b32_e32 v10, 3, v9
	v_lshlrev_b32_e32 v6, 3, v6
	v_cmp_lt_i32_e64 s0, 0, v9
	v_sub_nc_u32_e32 v8, v8, v9
	v_add3_u32 v6, v0, v10, v6
	v_lshl_add_u32 v8, v8, 3, v0
	ds_read_b64 v[10:11], v6
	ds_read_b64 v[12:13], v8 offset:8
	v_add_nc_u32_e32 v8, v5, v7
	v_and_b32_e32 v6, 12, v4
	; wave barrier
	v_sub_nc_u32_e32 v14, v8, v9
	v_or_b32_e32 v7, 2, v6
	v_and_b32_e32 v8, 3, v4
	v_cmp_ge_i32_e64 s1, v5, v14
	v_sub_nc_u32_e32 v9, v7, v6
	v_sub_nc_u32_e64 v5, v8, 2 clamp
	v_min_i32_e32 v9, v8, v9
	s_waitcnt lgkmcnt(0)
	v_cmp_lt_i64_e32 vcc_lo, v[12:13], v[10:11]
	s_or_b32 s0, s0, vcc_lo
	s_and_b32 vcc_lo, s1, s0
	s_mov_b32 s0, 0
	v_cndmask_b32_e32 v11, v11, v13, vcc_lo
	v_cndmask_b32_e32 v10, v10, v12, vcc_lo
	s_mov_b32 s1, exec_lo
	ds_write_b64 v3, v[10:11]
	; wave barrier
	v_cmpx_lt_i32_e64 v5, v9
	s_cbranch_execz .LBB156_8
; %bb.5:
	v_lshl_add_u32 v10, v6, 3, v0
	v_lshl_add_u32 v11, v8, 3, v10
	.p2align	6
.LBB156_6:                              ; =>This Inner Loop Header: Depth=1
	v_sub_nc_u32_e32 v12, v9, v5
	v_lshrrev_b32_e32 v12, 1, v12
	v_add_nc_u32_e32 v16, v12, v5
	v_not_b32_e32 v12, v16
	v_lshl_add_u32 v13, v16, 3, v10
	v_lshl_add_u32 v14, v12, 3, v11
	ds_read_b64 v[12:13], v13
	ds_read_b64 v[14:15], v14 offset:16
	s_waitcnt lgkmcnt(0)
	v_cmp_lt_i64_e32 vcc_lo, v[14:15], v[12:13]
	v_add_nc_u32_e32 v12, 1, v16
	v_cndmask_b32_e32 v9, v9, v16, vcc_lo
	v_cndmask_b32_e32 v5, v12, v5, vcc_lo
	v_cmp_ge_i32_e32 vcc_lo, v5, v9
	s_or_b32 s0, vcc_lo, s0
	s_andn2_b32 exec_lo, exec_lo, s0
	s_cbranch_execnz .LBB156_6
; %bb.7:
	s_or_b32 exec_lo, exec_lo, s0
.LBB156_8:
	s_or_b32 exec_lo, exec_lo, s1
	v_add_nc_u32_e32 v9, v6, v8
	v_lshlrev_b32_e32 v10, 3, v5
	v_lshlrev_b32_e32 v11, 3, v6
	v_add_nc_u32_e32 v7, v7, v8
	v_add_nc_u32_e32 v8, 4, v6
	v_sub_nc_u32_e32 v9, v9, v5
	v_cmp_lt_i32_e64 s0, 1, v5
	v_add3_u32 v10, v0, v10, v11
	v_sub_nc_u32_e32 v14, v7, v5
	v_and_b32_e32 v7, 7, v4
	v_lshl_add_u32 v9, v9, 3, v0
	ds_read_b64 v[10:11], v10
	ds_read_b64 v[12:13], v9 offset:16
	v_and_b32_e32 v9, 8, v4
	v_cmp_gt_i32_e64 s1, v8, v14
	v_sub_nc_u32_e64 v4, v7, 4 clamp
	; wave barrier
	v_or_b32_e32 v6, 4, v9
	v_sub_nc_u32_e32 v5, v6, v9
	v_min_i32_e32 v5, v7, v5
	s_waitcnt lgkmcnt(0)
	v_cmp_lt_i64_e32 vcc_lo, v[12:13], v[10:11]
	s_or_b32 s0, s0, vcc_lo
	s_and_b32 vcc_lo, s1, s0
	s_mov_b32 s0, exec_lo
	v_cndmask_b32_e32 v11, v11, v13, vcc_lo
	v_cndmask_b32_e32 v10, v10, v12, vcc_lo
	ds_write_b64 v3, v[10:11]
	; wave barrier
	v_cmpx_lt_i32_e64 v4, v5
	s_cbranch_execz .LBB156_12
; %bb.9:
	v_lshl_add_u32 v8, v9, 3, v0
	s_mov_b32 s1, 0
	v_lshl_add_u32 v10, v7, 3, v8
	.p2align	6
.LBB156_10:                             ; =>This Inner Loop Header: Depth=1
	v_sub_nc_u32_e32 v11, v5, v4
	v_lshrrev_b32_e32 v11, 1, v11
	v_add_nc_u32_e32 v15, v11, v4
	v_not_b32_e32 v11, v15
	v_lshl_add_u32 v12, v15, 3, v8
	v_lshl_add_u32 v13, v11, 3, v10
	ds_read_b64 v[11:12], v12
	ds_read_b64 v[13:14], v13 offset:32
	s_waitcnt lgkmcnt(0)
	v_cmp_lt_i64_e32 vcc_lo, v[13:14], v[11:12]
	v_add_nc_u32_e32 v11, 1, v15
	v_cndmask_b32_e32 v5, v5, v15, vcc_lo
	v_cndmask_b32_e32 v4, v11, v4, vcc_lo
	v_cmp_ge_i32_e32 vcc_lo, v4, v5
	s_or_b32 s1, vcc_lo, s1
	s_andn2_b32 exec_lo, exec_lo, s1
	s_cbranch_execnz .LBB156_10
; %bb.11:
	s_or_b32 exec_lo, exec_lo, s1
.LBB156_12:
	s_or_b32 exec_lo, exec_lo, s0
	v_add_nc_u32_e32 v5, v9, v7
	v_lshlrev_b32_e32 v8, 3, v4
	v_lshlrev_b32_e32 v10, 3, v9
	v_cmp_lt_i32_e64 s0, 3, v4
	v_sub_nc_u32_e32 v5, v5, v4
	v_add3_u32 v8, v0, v8, v10
	v_lshl_add_u32 v5, v5, 3, v0
	ds_read_b64 v[10:11], v8
	ds_read_b64 v[12:13], v5 offset:32
	v_add_nc_u32_e32 v5, v6, v7
	v_add_nc_u32_e32 v6, 8, v9
	; wave barrier
	v_sub_nc_u32_e32 v5, v5, v4
	v_sub_nc_u32_e64 v4, v2, 8 clamp
	v_cmp_gt_i32_e64 s1, v6, v5
	v_min_u32_e32 v5, 8, v2
	s_waitcnt lgkmcnt(0)
	v_cmp_lt_i64_e32 vcc_lo, v[12:13], v[10:11]
	s_or_b32 s0, s0, vcc_lo
	s_and_b32 vcc_lo, s1, s0
	s_mov_b32 s0, exec_lo
	v_cndmask_b32_e32 v7, v11, v13, vcc_lo
	v_cndmask_b32_e32 v6, v10, v12, vcc_lo
	ds_write_b64 v3, v[6:7]
	; wave barrier
	v_cmpx_lt_u32_e64 v4, v5
	s_cbranch_execz .LBB156_16
; %bb.13:
	s_mov_b32 s1, 0
	.p2align	6
.LBB156_14:                             ; =>This Inner Loop Header: Depth=1
	v_sub_nc_u32_e32 v6, v5, v4
	v_lshrrev_b32_e32 v6, 1, v6
	v_add_nc_u32_e32 v10, v6, v4
	v_not_b32_e32 v6, v10
	v_lshl_add_u32 v7, v10, 3, v0
	v_lshl_add_u32 v8, v6, 3, v3
	ds_read_b64 v[6:7], v7
	ds_read_b64 v[8:9], v8 offset:64
	s_waitcnt lgkmcnt(0)
	v_cmp_lt_i64_e32 vcc_lo, v[8:9], v[6:7]
	v_add_nc_u32_e32 v6, 1, v10
	v_cndmask_b32_e32 v5, v5, v10, vcc_lo
	v_cndmask_b32_e32 v4, v6, v4, vcc_lo
	v_cmp_ge_i32_e32 vcc_lo, v4, v5
	s_or_b32 s1, vcc_lo, s1
	s_andn2_b32 exec_lo, exec_lo, s1
	s_cbranch_execnz .LBB156_14
; %bb.15:
	s_or_b32 exec_lo, exec_lo, s1
.LBB156_16:
	s_or_b32 exec_lo, exec_lo, s0
	v_sub_nc_u32_e32 v7, v2, v4
	v_lshl_add_u32 v2, v4, 3, v0
	v_cmp_lt_i32_e64 s0, 7, v4
	v_lshl_add_u32 v0, v7, 3, v0
	ds_read_b64 v[2:3], v2
	ds_read_b64 v[5:6], v0 offset:64
	v_add_nc_u32_e32 v0, 8, v7
	v_cmp_gt_i32_e64 s1, 16, v0
	s_waitcnt lgkmcnt(0)
	v_cmp_lt_i64_e32 vcc_lo, v[5:6], v[2:3]
	s_or_b32 s0, s0, vcc_lo
	s_and_b32 vcc_lo, s1, s0
	s_add_u32 s0, s2, s4
	v_cndmask_b32_e32 v3, v3, v6, vcc_lo
	v_cndmask_b32_e32 v2, v2, v5, vcc_lo
	s_addc_u32 s1, s3, s5
	global_store_dwordx2 v1, v[2:3], s[0:1]
	s_endpgm
	.section	.rodata,"a",@progbits
	.p2align	6, 0x0
	.amdhsa_kernel _Z9sort_keysILj256ELj16ELj1ExN10test_utils4lessEEvPKT2_PS2_T3_
		.amdhsa_group_segment_fixed_size 2176
		.amdhsa_private_segment_fixed_size 0
		.amdhsa_kernarg_size 20
		.amdhsa_user_sgpr_count 6
		.amdhsa_user_sgpr_private_segment_buffer 1
		.amdhsa_user_sgpr_dispatch_ptr 0
		.amdhsa_user_sgpr_queue_ptr 0
		.amdhsa_user_sgpr_kernarg_segment_ptr 1
		.amdhsa_user_sgpr_dispatch_id 0
		.amdhsa_user_sgpr_flat_scratch_init 0
		.amdhsa_user_sgpr_private_segment_size 0
		.amdhsa_wavefront_size32 1
		.amdhsa_uses_dynamic_stack 0
		.amdhsa_system_sgpr_private_segment_wavefront_offset 0
		.amdhsa_system_sgpr_workgroup_id_x 1
		.amdhsa_system_sgpr_workgroup_id_y 0
		.amdhsa_system_sgpr_workgroup_id_z 0
		.amdhsa_system_sgpr_workgroup_info 0
		.amdhsa_system_vgpr_workitem_id 0
		.amdhsa_next_free_vgpr 17
		.amdhsa_next_free_sgpr 8
		.amdhsa_reserve_vcc 1
		.amdhsa_reserve_flat_scratch 0
		.amdhsa_float_round_mode_32 0
		.amdhsa_float_round_mode_16_64 0
		.amdhsa_float_denorm_mode_32 3
		.amdhsa_float_denorm_mode_16_64 3
		.amdhsa_dx10_clamp 1
		.amdhsa_ieee_mode 1
		.amdhsa_fp16_overflow 0
		.amdhsa_workgroup_processor_mode 1
		.amdhsa_memory_ordered 1
		.amdhsa_forward_progress 1
		.amdhsa_shared_vgpr_count 0
		.amdhsa_exception_fp_ieee_invalid_op 0
		.amdhsa_exception_fp_denorm_src 0
		.amdhsa_exception_fp_ieee_div_zero 0
		.amdhsa_exception_fp_ieee_overflow 0
		.amdhsa_exception_fp_ieee_underflow 0
		.amdhsa_exception_fp_ieee_inexact 0
		.amdhsa_exception_int_div_zero 0
	.end_amdhsa_kernel
	.section	.text._Z9sort_keysILj256ELj16ELj1ExN10test_utils4lessEEvPKT2_PS2_T3_,"axG",@progbits,_Z9sort_keysILj256ELj16ELj1ExN10test_utils4lessEEvPKT2_PS2_T3_,comdat
.Lfunc_end156:
	.size	_Z9sort_keysILj256ELj16ELj1ExN10test_utils4lessEEvPKT2_PS2_T3_, .Lfunc_end156-_Z9sort_keysILj256ELj16ELj1ExN10test_utils4lessEEvPKT2_PS2_T3_
                                        ; -- End function
	.set _Z9sort_keysILj256ELj16ELj1ExN10test_utils4lessEEvPKT2_PS2_T3_.num_vgpr, 17
	.set _Z9sort_keysILj256ELj16ELj1ExN10test_utils4lessEEvPKT2_PS2_T3_.num_agpr, 0
	.set _Z9sort_keysILj256ELj16ELj1ExN10test_utils4lessEEvPKT2_PS2_T3_.numbered_sgpr, 8
	.set _Z9sort_keysILj256ELj16ELj1ExN10test_utils4lessEEvPKT2_PS2_T3_.num_named_barrier, 0
	.set _Z9sort_keysILj256ELj16ELj1ExN10test_utils4lessEEvPKT2_PS2_T3_.private_seg_size, 0
	.set _Z9sort_keysILj256ELj16ELj1ExN10test_utils4lessEEvPKT2_PS2_T3_.uses_vcc, 1
	.set _Z9sort_keysILj256ELj16ELj1ExN10test_utils4lessEEvPKT2_PS2_T3_.uses_flat_scratch, 0
	.set _Z9sort_keysILj256ELj16ELj1ExN10test_utils4lessEEvPKT2_PS2_T3_.has_dyn_sized_stack, 0
	.set _Z9sort_keysILj256ELj16ELj1ExN10test_utils4lessEEvPKT2_PS2_T3_.has_recursion, 0
	.set _Z9sort_keysILj256ELj16ELj1ExN10test_utils4lessEEvPKT2_PS2_T3_.has_indirect_call, 0
	.section	.AMDGPU.csdata,"",@progbits
; Kernel info:
; codeLenInByte = 1280
; TotalNumSgprs: 10
; NumVgprs: 17
; ScratchSize: 0
; MemoryBound: 0
; FloatMode: 240
; IeeeMode: 1
; LDSByteSize: 2176 bytes/workgroup (compile time only)
; SGPRBlocks: 0
; VGPRBlocks: 2
; NumSGPRsForWavesPerEU: 10
; NumVGPRsForWavesPerEU: 17
; Occupancy: 16
; WaveLimiterHint : 0
; COMPUTE_PGM_RSRC2:SCRATCH_EN: 0
; COMPUTE_PGM_RSRC2:USER_SGPR: 6
; COMPUTE_PGM_RSRC2:TRAP_HANDLER: 0
; COMPUTE_PGM_RSRC2:TGID_X_EN: 1
; COMPUTE_PGM_RSRC2:TGID_Y_EN: 0
; COMPUTE_PGM_RSRC2:TGID_Z_EN: 0
; COMPUTE_PGM_RSRC2:TIDIG_COMP_CNT: 0
	.section	.text._Z10sort_pairsILj256ELj16ELj1ExN10test_utils4lessEEvPKT2_PS2_T3_,"axG",@progbits,_Z10sort_pairsILj256ELj16ELj1ExN10test_utils4lessEEvPKT2_PS2_T3_,comdat
	.protected	_Z10sort_pairsILj256ELj16ELj1ExN10test_utils4lessEEvPKT2_PS2_T3_ ; -- Begin function _Z10sort_pairsILj256ELj16ELj1ExN10test_utils4lessEEvPKT2_PS2_T3_
	.globl	_Z10sort_pairsILj256ELj16ELj1ExN10test_utils4lessEEvPKT2_PS2_T3_
	.p2align	8
	.type	_Z10sort_pairsILj256ELj16ELj1ExN10test_utils4lessEEvPKT2_PS2_T3_,@function
_Z10sort_pairsILj256ELj16ELj1ExN10test_utils4lessEEvPKT2_PS2_T3_: ; @_Z10sort_pairsILj256ELj16ELj1ExN10test_utils4lessEEvPKT2_PS2_T3_
; %bb.0:
	s_load_dwordx4 s[0:3], s[4:5], 0x0
	s_mov_b32 s7, 0
	s_lshl_b32 s6, s6, 8
	v_lshlrev_b32_e32 v3, 3, v0
	s_lshl_b64 s[4:5], s[6:7], 3
	v_mbcnt_lo_u32_b32 v7, -1, 0
	v_lshrrev_b32_e32 v6, 4, v0
	v_mov_b32_e32 v0, 0
	v_and_b32_e32 v8, 14, v7
	v_and_b32_e32 v5, 15, v7
	;; [unrolled: 1-line block ×3, first 2 shown]
	v_or_b32_e32 v9, 1, v8
	v_lshlrev_b32_e32 v11, 3, v5
	v_lshlrev_b32_e32 v12, 3, v8
	v_sub_nc_u32_e32 v4, v9, v8
	s_waitcnt lgkmcnt(0)
	s_add_u32 s0, s0, s4
	s_addc_u32 s1, s1, s5
	global_load_dwordx2 v[1:2], v3, s[0:1]
	v_min_i32_e32 v13, v10, v4
	v_mad_u32_u24 v4, 0x88, v6, v11
	v_mad_u32_u24 v11, 0x88, v6, v12
	s_mov_b32 s0, exec_lo
	; wave barrier
	s_waitcnt vmcnt(0)
	ds_write_b64 v4, v[1:2]
	; wave barrier
	v_cmpx_lt_i32_e32 0, v13
	s_cbranch_execz .LBB157_4
; %bb.1:
	v_lshl_add_u32 v12, v10, 3, v11
	v_mov_b32_e32 v13, 1
	v_mov_b32_e32 v0, 0
	.p2align	6
.LBB157_2:                              ; =>This Inner Loop Header: Depth=1
	v_sub_nc_u32_e32 v14, v13, v0
	v_lshrrev_b32_e32 v14, 1, v14
	v_add_nc_u32_e32 v18, v14, v0
	v_not_b32_e32 v14, v18
	v_lshl_add_u32 v15, v18, 3, v11
	v_lshl_add_u32 v16, v14, 3, v12
	ds_read_b64 v[14:15], v15
	ds_read_b64 v[16:17], v16 offset:8
	s_waitcnt lgkmcnt(0)
	v_cmp_lt_i64_e32 vcc_lo, v[16:17], v[14:15]
	v_add_nc_u32_e32 v14, 1, v18
	v_cndmask_b32_e32 v13, v13, v18, vcc_lo
	v_cndmask_b32_e32 v0, v14, v0, vcc_lo
	v_cmp_ge_i32_e32 vcc_lo, v0, v13
	s_or_b32 s7, vcc_lo, s7
	s_andn2_b32 exec_lo, exec_lo, s7
	s_cbranch_execnz .LBB157_2
; %bb.3:
	s_or_b32 exec_lo, exec_lo, s7
.LBB157_4:
	s_or_b32 exec_lo, exec_lo, s0
	v_add_nc_u32_e32 v12, v8, v10
	v_mul_u32_u24_e32 v6, 0x88, v6
	v_lshl_add_u32 v11, v0, 3, v11
	v_add_nc_u32_e32 v10, v9, v10
	v_cmp_lt_i32_e64 s0, 0, v0
	v_sub_nc_u32_e32 v12, v12, v0
	v_sub_nc_u32_e32 v10, v10, v0
	v_add_nc_u32_e32 v0, v0, v8
	v_lshl_add_u32 v13, v12, 3, v6
	ds_read_b64 v[11:12], v11
	ds_read_b64 v[13:14], v13 offset:8
	v_cmp_ge_i32_e64 s1, v9, v10
	; wave barrier
	s_waitcnt lgkmcnt(0)
	v_cmp_lt_i64_e32 vcc_lo, v[13:14], v[11:12]
	s_or_b32 s0, s0, vcc_lo
	s_and_b32 vcc_lo, s1, s0
	s_mov_b32 s1, exec_lo
	v_cndmask_b32_e32 v8, v0, v10, vcc_lo
	v_add_co_u32 v0, s0, v1, 1
	v_add_co_ci_u32_e64 v1, null, 0, v2, s0
	v_lshl_add_u32 v8, v8, 3, v6
	v_and_b32_e32 v2, 12, v7
	v_cndmask_b32_e32 v14, v12, v14, vcc_lo
	ds_write_b64 v4, v[0:1]
	; wave barrier
	ds_read_b64 v[0:1], v8
	v_or_b32_e32 v9, 2, v2
	v_and_b32_e32 v10, 3, v7
	v_cndmask_b32_e32 v13, v11, v13, vcc_lo
	v_lshl_add_u32 v11, v2, 3, v6
	s_mov_b32 s0, 0
	v_sub_nc_u32_e32 v12, v9, v2
	v_sub_nc_u32_e64 v8, v10, 2 clamp
	; wave barrier
	ds_write_b64 v4, v[13:14]
	v_min_i32_e32 v12, v10, v12
	; wave barrier
	v_cmpx_lt_i32_e64 v8, v12
	s_cbranch_execz .LBB157_8
; %bb.5:
	v_lshl_add_u32 v13, v10, 3, v11
	.p2align	6
.LBB157_6:                              ; =>This Inner Loop Header: Depth=1
	v_sub_nc_u32_e32 v14, v12, v8
	v_lshrrev_b32_e32 v14, 1, v14
	v_add_nc_u32_e32 v18, v14, v8
	v_not_b32_e32 v14, v18
	v_lshl_add_u32 v15, v18, 3, v11
	v_lshl_add_u32 v16, v14, 3, v13
	ds_read_b64 v[14:15], v15
	ds_read_b64 v[16:17], v16 offset:16
	s_waitcnt lgkmcnt(0)
	v_cmp_lt_i64_e32 vcc_lo, v[16:17], v[14:15]
	v_add_nc_u32_e32 v14, 1, v18
	v_cndmask_b32_e32 v12, v12, v18, vcc_lo
	v_cndmask_b32_e32 v8, v14, v8, vcc_lo
	v_cmp_ge_i32_e32 vcc_lo, v8, v12
	s_or_b32 s0, vcc_lo, s0
	s_andn2_b32 exec_lo, exec_lo, s0
	s_cbranch_execnz .LBB157_6
; %bb.7:
	s_or_b32 exec_lo, exec_lo, s0
.LBB157_8:
	s_or_b32 exec_lo, exec_lo, s1
	v_add_nc_u32_e32 v12, v2, v10
	v_lshl_add_u32 v11, v8, 3, v11
	v_add_nc_u32_e32 v9, v9, v10
	v_add_nc_u32_e32 v10, 4, v2
	v_cmp_lt_i32_e64 s0, 1, v8
	v_sub_nc_u32_e32 v12, v12, v8
	v_add_nc_u32_e32 v2, v8, v2
	v_sub_nc_u32_e32 v9, v9, v8
	v_lshl_add_u32 v14, v12, 3, v6
	ds_read_b64 v[12:13], v11
	ds_read_b64 v[14:15], v14 offset:16
	v_cmp_gt_i32_e64 s1, v10, v9
	; wave barrier
	s_waitcnt lgkmcnt(3)
	ds_write_b64 v4, v[0:1]
	; wave barrier
	s_waitcnt lgkmcnt(1)
	v_cmp_lt_i64_e32 vcc_lo, v[14:15], v[12:13]
	s_or_b32 s0, s0, vcc_lo
	s_and_b32 vcc_lo, s1, s0
	s_mov_b32 s0, exec_lo
	v_cndmask_b32_e32 v8, v2, v9, vcc_lo
	v_and_b32_e32 v2, 8, v7
	v_and_b32_e32 v9, 7, v7
	v_cndmask_b32_e32 v13, v13, v15, vcc_lo
	v_cndmask_b32_e32 v12, v12, v14, vcc_lo
	v_lshl_add_u32 v8, v8, 3, v6
	v_sub_nc_u32_e64 v7, v9, 4 clamp
	ds_read_b64 v[0:1], v8
	v_or_b32_e32 v8, 4, v2
	; wave barrier
	ds_write_b64 v4, v[12:13]
	v_sub_nc_u32_e32 v10, v8, v2
	; wave barrier
	v_min_i32_e32 v11, v9, v10
	v_lshl_add_u32 v10, v2, 3, v6
	v_cmpx_lt_i32_e64 v7, v11
	s_cbranch_execz .LBB157_12
; %bb.9:
	v_lshl_add_u32 v12, v9, 3, v10
	s_mov_b32 s1, 0
	.p2align	6
.LBB157_10:                             ; =>This Inner Loop Header: Depth=1
	v_sub_nc_u32_e32 v13, v11, v7
	v_lshrrev_b32_e32 v13, 1, v13
	v_add_nc_u32_e32 v17, v13, v7
	v_not_b32_e32 v13, v17
	v_lshl_add_u32 v14, v17, 3, v10
	v_lshl_add_u32 v15, v13, 3, v12
	ds_read_b64 v[13:14], v14
	ds_read_b64 v[15:16], v15 offset:32
	s_waitcnt lgkmcnt(0)
	v_cmp_lt_i64_e32 vcc_lo, v[15:16], v[13:14]
	v_add_nc_u32_e32 v13, 1, v17
	v_cndmask_b32_e32 v11, v11, v17, vcc_lo
	v_cndmask_b32_e32 v7, v13, v7, vcc_lo
	v_cmp_ge_i32_e32 vcc_lo, v7, v11
	s_or_b32 s1, vcc_lo, s1
	s_andn2_b32 exec_lo, exec_lo, s1
	s_cbranch_execnz .LBB157_10
; %bb.11:
	s_or_b32 exec_lo, exec_lo, s1
.LBB157_12:
	s_or_b32 exec_lo, exec_lo, s0
	v_add_nc_u32_e32 v11, v2, v9
	v_lshl_add_u32 v10, v7, 3, v10
	v_add_nc_u32_e32 v8, v8, v9
	v_add_nc_u32_e32 v9, 8, v2
	v_cmp_lt_i32_e64 s0, 3, v7
	v_sub_nc_u32_e32 v11, v11, v7
	v_add_nc_u32_e32 v2, v7, v2
	v_sub_nc_u32_e32 v8, v8, v7
	v_min_u32_e32 v7, 8, v5
	v_lshl_add_u32 v12, v11, 3, v6
	ds_read_b64 v[10:11], v10
	ds_read_b64 v[12:13], v12 offset:32
	v_cmp_gt_i32_e64 s1, v9, v8
	; wave barrier
	s_waitcnt lgkmcnt(3)
	ds_write_b64 v4, v[0:1]
	; wave barrier
	s_waitcnt lgkmcnt(1)
	v_cmp_lt_i64_e32 vcc_lo, v[12:13], v[10:11]
	s_or_b32 s0, s0, vcc_lo
	s_and_b32 vcc_lo, s1, s0
	s_mov_b32 s0, exec_lo
	v_cndmask_b32_e32 v2, v2, v8, vcc_lo
	v_cndmask_b32_e32 v9, v11, v13, vcc_lo
	;; [unrolled: 1-line block ×3, first 2 shown]
	v_lshl_add_u32 v2, v2, 3, v6
	ds_read_b64 v[0:1], v2
	v_sub_nc_u32_e64 v2, v5, 8 clamp
	; wave barrier
	ds_write_b64 v4, v[8:9]
	; wave barrier
	v_cmpx_lt_u32_e64 v2, v7
	s_cbranch_execz .LBB157_16
; %bb.13:
	s_mov_b32 s1, 0
	.p2align	6
.LBB157_14:                             ; =>This Inner Loop Header: Depth=1
	v_sub_nc_u32_e32 v8, v7, v2
	v_lshrrev_b32_e32 v8, 1, v8
	v_add_nc_u32_e32 v12, v8, v2
	v_not_b32_e32 v8, v12
	v_lshl_add_u32 v9, v12, 3, v6
	v_lshl_add_u32 v10, v8, 3, v4
	ds_read_b64 v[8:9], v9
	ds_read_b64 v[10:11], v10 offset:64
	s_waitcnt lgkmcnt(0)
	v_cmp_lt_i64_e32 vcc_lo, v[10:11], v[8:9]
	v_add_nc_u32_e32 v8, 1, v12
	v_cndmask_b32_e32 v7, v7, v12, vcc_lo
	v_cndmask_b32_e32 v2, v8, v2, vcc_lo
	v_cmp_ge_i32_e32 vcc_lo, v2, v7
	s_or_b32 s1, vcc_lo, s1
	s_andn2_b32 exec_lo, exec_lo, s1
	s_cbranch_execnz .LBB157_14
; %bb.15:
	s_or_b32 exec_lo, exec_lo, s1
.LBB157_16:
	s_or_b32 exec_lo, exec_lo, s0
	v_sub_nc_u32_e32 v5, v5, v2
	v_lshl_add_u32 v7, v2, 3, v6
	v_cmp_lt_i32_e64 s0, 7, v2
	v_lshl_add_u32 v9, v5, 3, v6
	v_add_nc_u32_e32 v5, 8, v5
	ds_read_b64 v[7:8], v7
	ds_read_b64 v[9:10], v9 offset:64
	v_cmp_gt_i32_e64 s1, 16, v5
	; wave barrier
	s_waitcnt lgkmcnt(3)
	ds_write_b64 v4, v[0:1]
	; wave barrier
	s_waitcnt lgkmcnt(1)
	v_cmp_lt_i64_e32 vcc_lo, v[9:10], v[7:8]
	s_or_b32 s0, s0, vcc_lo
	s_and_b32 vcc_lo, s1, s0
	s_add_u32 s0, s2, s4
	v_cndmask_b32_e32 v2, v2, v5, vcc_lo
	v_cndmask_b32_e32 v8, v8, v10, vcc_lo
	s_addc_u32 s1, s3, s5
	v_lshl_add_u32 v2, v2, 3, v6
	ds_read_b64 v[0:1], v2
	v_cndmask_b32_e32 v2, v7, v9, vcc_lo
	s_waitcnt lgkmcnt(0)
	v_add_co_u32 v0, vcc_lo, v0, v2
	v_add_co_ci_u32_e64 v1, null, v1, v8, vcc_lo
	global_store_dwordx2 v3, v[0:1], s[0:1]
	s_endpgm
	.section	.rodata,"a",@progbits
	.p2align	6, 0x0
	.amdhsa_kernel _Z10sort_pairsILj256ELj16ELj1ExN10test_utils4lessEEvPKT2_PS2_T3_
		.amdhsa_group_segment_fixed_size 2176
		.amdhsa_private_segment_fixed_size 0
		.amdhsa_kernarg_size 20
		.amdhsa_user_sgpr_count 6
		.amdhsa_user_sgpr_private_segment_buffer 1
		.amdhsa_user_sgpr_dispatch_ptr 0
		.amdhsa_user_sgpr_queue_ptr 0
		.amdhsa_user_sgpr_kernarg_segment_ptr 1
		.amdhsa_user_sgpr_dispatch_id 0
		.amdhsa_user_sgpr_flat_scratch_init 0
		.amdhsa_user_sgpr_private_segment_size 0
		.amdhsa_wavefront_size32 1
		.amdhsa_uses_dynamic_stack 0
		.amdhsa_system_sgpr_private_segment_wavefront_offset 0
		.amdhsa_system_sgpr_workgroup_id_x 1
		.amdhsa_system_sgpr_workgroup_id_y 0
		.amdhsa_system_sgpr_workgroup_id_z 0
		.amdhsa_system_sgpr_workgroup_info 0
		.amdhsa_system_vgpr_workitem_id 0
		.amdhsa_next_free_vgpr 19
		.amdhsa_next_free_sgpr 8
		.amdhsa_reserve_vcc 1
		.amdhsa_reserve_flat_scratch 0
		.amdhsa_float_round_mode_32 0
		.amdhsa_float_round_mode_16_64 0
		.amdhsa_float_denorm_mode_32 3
		.amdhsa_float_denorm_mode_16_64 3
		.amdhsa_dx10_clamp 1
		.amdhsa_ieee_mode 1
		.amdhsa_fp16_overflow 0
		.amdhsa_workgroup_processor_mode 1
		.amdhsa_memory_ordered 1
		.amdhsa_forward_progress 1
		.amdhsa_shared_vgpr_count 0
		.amdhsa_exception_fp_ieee_invalid_op 0
		.amdhsa_exception_fp_denorm_src 0
		.amdhsa_exception_fp_ieee_div_zero 0
		.amdhsa_exception_fp_ieee_overflow 0
		.amdhsa_exception_fp_ieee_underflow 0
		.amdhsa_exception_fp_ieee_inexact 0
		.amdhsa_exception_int_div_zero 0
	.end_amdhsa_kernel
	.section	.text._Z10sort_pairsILj256ELj16ELj1ExN10test_utils4lessEEvPKT2_PS2_T3_,"axG",@progbits,_Z10sort_pairsILj256ELj16ELj1ExN10test_utils4lessEEvPKT2_PS2_T3_,comdat
.Lfunc_end157:
	.size	_Z10sort_pairsILj256ELj16ELj1ExN10test_utils4lessEEvPKT2_PS2_T3_, .Lfunc_end157-_Z10sort_pairsILj256ELj16ELj1ExN10test_utils4lessEEvPKT2_PS2_T3_
                                        ; -- End function
	.set _Z10sort_pairsILj256ELj16ELj1ExN10test_utils4lessEEvPKT2_PS2_T3_.num_vgpr, 19
	.set _Z10sort_pairsILj256ELj16ELj1ExN10test_utils4lessEEvPKT2_PS2_T3_.num_agpr, 0
	.set _Z10sort_pairsILj256ELj16ELj1ExN10test_utils4lessEEvPKT2_PS2_T3_.numbered_sgpr, 8
	.set _Z10sort_pairsILj256ELj16ELj1ExN10test_utils4lessEEvPKT2_PS2_T3_.num_named_barrier, 0
	.set _Z10sort_pairsILj256ELj16ELj1ExN10test_utils4lessEEvPKT2_PS2_T3_.private_seg_size, 0
	.set _Z10sort_pairsILj256ELj16ELj1ExN10test_utils4lessEEvPKT2_PS2_T3_.uses_vcc, 1
	.set _Z10sort_pairsILj256ELj16ELj1ExN10test_utils4lessEEvPKT2_PS2_T3_.uses_flat_scratch, 0
	.set _Z10sort_pairsILj256ELj16ELj1ExN10test_utils4lessEEvPKT2_PS2_T3_.has_dyn_sized_stack, 0
	.set _Z10sort_pairsILj256ELj16ELj1ExN10test_utils4lessEEvPKT2_PS2_T3_.has_recursion, 0
	.set _Z10sort_pairsILj256ELj16ELj1ExN10test_utils4lessEEvPKT2_PS2_T3_.has_indirect_call, 0
	.section	.AMDGPU.csdata,"",@progbits
; Kernel info:
; codeLenInByte = 1396
; TotalNumSgprs: 10
; NumVgprs: 19
; ScratchSize: 0
; MemoryBound: 0
; FloatMode: 240
; IeeeMode: 1
; LDSByteSize: 2176 bytes/workgroup (compile time only)
; SGPRBlocks: 0
; VGPRBlocks: 2
; NumSGPRsForWavesPerEU: 10
; NumVGPRsForWavesPerEU: 19
; Occupancy: 16
; WaveLimiterHint : 0
; COMPUTE_PGM_RSRC2:SCRATCH_EN: 0
; COMPUTE_PGM_RSRC2:USER_SGPR: 6
; COMPUTE_PGM_RSRC2:TRAP_HANDLER: 0
; COMPUTE_PGM_RSRC2:TGID_X_EN: 1
; COMPUTE_PGM_RSRC2:TGID_Y_EN: 0
; COMPUTE_PGM_RSRC2:TGID_Z_EN: 0
; COMPUTE_PGM_RSRC2:TIDIG_COMP_CNT: 0
	.section	.text._Z19sort_keys_segmentedILj256ELj16ELj1ExN10test_utils4lessEEvPKT2_PS2_PKjT3_,"axG",@progbits,_Z19sort_keys_segmentedILj256ELj16ELj1ExN10test_utils4lessEEvPKT2_PS2_PKjT3_,comdat
	.protected	_Z19sort_keys_segmentedILj256ELj16ELj1ExN10test_utils4lessEEvPKT2_PS2_PKjT3_ ; -- Begin function _Z19sort_keys_segmentedILj256ELj16ELj1ExN10test_utils4lessEEvPKT2_PS2_PKjT3_
	.globl	_Z19sort_keys_segmentedILj256ELj16ELj1ExN10test_utils4lessEEvPKT2_PS2_PKjT3_
	.p2align	8
	.type	_Z19sort_keys_segmentedILj256ELj16ELj1ExN10test_utils4lessEEvPKT2_PS2_PKjT3_,@function
_Z19sort_keys_segmentedILj256ELj16ELj1ExN10test_utils4lessEEvPKT2_PS2_PKjT3_: ; @_Z19sort_keys_segmentedILj256ELj16ELj1ExN10test_utils4lessEEvPKT2_PS2_PKjT3_
; %bb.0:
	s_load_dwordx2 s[0:1], s[4:5], 0x10
	v_lshrrev_b32_e32 v10, 4, v0
	v_mov_b32_e32 v1, 0
	v_mbcnt_lo_u32_b32 v9, -1, 0
	v_lshl_or_b32 v0, s6, 4, v10
	s_load_dwordx4 s[4:7], s[4:5], 0x0
	v_and_b32_e32 v7, 15, v9
	v_lshlrev_b64 v[2:3], 2, v[0:1]
	v_lshlrev_b32_e32 v0, 4, v0
	s_waitcnt lgkmcnt(0)
	v_add_co_u32 v2, vcc_lo, s0, v2
	v_add_co_ci_u32_e64 v3, null, s1, v3, vcc_lo
	global_load_dword v6, v[2:3], off
	s_waitcnt vmcnt(0)
	v_cmp_ge_u32_e64 s0, v7, v6
	v_cmp_lt_u32_e32 vcc_lo, v7, v6
	s_and_saveexec_b32 s1, s0
	s_xor_b32 s0, exec_lo, s1
	s_or_saveexec_b32 s1, s0
	v_lshlrev_b64 v[0:1], 3, v[0:1]
                                        ; implicit-def: $vgpr2_vgpr3
	s_xor_b32 exec_lo, exec_lo, s1
	s_cbranch_execz .LBB158_2
; %bb.1:
	v_lshlrev_b32_e32 v2, 3, v7
	v_add_co_u32 v3, s0, s4, v0
	v_add_co_ci_u32_e64 v4, null, s5, v1, s0
	v_add_co_u32 v2, s0, v3, v2
	v_add_co_ci_u32_e64 v3, null, 0, v4, s0
	global_load_dwordx2 v[2:3], v[2:3], off
.LBB158_2:
	s_or_b32 exec_lo, exec_lo, s1
	v_and_b32_e32 v4, 14, v9
	v_and_b32_e32 v5, 1, v9
	s_mov_b32 s2, 0
	s_mov_b32 s1, exec_lo
	v_min_i32_e32 v13, v6, v4
	v_min_i32_e32 v15, v6, v5
	v_mul_u32_u24_e32 v5, 0x88, v10
	; wave barrier
	v_add_nc_u32_e32 v4, 1, v13
	v_lshlrev_b32_e32 v17, 3, v13
	v_min_i32_e32 v12, v6, v4
	v_add_nc_u32_e32 v4, 1, v12
	v_sub_nc_u32_e32 v16, v12, v13
	v_min_i32_e32 v11, v6, v4
	v_lshlrev_b32_e32 v4, 3, v7
	v_min_i32_e32 v16, v15, v16
	v_sub_nc_u32_e32 v8, v11, v12
	v_sub_nc_u32_e32 v14, v15, v8
	v_cmp_ge_i32_e64 s0, v15, v8
	v_mad_u32_u24 v8, 0x88, v10, v4
	v_mad_u32_u24 v10, 0x88, v10, v17
	v_cndmask_b32_e64 v14, 0, v14, s0
	s_waitcnt vmcnt(0)
	ds_write_b64 v8, v[2:3]
	; wave barrier
	v_cmpx_lt_i32_e64 v14, v16
	s_cbranch_execz .LBB158_6
; %bb.3:
	v_lshlrev_b32_e32 v2, 3, v12
	v_lshlrev_b32_e32 v3, 3, v15
	v_add3_u32 v2, v5, v2, v3
	.p2align	6
.LBB158_4:                              ; =>This Inner Loop Header: Depth=1
	v_sub_nc_u32_e32 v3, v16, v14
	v_lshrrev_b32_e32 v3, 1, v3
	v_add_nc_u32_e32 v3, v3, v14
	v_not_b32_e32 v17, v3
	v_lshl_add_u32 v18, v3, 3, v10
	v_lshl_add_u32 v19, v17, 3, v2
	ds_read_b64 v[17:18], v18
	ds_read_b64 v[19:20], v19
	s_waitcnt lgkmcnt(0)
	v_cmp_lt_i64_e64 s0, v[19:20], v[17:18]
	v_add_nc_u32_e32 v17, 1, v3
	v_cndmask_b32_e64 v16, v16, v3, s0
	v_cndmask_b32_e64 v14, v17, v14, s0
	v_cmp_ge_i32_e64 s0, v14, v16
	s_or_b32 s2, s0, s2
	s_andn2_b32 exec_lo, exec_lo, s2
	s_cbranch_execnz .LBB158_4
; %bb.5:
	s_or_b32 exec_lo, exec_lo, s2
.LBB158_6:
	s_or_b32 exec_lo, exec_lo, s1
	v_add_nc_u32_e32 v2, v12, v15
	v_and_b32_e32 v3, 12, v9
	v_add_nc_u32_e32 v13, v14, v13
	s_mov_b32 s3, 0
	v_sub_nc_u32_e32 v19, v2, v14
	v_lshl_add_u32 v2, v14, 3, v10
	v_min_i32_e32 v3, v6, v3
	v_cmp_le_i32_e64 s1, v12, v13
	v_lshl_add_u32 v10, v19, 3, v5
	v_cmp_gt_i32_e64 s2, v11, v19
	v_add_nc_u32_e32 v20, 2, v3
	ds_read_b64 v[15:16], v2
	ds_read_b64 v[17:18], v10
	; wave barrier
	v_min_i32_e32 v10, v6, v20
	v_and_b32_e32 v20, 3, v9
	v_add_nc_u32_e32 v2, 2, v10
	v_min_i32_e32 v14, v6, v20
	v_sub_nc_u32_e32 v21, v10, v3
	v_min_i32_e32 v2, v6, v2
	v_min_i32_e32 v11, v14, v21
	v_sub_nc_u32_e32 v20, v2, v10
	s_waitcnt lgkmcnt(0)
	v_cmp_lt_i64_e64 s0, v[17:18], v[15:16]
	v_sub_nc_u32_e32 v12, v14, v20
	s_or_b32 s1, s1, s0
	v_cmp_ge_i32_e64 s0, v14, v20
	v_cndmask_b32_e64 v13, 0, v12, s0
	s_and_b32 s0, s2, s1
	v_lshl_add_u32 v12, v3, 3, v5
	v_cndmask_b32_e64 v16, v16, v18, s0
	v_cndmask_b32_e64 v15, v15, v17, s0
	s_mov_b32 s1, exec_lo
	ds_write_b64 v8, v[15:16]
	; wave barrier
	v_cmpx_lt_i32_e64 v13, v11
	s_cbranch_execz .LBB158_10
; %bb.7:
	v_lshlrev_b32_e32 v15, 3, v10
	v_lshlrev_b32_e32 v16, 3, v14
	v_add3_u32 v15, v5, v15, v16
	.p2align	6
.LBB158_8:                              ; =>This Inner Loop Header: Depth=1
	v_sub_nc_u32_e32 v16, v11, v13
	v_lshrrev_b32_e32 v16, 1, v16
	v_add_nc_u32_e32 v20, v16, v13
	v_not_b32_e32 v16, v20
	v_lshl_add_u32 v17, v20, 3, v12
	v_lshl_add_u32 v18, v16, 3, v15
	ds_read_b64 v[16:17], v17
	ds_read_b64 v[18:19], v18
	s_waitcnt lgkmcnt(0)
	v_cmp_lt_i64_e64 s0, v[18:19], v[16:17]
	v_add_nc_u32_e32 v16, 1, v20
	v_cndmask_b32_e64 v11, v11, v20, s0
	v_cndmask_b32_e64 v13, v16, v13, s0
	v_cmp_ge_i32_e64 s0, v13, v11
	s_or_b32 s3, s0, s3
	s_andn2_b32 exec_lo, exec_lo, s3
	s_cbranch_execnz .LBB158_8
; %bb.9:
	s_or_b32 exec_lo, exec_lo, s3
.LBB158_10:
	s_or_b32 exec_lo, exec_lo, s1
	v_add_nc_u32_e32 v11, v10, v14
	v_and_b32_e32 v14, 8, v9
	v_lshl_add_u32 v12, v13, 3, v12
	v_add_nc_u32_e32 v3, v13, v3
	s_mov_b32 s3, 0
	v_sub_nc_u32_e32 v19, v11, v13
	v_min_i32_e32 v11, v6, v14
	v_cmp_le_i32_e64 s1, v10, v3
	v_lshl_add_u32 v14, v19, 3, v5
	v_add_nc_u32_e32 v20, 4, v11
	v_cmp_gt_i32_e64 s2, v2, v19
	ds_read_b64 v[15:16], v12
	ds_read_b64 v[17:18], v14
	v_min_i32_e32 v12, v6, v20
	v_and_b32_e32 v20, 7, v9
	; wave barrier
	v_add_nc_u32_e32 v14, 4, v12
	v_min_i32_e32 v9, v6, v14
	v_min_i32_e32 v14, v6, v20
	v_sub_nc_u32_e32 v20, v12, v11
	v_sub_nc_u32_e32 v13, v9, v12
	v_min_i32_e32 v2, v14, v20
	s_waitcnt lgkmcnt(0)
	v_cmp_lt_i64_e64 s0, v[17:18], v[15:16]
	v_sub_nc_u32_e32 v3, v14, v13
	s_or_b32 s1, s1, s0
	v_cmp_ge_i32_e64 s0, v14, v13
	v_cndmask_b32_e64 v13, 0, v3, s0
	s_and_b32 s0, s2, s1
	v_lshl_add_u32 v3, v11, 3, v5
	v_cndmask_b32_e64 v16, v16, v18, s0
	v_cndmask_b32_e64 v15, v15, v17, s0
	s_mov_b32 s1, exec_lo
	ds_write_b64 v8, v[15:16]
	; wave barrier
	v_cmpx_lt_i32_e64 v13, v2
	s_cbranch_execz .LBB158_14
; %bb.11:
	v_lshlrev_b32_e32 v10, 3, v12
	v_lshlrev_b32_e32 v15, 3, v14
	v_add3_u32 v10, v5, v10, v15
	.p2align	6
.LBB158_12:                             ; =>This Inner Loop Header: Depth=1
	v_sub_nc_u32_e32 v15, v2, v13
	v_lshrrev_b32_e32 v15, 1, v15
	v_add_nc_u32_e32 v19, v15, v13
	v_not_b32_e32 v15, v19
	v_lshl_add_u32 v16, v19, 3, v3
	v_lshl_add_u32 v17, v15, 3, v10
	ds_read_b64 v[15:16], v16
	ds_read_b64 v[17:18], v17
	s_waitcnt lgkmcnt(0)
	v_cmp_lt_i64_e64 s0, v[17:18], v[15:16]
	v_add_nc_u32_e32 v15, 1, v19
	v_cndmask_b32_e64 v2, v2, v19, s0
	v_cndmask_b32_e64 v13, v15, v13, s0
	v_cmp_ge_i32_e64 s0, v13, v2
	s_or_b32 s3, s0, s3
	s_andn2_b32 exec_lo, exec_lo, s3
	s_cbranch_execnz .LBB158_12
; %bb.13:
	s_or_b32 exec_lo, exec_lo, s3
.LBB158_14:
	s_or_b32 exec_lo, exec_lo, s1
	v_add_nc_u32_e32 v2, v12, v14
	v_lshl_add_u32 v3, v13, 3, v3
	v_add_nc_u32_e32 v11, v13, v11
	s_mov_b32 s3, 0
	v_sub_nc_u32_e32 v18, v2, v13
	v_min_i32_e32 v2, 0, v6
	v_cmp_le_i32_e64 s1, v12, v11
	v_lshl_add_u32 v10, v18, 3, v5
	v_add_nc_u32_e32 v19, 8, v2
	v_cmp_gt_i32_e64 s2, v9, v18
	v_lshl_add_u32 v9, v2, 3, v5
	ds_read_b64 v[14:15], v3
	ds_read_b64 v[16:17], v10
	v_min_i32_e32 v10, v6, v19
	; wave barrier
	v_add_nc_u32_e32 v3, 8, v10
	v_sub_nc_u32_e32 v13, v10, v2
	v_min_i32_e32 v3, v6, v3
	v_min_i32_e32 v6, v6, v7
	v_sub_nc_u32_e32 v7, v3, v10
	v_min_i32_e32 v11, v6, v13
	s_waitcnt lgkmcnt(0)
	v_cmp_lt_i64_e64 s0, v[16:17], v[14:15]
	v_sub_nc_u32_e32 v12, v6, v7
	s_or_b32 s1, s1, s0
	v_cmp_ge_i32_e64 s0, v6, v7
	v_cndmask_b32_e64 v7, 0, v12, s0
	s_and_b32 s0, s2, s1
	s_mov_b32 s1, exec_lo
	v_cndmask_b32_e64 v13, v15, v17, s0
	v_cndmask_b32_e64 v12, v14, v16, s0
	ds_write_b64 v8, v[12:13]
	; wave barrier
	v_cmpx_lt_i32_e64 v7, v11
	s_cbranch_execnz .LBB158_17
; %bb.15:
	s_or_b32 exec_lo, exec_lo, s1
	s_and_saveexec_b32 s0, vcc_lo
	s_cbranch_execnz .LBB158_20
.LBB158_16:
	s_endpgm
.LBB158_17:
	v_lshlrev_b32_e32 v8, 3, v10
	v_lshlrev_b32_e32 v12, 3, v6
	v_add3_u32 v8, v5, v8, v12
	.p2align	6
.LBB158_18:                             ; =>This Inner Loop Header: Depth=1
	v_sub_nc_u32_e32 v12, v11, v7
	v_lshrrev_b32_e32 v12, 1, v12
	v_add_nc_u32_e32 v16, v12, v7
	v_not_b32_e32 v12, v16
	v_lshl_add_u32 v13, v16, 3, v9
	v_lshl_add_u32 v14, v12, 3, v8
	ds_read_b64 v[12:13], v13
	ds_read_b64 v[14:15], v14
	s_waitcnt lgkmcnt(0)
	v_cmp_lt_i64_e64 s0, v[14:15], v[12:13]
	v_add_nc_u32_e32 v12, 1, v16
	v_cndmask_b32_e64 v11, v11, v16, s0
	v_cndmask_b32_e64 v7, v12, v7, s0
	v_cmp_ge_i32_e64 s0, v7, v11
	s_or_b32 s3, s0, s3
	s_andn2_b32 exec_lo, exec_lo, s3
	s_cbranch_execnz .LBB158_18
; %bb.19:
	s_or_b32 exec_lo, exec_lo, s3
	s_or_b32 exec_lo, exec_lo, s1
	s_and_saveexec_b32 s0, vcc_lo
	s_cbranch_execz .LBB158_16
.LBB158_20:
	v_add_nc_u32_e32 v6, v10, v6
	v_lshl_add_u32 v8, v7, 3, v9
	v_add_nc_u32_e32 v2, v7, v2
	v_add_co_u32 v0, s1, s6, v0
	v_sub_nc_u32_e32 v11, v6, v7
	v_add_co_ci_u32_e64 v1, null, s7, v1, s1
	v_cmp_le_i32_e32 vcc_lo, v10, v2
	v_lshl_add_u32 v5, v11, 3, v5
	v_cmp_gt_i32_e64 s1, v3, v11
	ds_read_b64 v[5:6], v5
	ds_read_b64 v[8:9], v8
	s_waitcnt lgkmcnt(0)
	v_cmp_lt_i64_e64 s0, v[5:6], v[8:9]
	s_or_b32 s0, vcc_lo, s0
	v_add_co_u32 v0, vcc_lo, v0, v4
	v_add_co_ci_u32_e64 v1, null, 0, v1, vcc_lo
	s_and_b32 vcc_lo, s1, s0
	v_cndmask_b32_e32 v3, v9, v6, vcc_lo
	v_cndmask_b32_e32 v2, v8, v5, vcc_lo
	global_store_dwordx2 v[0:1], v[2:3], off
	s_endpgm
	.section	.rodata,"a",@progbits
	.p2align	6, 0x0
	.amdhsa_kernel _Z19sort_keys_segmentedILj256ELj16ELj1ExN10test_utils4lessEEvPKT2_PS2_PKjT3_
		.amdhsa_group_segment_fixed_size 2176
		.amdhsa_private_segment_fixed_size 0
		.amdhsa_kernarg_size 28
		.amdhsa_user_sgpr_count 6
		.amdhsa_user_sgpr_private_segment_buffer 1
		.amdhsa_user_sgpr_dispatch_ptr 0
		.amdhsa_user_sgpr_queue_ptr 0
		.amdhsa_user_sgpr_kernarg_segment_ptr 1
		.amdhsa_user_sgpr_dispatch_id 0
		.amdhsa_user_sgpr_flat_scratch_init 0
		.amdhsa_user_sgpr_private_segment_size 0
		.amdhsa_wavefront_size32 1
		.amdhsa_uses_dynamic_stack 0
		.amdhsa_system_sgpr_private_segment_wavefront_offset 0
		.amdhsa_system_sgpr_workgroup_id_x 1
		.amdhsa_system_sgpr_workgroup_id_y 0
		.amdhsa_system_sgpr_workgroup_id_z 0
		.amdhsa_system_sgpr_workgroup_info 0
		.amdhsa_system_vgpr_workitem_id 0
		.amdhsa_next_free_vgpr 22
		.amdhsa_next_free_sgpr 8
		.amdhsa_reserve_vcc 1
		.amdhsa_reserve_flat_scratch 0
		.amdhsa_float_round_mode_32 0
		.amdhsa_float_round_mode_16_64 0
		.amdhsa_float_denorm_mode_32 3
		.amdhsa_float_denorm_mode_16_64 3
		.amdhsa_dx10_clamp 1
		.amdhsa_ieee_mode 1
		.amdhsa_fp16_overflow 0
		.amdhsa_workgroup_processor_mode 1
		.amdhsa_memory_ordered 1
		.amdhsa_forward_progress 1
		.amdhsa_shared_vgpr_count 0
		.amdhsa_exception_fp_ieee_invalid_op 0
		.amdhsa_exception_fp_denorm_src 0
		.amdhsa_exception_fp_ieee_div_zero 0
		.amdhsa_exception_fp_ieee_overflow 0
		.amdhsa_exception_fp_ieee_underflow 0
		.amdhsa_exception_fp_ieee_inexact 0
		.amdhsa_exception_int_div_zero 0
	.end_amdhsa_kernel
	.section	.text._Z19sort_keys_segmentedILj256ELj16ELj1ExN10test_utils4lessEEvPKT2_PS2_PKjT3_,"axG",@progbits,_Z19sort_keys_segmentedILj256ELj16ELj1ExN10test_utils4lessEEvPKT2_PS2_PKjT3_,comdat
.Lfunc_end158:
	.size	_Z19sort_keys_segmentedILj256ELj16ELj1ExN10test_utils4lessEEvPKT2_PS2_PKjT3_, .Lfunc_end158-_Z19sort_keys_segmentedILj256ELj16ELj1ExN10test_utils4lessEEvPKT2_PS2_PKjT3_
                                        ; -- End function
	.set _Z19sort_keys_segmentedILj256ELj16ELj1ExN10test_utils4lessEEvPKT2_PS2_PKjT3_.num_vgpr, 22
	.set _Z19sort_keys_segmentedILj256ELj16ELj1ExN10test_utils4lessEEvPKT2_PS2_PKjT3_.num_agpr, 0
	.set _Z19sort_keys_segmentedILj256ELj16ELj1ExN10test_utils4lessEEvPKT2_PS2_PKjT3_.numbered_sgpr, 8
	.set _Z19sort_keys_segmentedILj256ELj16ELj1ExN10test_utils4lessEEvPKT2_PS2_PKjT3_.num_named_barrier, 0
	.set _Z19sort_keys_segmentedILj256ELj16ELj1ExN10test_utils4lessEEvPKT2_PS2_PKjT3_.private_seg_size, 0
	.set _Z19sort_keys_segmentedILj256ELj16ELj1ExN10test_utils4lessEEvPKT2_PS2_PKjT3_.uses_vcc, 1
	.set _Z19sort_keys_segmentedILj256ELj16ELj1ExN10test_utils4lessEEvPKT2_PS2_PKjT3_.uses_flat_scratch, 0
	.set _Z19sort_keys_segmentedILj256ELj16ELj1ExN10test_utils4lessEEvPKT2_PS2_PKjT3_.has_dyn_sized_stack, 0
	.set _Z19sort_keys_segmentedILj256ELj16ELj1ExN10test_utils4lessEEvPKT2_PS2_PKjT3_.has_recursion, 0
	.set _Z19sort_keys_segmentedILj256ELj16ELj1ExN10test_utils4lessEEvPKT2_PS2_PKjT3_.has_indirect_call, 0
	.section	.AMDGPU.csdata,"",@progbits
; Kernel info:
; codeLenInByte = 1652
; TotalNumSgprs: 10
; NumVgprs: 22
; ScratchSize: 0
; MemoryBound: 0
; FloatMode: 240
; IeeeMode: 1
; LDSByteSize: 2176 bytes/workgroup (compile time only)
; SGPRBlocks: 0
; VGPRBlocks: 2
; NumSGPRsForWavesPerEU: 10
; NumVGPRsForWavesPerEU: 22
; Occupancy: 16
; WaveLimiterHint : 0
; COMPUTE_PGM_RSRC2:SCRATCH_EN: 0
; COMPUTE_PGM_RSRC2:USER_SGPR: 6
; COMPUTE_PGM_RSRC2:TRAP_HANDLER: 0
; COMPUTE_PGM_RSRC2:TGID_X_EN: 1
; COMPUTE_PGM_RSRC2:TGID_Y_EN: 0
; COMPUTE_PGM_RSRC2:TGID_Z_EN: 0
; COMPUTE_PGM_RSRC2:TIDIG_COMP_CNT: 0
	.section	.text._Z20sort_pairs_segmentedILj256ELj16ELj1ExN10test_utils4lessEEvPKT2_PS2_PKjT3_,"axG",@progbits,_Z20sort_pairs_segmentedILj256ELj16ELj1ExN10test_utils4lessEEvPKT2_PS2_PKjT3_,comdat
	.protected	_Z20sort_pairs_segmentedILj256ELj16ELj1ExN10test_utils4lessEEvPKT2_PS2_PKjT3_ ; -- Begin function _Z20sort_pairs_segmentedILj256ELj16ELj1ExN10test_utils4lessEEvPKT2_PS2_PKjT3_
	.globl	_Z20sort_pairs_segmentedILj256ELj16ELj1ExN10test_utils4lessEEvPKT2_PS2_PKjT3_
	.p2align	8
	.type	_Z20sort_pairs_segmentedILj256ELj16ELj1ExN10test_utils4lessEEvPKT2_PS2_PKjT3_,@function
_Z20sort_pairs_segmentedILj256ELj16ELj1ExN10test_utils4lessEEvPKT2_PS2_PKjT3_: ; @_Z20sort_pairs_segmentedILj256ELj16ELj1ExN10test_utils4lessEEvPKT2_PS2_PKjT3_
; %bb.0:
	s_load_dwordx2 s[0:1], s[4:5], 0x10
	v_lshrrev_b32_e32 v7, 4, v0
	v_mov_b32_e32 v1, 0
	v_mbcnt_lo_u32_b32 v6, -1, 0
	v_lshl_or_b32 v0, s6, 4, v7
	s_load_dwordx4 s[4:7], s[4:5], 0x0
	v_and_b32_e32 v5, 15, v6
	v_lshlrev_b64 v[2:3], 2, v[0:1]
	v_lshlrev_b32_e32 v0, 4, v0
	s_waitcnt lgkmcnt(0)
	v_add_co_u32 v2, vcc_lo, s0, v2
	v_add_co_ci_u32_e64 v3, null, s1, v3, vcc_lo
	global_load_dword v4, v[2:3], off
	s_waitcnt vmcnt(0)
	v_cmp_ge_u32_e64 s0, v5, v4
	v_cmp_lt_u32_e32 vcc_lo, v5, v4
	s_and_saveexec_b32 s1, s0
	s_xor_b32 s0, exec_lo, s1
	s_or_saveexec_b32 s1, s0
	v_lshlrev_b64 v[0:1], 3, v[0:1]
                                        ; implicit-def: $vgpr2_vgpr3
	s_xor_b32 exec_lo, exec_lo, s1
	s_cbranch_execz .LBB159_2
; %bb.1:
	v_lshlrev_b32_e32 v2, 3, v5
	v_add_co_u32 v3, s0, s4, v0
	v_add_co_ci_u32_e64 v8, null, s5, v1, s0
	v_add_co_u32 v2, s0, v3, v2
	v_add_co_ci_u32_e64 v3, null, 0, v8, s0
	global_load_dwordx2 v[2:3], v[2:3], off
.LBB159_2:
	s_or_b32 exec_lo, exec_lo, s1
	v_and_b32_e32 v8, 14, v6
	v_and_b32_e32 v9, 1, v6
	s_mov_b32 s2, 0
	s_mov_b32 s1, exec_lo
	v_min_i32_e32 v11, v4, v8
	v_min_i32_e32 v15, v4, v9
	v_mul_u32_u24_e32 v9, 0x88, v7
	; wave barrier
	v_add_nc_u32_e32 v8, 1, v11
	v_lshlrev_b32_e32 v17, 3, v11
	v_min_i32_e32 v12, v4, v8
	v_add_nc_u32_e32 v8, 1, v12
	v_sub_nc_u32_e32 v16, v12, v11
	v_min_i32_e32 v13, v4, v8
	v_lshlrev_b32_e32 v8, 3, v5
	v_min_i32_e32 v16, v15, v16
	v_sub_nc_u32_e32 v10, v13, v12
	v_sub_nc_u32_e32 v14, v15, v10
	v_cmp_ge_i32_e64 s0, v15, v10
	v_mad_u32_u24 v10, 0x88, v7, v8
	v_mad_u32_u24 v7, 0x88, v7, v17
	v_cndmask_b32_e64 v14, 0, v14, s0
	s_waitcnt vmcnt(0)
	ds_write_b64 v10, v[2:3]
	; wave barrier
	v_cmpx_lt_i32_e64 v14, v16
	s_cbranch_execz .LBB159_6
; %bb.3:
	v_lshlrev_b32_e32 v17, 3, v12
	v_lshlrev_b32_e32 v18, 3, v15
	v_add3_u32 v17, v9, v17, v18
	.p2align	6
.LBB159_4:                              ; =>This Inner Loop Header: Depth=1
	v_sub_nc_u32_e32 v18, v16, v14
	v_lshrrev_b32_e32 v18, 1, v18
	v_add_nc_u32_e32 v22, v18, v14
	v_not_b32_e32 v18, v22
	v_lshl_add_u32 v19, v22, 3, v7
	v_lshl_add_u32 v20, v18, 3, v17
	ds_read_b64 v[18:19], v19
	ds_read_b64 v[20:21], v20
	s_waitcnt lgkmcnt(0)
	v_cmp_lt_i64_e64 s0, v[20:21], v[18:19]
	v_add_nc_u32_e32 v18, 1, v22
	v_cndmask_b32_e64 v16, v16, v22, s0
	v_cndmask_b32_e64 v14, v18, v14, s0
	v_cmp_ge_i32_e64 s0, v14, v16
	s_or_b32 s2, s0, s2
	s_andn2_b32 exec_lo, exec_lo, s2
	s_cbranch_execnz .LBB159_4
; %bb.5:
	s_or_b32 exec_lo, exec_lo, s2
.LBB159_6:
	s_or_b32 exec_lo, exec_lo, s1
	v_add_nc_u32_e32 v15, v12, v15
	v_lshl_add_u32 v7, v14, 3, v7
	v_add_co_u32 v2, s3, v2, 1
	v_add_co_ci_u32_e64 v3, null, 0, v3, s3
	v_sub_nc_u32_e32 v19, v15, v14
	v_add_nc_u32_e32 v14, v14, v11
	v_lshl_add_u32 v17, v19, 3, v9
	v_cmp_le_i32_e64 s0, v12, v14
	v_cmp_gt_i32_e64 s1, v13, v19
	ds_read_b64 v[15:16], v7
	ds_read_b64 v[17:18], v17
	v_and_b32_e32 v7, 12, v6
	; wave barrier
	ds_write_b64 v10, v[2:3]
	v_and_b32_e32 v2, 3, v6
	v_min_i32_e32 v7, v4, v7
	; wave barrier
	v_add_nc_u32_e32 v11, 2, v7
	v_min_i32_e32 v11, v4, v11
	s_waitcnt lgkmcnt(1)
	v_cmp_lt_i64_e64 s2, v[17:18], v[15:16]
	v_add_nc_u32_e32 v12, 2, v11
	v_min_i32_e32 v13, v4, v12
	s_or_b32 s0, s0, s2
	v_min_i32_e32 v12, v4, v2
	s_and_b32 s0, s1, s0
	s_mov_b32 s2, 0
	v_cndmask_b32_e64 v14, v14, v19, s0
	v_cndmask_b32_e64 v18, v16, v18, s0
	v_sub_nc_u32_e32 v19, v11, v7
	v_cndmask_b32_e64 v17, v15, v17, s0
	v_lshl_add_u32 v15, v7, 3, v9
	v_lshl_add_u32 v3, v14, 3, v9
	v_sub_nc_u32_e32 v14, v13, v11
	ds_read_b64 v[2:3], v3
	v_sub_nc_u32_e32 v16, v12, v14
	v_cmp_ge_i32_e64 s1, v12, v14
	; wave barrier
	ds_write_b64 v10, v[17:18]
	v_cndmask_b32_e64 v14, 0, v16, s1
	v_min_i32_e32 v16, v12, v19
	s_mov_b32 s1, exec_lo
	; wave barrier
	v_cmpx_lt_i32_e64 v14, v16
	s_cbranch_execz .LBB159_10
; %bb.7:
	v_lshlrev_b32_e32 v17, 3, v11
	v_lshlrev_b32_e32 v18, 3, v12
	v_add3_u32 v17, v9, v17, v18
	.p2align	6
.LBB159_8:                              ; =>This Inner Loop Header: Depth=1
	v_sub_nc_u32_e32 v18, v16, v14
	v_lshrrev_b32_e32 v18, 1, v18
	v_add_nc_u32_e32 v22, v18, v14
	v_not_b32_e32 v18, v22
	v_lshl_add_u32 v19, v22, 3, v15
	v_lshl_add_u32 v20, v18, 3, v17
	ds_read_b64 v[18:19], v19
	ds_read_b64 v[20:21], v20
	s_waitcnt lgkmcnt(0)
	v_cmp_lt_i64_e64 s0, v[20:21], v[18:19]
	v_add_nc_u32_e32 v18, 1, v22
	v_cndmask_b32_e64 v16, v16, v22, s0
	v_cndmask_b32_e64 v14, v18, v14, s0
	v_cmp_ge_i32_e64 s0, v14, v16
	s_or_b32 s2, s0, s2
	s_andn2_b32 exec_lo, exec_lo, s2
	s_cbranch_execnz .LBB159_8
; %bb.9:
	s_or_b32 exec_lo, exec_lo, s2
.LBB159_10:
	s_or_b32 exec_lo, exec_lo, s1
	v_add_nc_u32_e32 v12, v11, v12
	v_sub_nc_u32_e32 v20, v12, v14
	v_lshl_add_u32 v12, v14, 3, v15
	v_add_nc_u32_e32 v14, v14, v7
	v_lshl_add_u32 v15, v20, 3, v9
	v_cmp_gt_i32_e64 s2, v13, v20
	v_cmp_le_i32_e64 s1, v11, v14
	ds_read_b64 v[16:17], v12
	ds_read_b64 v[18:19], v15
	v_and_b32_e32 v12, 8, v6
	; wave barrier
	s_waitcnt lgkmcnt(3)
	ds_write_b64 v10, v[2:3]
	v_and_b32_e32 v2, 7, v6
	v_min_i32_e32 v12, v4, v12
	; wave barrier
	v_add_nc_u32_e32 v7, 4, v12
	v_min_i32_e32 v7, v4, v7
	s_waitcnt lgkmcnt(1)
	v_cmp_lt_i64_e64 s0, v[18:19], v[16:17]
	v_add_nc_u32_e32 v11, 4, v7
	v_sub_nc_u32_e32 v15, v7, v12
	v_min_i32_e32 v6, v4, v11
	s_or_b32 s0, s1, s0
	v_min_i32_e32 v11, v4, v2
	s_and_b32 s0, s2, s0
	s_mov_b32 s2, 0
	v_cndmask_b32_e64 v13, v14, v20, s0
	v_cndmask_b32_e64 v17, v17, v19, s0
	v_min_i32_e32 v15, v11, v15
	v_cndmask_b32_e64 v16, v16, v18, s0
	v_lshl_add_u32 v3, v13, 3, v9
	v_sub_nc_u32_e32 v13, v6, v7
	ds_read_b64 v[2:3], v3
	v_sub_nc_u32_e32 v14, v11, v13
	v_cmp_ge_i32_e64 s1, v11, v13
	; wave barrier
	ds_write_b64 v10, v[16:17]
	v_cndmask_b32_e64 v13, 0, v14, s1
	v_lshl_add_u32 v14, v12, 3, v9
	s_mov_b32 s1, exec_lo
	; wave barrier
	v_cmpx_lt_i32_e64 v13, v15
	s_cbranch_execz .LBB159_14
; %bb.11:
	v_lshlrev_b32_e32 v16, 3, v7
	v_lshlrev_b32_e32 v17, 3, v11
	v_add3_u32 v16, v9, v16, v17
	.p2align	6
.LBB159_12:                             ; =>This Inner Loop Header: Depth=1
	v_sub_nc_u32_e32 v17, v15, v13
	v_lshrrev_b32_e32 v17, 1, v17
	v_add_nc_u32_e32 v21, v17, v13
	v_not_b32_e32 v17, v21
	v_lshl_add_u32 v18, v21, 3, v14
	v_lshl_add_u32 v19, v17, 3, v16
	ds_read_b64 v[17:18], v18
	ds_read_b64 v[19:20], v19
	s_waitcnt lgkmcnt(0)
	v_cmp_lt_i64_e64 s0, v[19:20], v[17:18]
	v_add_nc_u32_e32 v17, 1, v21
	v_cndmask_b32_e64 v15, v15, v21, s0
	v_cndmask_b32_e64 v13, v17, v13, s0
	v_cmp_ge_i32_e64 s0, v13, v15
	s_or_b32 s2, s0, s2
	s_andn2_b32 exec_lo, exec_lo, s2
	s_cbranch_execnz .LBB159_12
; %bb.13:
	s_or_b32 exec_lo, exec_lo, s2
.LBB159_14:
	s_or_b32 exec_lo, exec_lo, s1
	v_add_nc_u32_e32 v11, v7, v11
	v_sub_nc_u32_e32 v19, v11, v13
	v_lshl_add_u32 v11, v13, 3, v14
	v_add_nc_u32_e32 v13, v13, v12
	v_lshl_add_u32 v14, v19, 3, v9
	v_cmp_gt_i32_e64 s2, v6, v19
	v_cmp_le_i32_e64 s1, v7, v13
	ds_read_b64 v[15:16], v11
	ds_read_b64 v[17:18], v14
	v_min_i32_e32 v11, 0, v4
	; wave barrier
	s_waitcnt lgkmcnt(3)
	ds_write_b64 v10, v[2:3]
	v_add_nc_u32_e32 v12, 8, v11
	; wave barrier
	v_min_i32_e32 v12, v4, v12
	v_add_nc_u32_e32 v6, 8, v12
	s_waitcnt lgkmcnt(1)
	v_cmp_lt_i64_e64 s0, v[17:18], v[15:16]
	s_or_b32 s0, s1, s0
	s_and_b32 s0, s2, s0
	s_mov_b32 s2, 0
	v_cndmask_b32_e64 v7, v13, v19, s0
	v_min_i32_e32 v13, v4, v6
	v_min_i32_e32 v4, v4, v5
	v_cndmask_b32_e64 v16, v16, v18, s0
	v_cndmask_b32_e64 v15, v15, v17, s0
	v_lshl_add_u32 v2, v7, 3, v9
	v_sub_nc_u32_e32 v5, v13, v12
	v_sub_nc_u32_e32 v7, v12, v11
	ds_read_b64 v[2:3], v2
	v_sub_nc_u32_e32 v6, v4, v5
	v_cmp_ge_i32_e64 s1, v4, v5
	v_lshl_add_u32 v5, v11, 3, v9
	; wave barrier
	ds_write_b64 v10, v[15:16]
	v_cndmask_b32_e64 v14, 0, v6, s1
	v_min_i32_e32 v6, v4, v7
	s_mov_b32 s1, exec_lo
	; wave barrier
	v_cmpx_lt_i32_e64 v14, v6
	s_cbranch_execz .LBB159_18
; %bb.15:
	v_lshlrev_b32_e32 v7, 3, v12
	v_lshlrev_b32_e32 v15, 3, v4
	v_add3_u32 v7, v9, v7, v15
	.p2align	6
.LBB159_16:                             ; =>This Inner Loop Header: Depth=1
	v_sub_nc_u32_e32 v15, v6, v14
	v_lshrrev_b32_e32 v15, 1, v15
	v_add_nc_u32_e32 v19, v15, v14
	v_not_b32_e32 v15, v19
	v_lshl_add_u32 v16, v19, 3, v5
	v_lshl_add_u32 v17, v15, 3, v7
	ds_read_b64 v[15:16], v16
	ds_read_b64 v[17:18], v17
	s_waitcnt lgkmcnt(0)
	v_cmp_lt_i64_e64 s0, v[17:18], v[15:16]
	v_add_nc_u32_e32 v15, 1, v19
	v_cndmask_b32_e64 v6, v6, v19, s0
	v_cndmask_b32_e64 v14, v15, v14, s0
	v_cmp_ge_i32_e64 s0, v14, v6
	s_or_b32 s2, s0, s2
	s_andn2_b32 exec_lo, exec_lo, s2
	s_cbranch_execnz .LBB159_16
; %bb.17:
	s_or_b32 exec_lo, exec_lo, s2
.LBB159_18:
	s_or_b32 exec_lo, exec_lo, s1
	v_add_nc_u32_e32 v4, v12, v4
	v_sub_nc_u32_e32 v15, v4, v14
	v_lshl_add_u32 v4, v14, 3, v5
	v_lshl_add_u32 v6, v15, 3, v9
	ds_read_b64 v[4:5], v4
	ds_read_b64 v[6:7], v6
	; wave barrier
	s_waitcnt lgkmcnt(3)
	ds_write_b64 v10, v[2:3]
	; wave barrier
	s_and_saveexec_b32 s0, vcc_lo
	s_cbranch_execz .LBB159_20
; %bb.19:
	v_add_nc_u32_e32 v2, v14, v11
	s_waitcnt lgkmcnt(1)
	v_cmp_lt_i64_e32 vcc_lo, v[6:7], v[4:5]
	v_cmp_gt_i32_e64 s1, v13, v15
	v_cmp_le_i32_e64 s0, v12, v2
	s_or_b32 s0, s0, vcc_lo
	s_and_b32 vcc_lo, s1, s0
	v_cndmask_b32_e32 v2, v2, v15, vcc_lo
	v_cndmask_b32_e32 v4, v4, v6, vcc_lo
	v_cndmask_b32_e32 v5, v5, v7, vcc_lo
	v_add_co_u32 v6, vcc_lo, s6, v0
	v_lshl_add_u32 v2, v2, 3, v9
	v_add_co_ci_u32_e64 v7, null, s7, v1, vcc_lo
	ds_read_b64 v[2:3], v2
	s_waitcnt lgkmcnt(0)
	v_add_co_u32 v0, vcc_lo, v2, v4
	v_add_co_ci_u32_e64 v1, null, v3, v5, vcc_lo
	v_add_co_u32 v2, vcc_lo, v6, v8
	v_add_co_ci_u32_e64 v3, null, 0, v7, vcc_lo
	global_store_dwordx2 v[2:3], v[0:1], off
.LBB159_20:
	s_endpgm
	.section	.rodata,"a",@progbits
	.p2align	6, 0x0
	.amdhsa_kernel _Z20sort_pairs_segmentedILj256ELj16ELj1ExN10test_utils4lessEEvPKT2_PS2_PKjT3_
		.amdhsa_group_segment_fixed_size 2176
		.amdhsa_private_segment_fixed_size 0
		.amdhsa_kernarg_size 28
		.amdhsa_user_sgpr_count 6
		.amdhsa_user_sgpr_private_segment_buffer 1
		.amdhsa_user_sgpr_dispatch_ptr 0
		.amdhsa_user_sgpr_queue_ptr 0
		.amdhsa_user_sgpr_kernarg_segment_ptr 1
		.amdhsa_user_sgpr_dispatch_id 0
		.amdhsa_user_sgpr_flat_scratch_init 0
		.amdhsa_user_sgpr_private_segment_size 0
		.amdhsa_wavefront_size32 1
		.amdhsa_uses_dynamic_stack 0
		.amdhsa_system_sgpr_private_segment_wavefront_offset 0
		.amdhsa_system_sgpr_workgroup_id_x 1
		.amdhsa_system_sgpr_workgroup_id_y 0
		.amdhsa_system_sgpr_workgroup_id_z 0
		.amdhsa_system_sgpr_workgroup_info 0
		.amdhsa_system_vgpr_workitem_id 0
		.amdhsa_next_free_vgpr 23
		.amdhsa_next_free_sgpr 8
		.amdhsa_reserve_vcc 1
		.amdhsa_reserve_flat_scratch 0
		.amdhsa_float_round_mode_32 0
		.amdhsa_float_round_mode_16_64 0
		.amdhsa_float_denorm_mode_32 3
		.amdhsa_float_denorm_mode_16_64 3
		.amdhsa_dx10_clamp 1
		.amdhsa_ieee_mode 1
		.amdhsa_fp16_overflow 0
		.amdhsa_workgroup_processor_mode 1
		.amdhsa_memory_ordered 1
		.amdhsa_forward_progress 1
		.amdhsa_shared_vgpr_count 0
		.amdhsa_exception_fp_ieee_invalid_op 0
		.amdhsa_exception_fp_denorm_src 0
		.amdhsa_exception_fp_ieee_div_zero 0
		.amdhsa_exception_fp_ieee_overflow 0
		.amdhsa_exception_fp_ieee_underflow 0
		.amdhsa_exception_fp_ieee_inexact 0
		.amdhsa_exception_int_div_zero 0
	.end_amdhsa_kernel
	.section	.text._Z20sort_pairs_segmentedILj256ELj16ELj1ExN10test_utils4lessEEvPKT2_PS2_PKjT3_,"axG",@progbits,_Z20sort_pairs_segmentedILj256ELj16ELj1ExN10test_utils4lessEEvPKT2_PS2_PKjT3_,comdat
.Lfunc_end159:
	.size	_Z20sort_pairs_segmentedILj256ELj16ELj1ExN10test_utils4lessEEvPKT2_PS2_PKjT3_, .Lfunc_end159-_Z20sort_pairs_segmentedILj256ELj16ELj1ExN10test_utils4lessEEvPKT2_PS2_PKjT3_
                                        ; -- End function
	.set _Z20sort_pairs_segmentedILj256ELj16ELj1ExN10test_utils4lessEEvPKT2_PS2_PKjT3_.num_vgpr, 23
	.set _Z20sort_pairs_segmentedILj256ELj16ELj1ExN10test_utils4lessEEvPKT2_PS2_PKjT3_.num_agpr, 0
	.set _Z20sort_pairs_segmentedILj256ELj16ELj1ExN10test_utils4lessEEvPKT2_PS2_PKjT3_.numbered_sgpr, 8
	.set _Z20sort_pairs_segmentedILj256ELj16ELj1ExN10test_utils4lessEEvPKT2_PS2_PKjT3_.num_named_barrier, 0
	.set _Z20sort_pairs_segmentedILj256ELj16ELj1ExN10test_utils4lessEEvPKT2_PS2_PKjT3_.private_seg_size, 0
	.set _Z20sort_pairs_segmentedILj256ELj16ELj1ExN10test_utils4lessEEvPKT2_PS2_PKjT3_.uses_vcc, 1
	.set _Z20sort_pairs_segmentedILj256ELj16ELj1ExN10test_utils4lessEEvPKT2_PS2_PKjT3_.uses_flat_scratch, 0
	.set _Z20sort_pairs_segmentedILj256ELj16ELj1ExN10test_utils4lessEEvPKT2_PS2_PKjT3_.has_dyn_sized_stack, 0
	.set _Z20sort_pairs_segmentedILj256ELj16ELj1ExN10test_utils4lessEEvPKT2_PS2_PKjT3_.has_recursion, 0
	.set _Z20sort_pairs_segmentedILj256ELj16ELj1ExN10test_utils4lessEEvPKT2_PS2_PKjT3_.has_indirect_call, 0
	.section	.AMDGPU.csdata,"",@progbits
; Kernel info:
; codeLenInByte = 1832
; TotalNumSgprs: 10
; NumVgprs: 23
; ScratchSize: 0
; MemoryBound: 0
; FloatMode: 240
; IeeeMode: 1
; LDSByteSize: 2176 bytes/workgroup (compile time only)
; SGPRBlocks: 0
; VGPRBlocks: 2
; NumSGPRsForWavesPerEU: 10
; NumVGPRsForWavesPerEU: 23
; Occupancy: 16
; WaveLimiterHint : 0
; COMPUTE_PGM_RSRC2:SCRATCH_EN: 0
; COMPUTE_PGM_RSRC2:USER_SGPR: 6
; COMPUTE_PGM_RSRC2:TRAP_HANDLER: 0
; COMPUTE_PGM_RSRC2:TGID_X_EN: 1
; COMPUTE_PGM_RSRC2:TGID_Y_EN: 0
; COMPUTE_PGM_RSRC2:TGID_Z_EN: 0
; COMPUTE_PGM_RSRC2:TIDIG_COMP_CNT: 0
	.section	.text._Z9sort_keysILj256ELj16ELj4ExN10test_utils4lessEEvPKT2_PS2_T3_,"axG",@progbits,_Z9sort_keysILj256ELj16ELj4ExN10test_utils4lessEEvPKT2_PS2_T3_,comdat
	.protected	_Z9sort_keysILj256ELj16ELj4ExN10test_utils4lessEEvPKT2_PS2_T3_ ; -- Begin function _Z9sort_keysILj256ELj16ELj4ExN10test_utils4lessEEvPKT2_PS2_T3_
	.globl	_Z9sort_keysILj256ELj16ELj4ExN10test_utils4lessEEvPKT2_PS2_T3_
	.p2align	8
	.type	_Z9sort_keysILj256ELj16ELj4ExN10test_utils4lessEEvPKT2_PS2_T3_,@function
_Z9sort_keysILj256ELj16ELj4ExN10test_utils4lessEEvPKT2_PS2_T3_: ; @_Z9sort_keysILj256ELj16ELj4ExN10test_utils4lessEEvPKT2_PS2_T3_
; %bb.0:
	s_load_dwordx4 s[8:11], s[4:5], 0x0
	s_mov_b32 s3, 0
	s_lshl_b32 s2, s6, 10
	v_lshlrev_b32_e32 v1, 5, v0
	s_lshl_b64 s[4:5], s[2:3], 3
	v_lshlrev_b32_e32 v16, 2, v0
	v_mov_b32_e32 v9, 0
	s_waitcnt lgkmcnt(0)
	s_add_u32 s0, s8, s4
	s_addc_u32 s1, s9, s5
	s_clause 0x1
	global_load_dwordx4 v[10:13], v1, s[0:1]
	global_load_dwordx4 v[22:25], v1, s[0:1] offset:16
	v_mbcnt_lo_u32_b32 v1, -1, 0
	; wave barrier
	v_lshlrev_b32_e32 v20, 2, v1
	v_lshrrev_b32_e32 v1, 4, v0
	v_and_b32_e32 v8, 56, v20
	v_and_b32_e32 v18, 60, v20
	;; [unrolled: 1-line block ×3, first 2 shown]
	v_or_b32_e32 v21, 4, v8
	v_lshlrev_b32_e32 v2, 3, v18
	v_lshlrev_b32_e32 v3, 3, v8
	v_sub_nc_u32_e32 v5, v21, v8
	v_mad_u32_u24 v19, 0x208, v1, v2
	v_mad_u32_u24 v0, 0x208, v1, v3
	v_min_i32_e32 v2, v4, v5
	s_waitcnt vmcnt(1)
	v_cmp_gt_i64_e32 vcc_lo, v[12:13], v[10:11]
	s_waitcnt vmcnt(0)
	v_cmp_lt_i64_e64 s0, v[24:25], v[22:23]
	v_cmp_lt_i64_e64 s1, v[12:13], v[10:11]
	v_cndmask_b32_e32 v6, v11, v13, vcc_lo
	v_cndmask_b32_e32 v5, v10, v12, vcc_lo
	v_cmp_gt_i64_e32 vcc_lo, v[24:25], v[22:23]
	v_cndmask_b32_e64 v15, v23, v25, s0
	v_cndmask_b32_e64 v14, v22, v24, s0
	;; [unrolled: 1-line block ×5, first 2 shown]
	v_cndmask_b32_e32 v26, v23, v25, vcc_lo
	v_cndmask_b32_e64 v10, v10, v12, s1
	v_cmp_gt_i64_e64 s1, v[14:15], v[5:6]
	v_cmp_lt_i64_e64 s2, v[14:15], v[5:6]
	v_cndmask_b32_e64 v12, v25, v23, s0
	v_cndmask_b32_e32 v25, v22, v24, vcc_lo
	v_cndmask_b32_e64 v7, v24, v22, s0
	v_cmp_lt_i64_e32 vcc_lo, v[14:15], v[10:11]
	v_cndmask_b32_e64 v24, v5, v14, s1
	v_cndmask_b32_e64 v27, v6, v15, s1
	v_cmp_gt_i64_e64 s0, v[5:6], v[25:26]
	v_cndmask_b32_e64 v22, v6, v15, s2
	v_cndmask_b32_e64 v29, v5, v14, s2
	;; [unrolled: 1-line block ×5, first 2 shown]
	v_cndmask_b32_e32 v6, v11, v22, vcc_lo
	v_cndmask_b32_e64 v12, v12, v27, s0
	v_cndmask_b32_e32 v23, v22, v11, vcc_lo
	v_cndmask_b32_e32 v22, v29, v10, vcc_lo
	v_cndmask_b32_e64 v28, v27, v26, s0
	v_cndmask_b32_e64 v27, v24, v25, s0
	;; [unrolled: 1-line block ×4, first 2 shown]
	v_cndmask_b32_e32 v15, v15, v11, vcc_lo
	v_cndmask_b32_e32 v3, v3, v10, vcc_lo
	v_cmp_lt_i64_e64 s1, v[27:28], v[22:23]
	v_cndmask_b32_e32 v5, v10, v29, vcc_lo
	v_cndmask_b32_e64 v10, v30, v25, s0
	v_cndmask_b32_e64 v11, v7, v24, s0
	s_mov_b32 s0, exec_lo
	v_cndmask_b32_e64 v14, v13, v23, s1
	v_cndmask_b32_e64 v24, v15, v28, s1
	;; [unrolled: 1-line block ×4, first 2 shown]
	ds_write2_b64 v19, v[5:6], v[23:24] offset1:1
	ds_write2_b64 v19, v[13:14], v[11:12] offset0:2 offset1:3
	; wave barrier
	v_cmpx_lt_i32_e32 0, v2
	s_cbranch_execz .LBB160_4
; %bb.1:
	v_lshl_add_u32 v3, v4, 3, v0
	v_mov_b32_e32 v9, 0
	.p2align	6
.LBB160_2:                              ; =>This Inner Loop Header: Depth=1
	v_sub_nc_u32_e32 v5, v2, v9
	v_lshrrev_b32_e32 v5, 1, v5
	v_add_nc_u32_e32 v7, v5, v9
	v_not_b32_e32 v5, v7
	v_lshl_add_u32 v6, v7, 3, v0
	v_lshl_add_u32 v10, v5, 3, v3
	ds_read_b64 v[5:6], v6
	ds_read_b64 v[10:11], v10 offset:32
	s_waitcnt lgkmcnt(0)
	v_cmp_lt_i64_e32 vcc_lo, v[10:11], v[5:6]
	v_add_nc_u32_e32 v5, 1, v7
	v_cndmask_b32_e32 v2, v2, v7, vcc_lo
	v_cndmask_b32_e32 v9, v5, v9, vcc_lo
	v_cmp_ge_i32_e32 vcc_lo, v9, v2
	s_or_b32 s3, vcc_lo, s3
	s_andn2_b32 exec_lo, exec_lo, s3
	s_cbranch_execnz .LBB160_2
; %bb.3:
	s_or_b32 exec_lo, exec_lo, s3
.LBB160_4:
	s_or_b32 exec_lo, exec_lo, s0
	v_mul_u32_u24_e32 v17, 0x208, v1
	v_add_nc_u32_e32 v1, v8, v4
	v_lshl_add_u32 v6, v9, 3, v0
	v_add_nc_u32_e32 v4, v21, v4
	v_add_nc_u32_e32 v22, 8, v8
	v_cmp_lt_i32_e64 s0, 3, v9
	v_sub_nc_u32_e32 v1, v1, v9
	v_sub_nc_u32_e32 v10, v4, v9
                                        ; implicit-def: $vgpr4_vgpr5
	v_lshl_add_u32 v11, v1, 3, v17
	ds_read_b64 v[0:1], v6
	ds_read_b64 v[2:3], v11 offset:32
	v_cmp_gt_i32_e64 s1, v22, v10
	s_waitcnt lgkmcnt(0)
	v_cmp_lt_i64_e32 vcc_lo, v[2:3], v[0:1]
	s_or_b32 s0, s0, vcc_lo
	s_and_b32 vcc_lo, s1, s0
	s_xor_b32 s0, vcc_lo, -1
	s_and_saveexec_b32 s1, s0
	s_xor_b32 s0, exec_lo, s1
; %bb.5:
	ds_read_b64 v[4:5], v6 offset:8
                                        ; implicit-def: $vgpr11
; %bb.6:
	s_or_saveexec_b32 s0, s0
	v_mov_b32_e32 v7, v3
	v_mov_b32_e32 v6, v2
	s_xor_b32 exec_lo, exec_lo, s0
	s_cbranch_execz .LBB160_8
; %bb.7:
	ds_read_b64 v[6:7], v11 offset:40
	s_waitcnt lgkmcnt(1)
	v_mov_b32_e32 v5, v1
	v_mov_b32_e32 v4, v0
.LBB160_8:
	s_or_b32 exec_lo, exec_lo, s0
	v_add_nc_u32_e32 v8, v9, v8
	v_add_nc_u32_e32 v11, 1, v10
	s_waitcnt lgkmcnt(0)
	v_cmp_lt_i64_e64 s0, v[6:7], v[4:5]
	v_add_nc_u32_e32 v9, 1, v8
	v_cndmask_b32_e32 v9, v9, v8, vcc_lo
	v_cndmask_b32_e32 v8, v10, v11, vcc_lo
                                        ; implicit-def: $vgpr10_vgpr11
	v_cmp_ge_i32_e64 s1, v9, v21
	v_cmp_lt_i32_e64 s2, v8, v22
	s_or_b32 s0, s1, s0
	s_and_b32 s0, s2, s0
	s_xor_b32 s1, s0, -1
	s_and_saveexec_b32 s2, s1
	s_xor_b32 s1, exec_lo, s2
; %bb.9:
	v_lshl_add_u32 v10, v9, 3, v17
	ds_read_b64 v[10:11], v10 offset:8
; %bb.10:
	s_or_saveexec_b32 s1, s1
	v_mov_b32_e32 v15, v7
	v_mov_b32_e32 v14, v6
	s_xor_b32 exec_lo, exec_lo, s1
	s_cbranch_execz .LBB160_12
; %bb.11:
	s_waitcnt lgkmcnt(0)
	v_lshl_add_u32 v10, v8, 3, v17
	ds_read_b64 v[14:15], v10 offset:8
	v_mov_b32_e32 v11, v5
	v_mov_b32_e32 v10, v4
.LBB160_12:
	s_or_b32 exec_lo, exec_lo, s1
	v_add_nc_u32_e32 v12, 1, v9
	v_add_nc_u32_e32 v13, 1, v8
	s_waitcnt lgkmcnt(0)
	v_cmp_lt_i64_e64 s1, v[14:15], v[10:11]
	v_cndmask_b32_e64 v24, v12, v9, s0
	v_cndmask_b32_e64 v23, v8, v13, s0
                                        ; implicit-def: $vgpr8_vgpr9
	v_cmp_ge_i32_e64 s2, v24, v21
	v_cmp_lt_i32_e64 s3, v23, v22
	s_or_b32 s1, s2, s1
	s_and_b32 s1, s3, s1
	s_xor_b32 s2, s1, -1
	s_and_saveexec_b32 s3, s2
	s_xor_b32 s2, exec_lo, s3
; %bb.13:
	v_lshl_add_u32 v8, v24, 3, v17
	ds_read_b64 v[8:9], v8 offset:8
; %bb.14:
	s_or_saveexec_b32 s2, s2
	v_mov_b32_e32 v12, v14
	v_mov_b32_e32 v13, v15
	s_xor_b32 exec_lo, exec_lo, s2
	s_cbranch_execz .LBB160_16
; %bb.15:
	s_waitcnt lgkmcnt(0)
	v_lshl_add_u32 v8, v23, 3, v17
	ds_read_b64 v[12:13], v8 offset:8
	v_mov_b32_e32 v8, v10
	v_mov_b32_e32 v9, v11
.LBB160_16:
	s_or_b32 exec_lo, exec_lo, s2
	v_add_nc_u32_e32 v25, 1, v24
	v_cndmask_b32_e64 v15, v11, v15, s1
	v_add_nc_u32_e32 v11, 1, v23
	v_cndmask_b32_e64 v14, v10, v14, s1
	v_cndmask_b32_e64 v7, v5, v7, s0
	;; [unrolled: 1-line block ×3, first 2 shown]
	v_and_b32_e32 v10, 48, v20
	v_cndmask_b32_e64 v6, v4, v6, s0
	v_cndmask_b32_e64 v4, v23, v11, s1
	s_waitcnt lgkmcnt(0)
	v_cmp_lt_i64_e64 s0, v[12:13], v[8:9]
	v_cmp_ge_i32_e64 s1, v5, v21
	v_or_b32_e32 v21, 8, v10
	v_cndmask_b32_e32 v3, v1, v3, vcc_lo
	v_cmp_lt_i32_e64 s2, v4, v22
	v_and_b32_e32 v4, 12, v20
	s_or_b32 s0, s1, s0
	v_sub_nc_u32_e32 v1, v21, v10
	v_cndmask_b32_e32 v2, v0, v2, vcc_lo
	s_and_b32 vcc_lo, s2, s0
	v_lshl_add_u32 v0, v10, 3, v17
	v_cndmask_b32_e32 v13, v9, v13, vcc_lo
	v_sub_nc_u32_e64 v9, v4, 8 clamp
	v_min_i32_e32 v1, v4, v1
	v_cndmask_b32_e32 v12, v8, v12, vcc_lo
	s_mov_b32 s0, exec_lo
	; wave barrier
	ds_write2_b64 v19, v[2:3], v[6:7] offset1:1
	ds_write2_b64 v19, v[14:15], v[12:13] offset0:2 offset1:3
	; wave barrier
	v_cmpx_lt_i32_e64 v9, v1
	s_cbranch_execz .LBB160_20
; %bb.17:
	v_lshl_add_u32 v2, v4, 3, v0
	s_mov_b32 s1, 0
	.p2align	6
.LBB160_18:                             ; =>This Inner Loop Header: Depth=1
	v_sub_nc_u32_e32 v3, v1, v9
	v_lshrrev_b32_e32 v3, 1, v3
	v_add_nc_u32_e32 v3, v3, v9
	v_not_b32_e32 v5, v3
	v_lshl_add_u32 v6, v3, 3, v0
	v_lshl_add_u32 v7, v5, 3, v2
	ds_read_b64 v[5:6], v6
	ds_read_b64 v[7:8], v7 offset:64
	s_waitcnt lgkmcnt(0)
	v_cmp_lt_i64_e32 vcc_lo, v[7:8], v[5:6]
	v_add_nc_u32_e32 v5, 1, v3
	v_cndmask_b32_e32 v1, v1, v3, vcc_lo
	v_cndmask_b32_e32 v9, v5, v9, vcc_lo
	v_cmp_ge_i32_e32 vcc_lo, v9, v1
	s_or_b32 s1, vcc_lo, s1
	s_andn2_b32 exec_lo, exec_lo, s1
	s_cbranch_execnz .LBB160_18
; %bb.19:
	s_or_b32 exec_lo, exec_lo, s1
.LBB160_20:
	s_or_b32 exec_lo, exec_lo, s0
	v_add_nc_u32_e32 v1, v10, v4
	v_lshl_add_u32 v6, v9, 3, v0
	v_add_nc_u32_e32 v4, v21, v4
	v_add_nc_u32_e32 v22, 16, v10
	v_cmp_lt_i32_e64 s0, 7, v9
	v_sub_nc_u32_e32 v1, v1, v9
	v_sub_nc_u32_e32 v8, v4, v9
                                        ; implicit-def: $vgpr4_vgpr5
	v_lshl_add_u32 v11, v1, 3, v17
	ds_read_b64 v[0:1], v6
	ds_read_b64 v[2:3], v11 offset:64
	v_cmp_gt_i32_e64 s1, v22, v8
	s_waitcnt lgkmcnt(0)
	v_cmp_lt_i64_e32 vcc_lo, v[2:3], v[0:1]
	s_or_b32 s0, s0, vcc_lo
	s_and_b32 vcc_lo, s1, s0
	s_xor_b32 s0, vcc_lo, -1
	s_and_saveexec_b32 s1, s0
	s_xor_b32 s0, exec_lo, s1
; %bb.21:
	ds_read_b64 v[4:5], v6 offset:8
                                        ; implicit-def: $vgpr11
; %bb.22:
	s_or_saveexec_b32 s0, s0
	v_mov_b32_e32 v7, v3
	v_mov_b32_e32 v6, v2
	s_xor_b32 exec_lo, exec_lo, s0
	s_cbranch_execz .LBB160_24
; %bb.23:
	ds_read_b64 v[6:7], v11 offset:72
	s_waitcnt lgkmcnt(1)
	v_mov_b32_e32 v5, v1
	v_mov_b32_e32 v4, v0
.LBB160_24:
	s_or_b32 exec_lo, exec_lo, s0
	v_add_nc_u32_e32 v9, v9, v10
	v_add_nc_u32_e32 v11, 1, v8
	s_waitcnt lgkmcnt(0)
	v_cmp_lt_i64_e64 s0, v[6:7], v[4:5]
	v_add_nc_u32_e32 v10, 1, v9
	v_cndmask_b32_e32 v8, v8, v11, vcc_lo
	v_cndmask_b32_e32 v9, v10, v9, vcc_lo
	v_cmp_lt_i32_e64 s2, v8, v22
                                        ; implicit-def: $vgpr10_vgpr11
	v_cmp_ge_i32_e64 s1, v9, v21
	s_or_b32 s0, s1, s0
	s_and_b32 s0, s2, s0
	s_xor_b32 s1, s0, -1
	s_and_saveexec_b32 s2, s1
	s_xor_b32 s1, exec_lo, s2
; %bb.25:
	v_lshl_add_u32 v10, v9, 3, v17
	ds_read_b64 v[10:11], v10 offset:8
; %bb.26:
	s_or_saveexec_b32 s1, s1
	v_mov_b32_e32 v15, v7
	v_mov_b32_e32 v14, v6
	s_xor_b32 exec_lo, exec_lo, s1
	s_cbranch_execz .LBB160_28
; %bb.27:
	s_waitcnt lgkmcnt(0)
	v_lshl_add_u32 v10, v8, 3, v17
	ds_read_b64 v[14:15], v10 offset:8
	v_mov_b32_e32 v11, v5
	v_mov_b32_e32 v10, v4
.LBB160_28:
	s_or_b32 exec_lo, exec_lo, s1
	v_add_nc_u32_e32 v12, 1, v9
	v_add_nc_u32_e32 v13, 1, v8
	s_waitcnt lgkmcnt(0)
	v_cmp_lt_i64_e64 s1, v[14:15], v[10:11]
	v_cndmask_b32_e64 v24, v12, v9, s0
	v_cndmask_b32_e64 v23, v8, v13, s0
                                        ; implicit-def: $vgpr8_vgpr9
	v_cmp_ge_i32_e64 s2, v24, v21
	v_cmp_lt_i32_e64 s3, v23, v22
	s_or_b32 s1, s2, s1
	s_and_b32 s1, s3, s1
	s_xor_b32 s2, s1, -1
	s_and_saveexec_b32 s3, s2
	s_xor_b32 s2, exec_lo, s3
; %bb.29:
	v_lshl_add_u32 v8, v24, 3, v17
	ds_read_b64 v[8:9], v8 offset:8
; %bb.30:
	s_or_saveexec_b32 s2, s2
	v_mov_b32_e32 v12, v14
	v_mov_b32_e32 v13, v15
	s_xor_b32 exec_lo, exec_lo, s2
	s_cbranch_execz .LBB160_32
; %bb.31:
	s_waitcnt lgkmcnt(0)
	v_lshl_add_u32 v8, v23, 3, v17
	ds_read_b64 v[12:13], v8 offset:8
	v_mov_b32_e32 v8, v10
	v_mov_b32_e32 v9, v11
.LBB160_32:
	s_or_b32 exec_lo, exec_lo, s2
	v_add_nc_u32_e32 v25, 1, v24
	v_cndmask_b32_e64 v15, v11, v15, s1
	v_add_nc_u32_e32 v11, 1, v23
	v_cndmask_b32_e64 v14, v10, v14, s1
	v_cndmask_b32_e64 v7, v5, v7, s0
	v_cndmask_b32_e64 v5, v25, v24, s1
	v_and_b32_e32 v10, 32, v20
	v_cndmask_b32_e64 v6, v4, v6, s0
	v_cndmask_b32_e64 v4, v23, v11, s1
	s_waitcnt lgkmcnt(0)
	v_cmp_lt_i64_e64 s0, v[12:13], v[8:9]
	v_cmp_ge_i32_e64 s1, v5, v21
	v_or_b32_e32 v21, 16, v10
	v_cndmask_b32_e32 v3, v1, v3, vcc_lo
	v_cmp_lt_i32_e64 s2, v4, v22
	v_and_b32_e32 v4, 28, v20
	s_or_b32 s0, s1, s0
	v_sub_nc_u32_e32 v1, v21, v10
	v_cndmask_b32_e32 v2, v0, v2, vcc_lo
	s_and_b32 vcc_lo, s2, s0
	v_lshl_add_u32 v0, v10, 3, v17
	v_cndmask_b32_e32 v13, v9, v13, vcc_lo
	v_sub_nc_u32_e64 v9, v4, 16 clamp
	v_min_i32_e32 v1, v4, v1
	v_cndmask_b32_e32 v12, v8, v12, vcc_lo
	s_mov_b32 s0, exec_lo
	; wave barrier
	ds_write2_b64 v19, v[2:3], v[6:7] offset1:1
	ds_write2_b64 v19, v[14:15], v[12:13] offset0:2 offset1:3
	; wave barrier
	v_cmpx_lt_i32_e64 v9, v1
	s_cbranch_execz .LBB160_36
; %bb.33:
	v_lshl_add_u32 v2, v4, 3, v0
	s_mov_b32 s1, 0
	.p2align	6
.LBB160_34:                             ; =>This Inner Loop Header: Depth=1
	v_sub_nc_u32_e32 v3, v1, v9
	v_lshrrev_b32_e32 v3, 1, v3
	v_add_nc_u32_e32 v3, v3, v9
	v_not_b32_e32 v5, v3
	v_lshl_add_u32 v6, v3, 3, v0
	v_lshl_add_u32 v7, v5, 3, v2
	ds_read_b64 v[5:6], v6
	ds_read_b64 v[7:8], v7 offset:128
	s_waitcnt lgkmcnt(0)
	v_cmp_lt_i64_e32 vcc_lo, v[7:8], v[5:6]
	v_add_nc_u32_e32 v5, 1, v3
	v_cndmask_b32_e32 v1, v1, v3, vcc_lo
	v_cndmask_b32_e32 v9, v5, v9, vcc_lo
	v_cmp_ge_i32_e32 vcc_lo, v9, v1
	s_or_b32 s1, vcc_lo, s1
	s_andn2_b32 exec_lo, exec_lo, s1
	s_cbranch_execnz .LBB160_34
; %bb.35:
	s_or_b32 exec_lo, exec_lo, s1
.LBB160_36:
	s_or_b32 exec_lo, exec_lo, s0
	v_add_nc_u32_e32 v1, v10, v4
	v_lshl_add_u32 v6, v9, 3, v0
	v_add_nc_u32_e32 v4, v21, v4
	v_add_nc_u32_e32 v20, 32, v10
	v_cmp_lt_i32_e64 s0, 15, v9
	v_sub_nc_u32_e32 v1, v1, v9
	v_sub_nc_u32_e32 v8, v4, v9
                                        ; implicit-def: $vgpr4_vgpr5
	v_lshl_add_u32 v11, v1, 3, v17
	ds_read_b64 v[0:1], v6
	ds_read_b64 v[2:3], v11 offset:128
	v_cmp_gt_i32_e64 s1, v20, v8
	s_waitcnt lgkmcnt(0)
	v_cmp_lt_i64_e32 vcc_lo, v[2:3], v[0:1]
	s_or_b32 s0, s0, vcc_lo
	s_and_b32 vcc_lo, s1, s0
	s_xor_b32 s0, vcc_lo, -1
	s_and_saveexec_b32 s1, s0
	s_xor_b32 s0, exec_lo, s1
; %bb.37:
	ds_read_b64 v[4:5], v6 offset:8
                                        ; implicit-def: $vgpr11
; %bb.38:
	s_or_saveexec_b32 s0, s0
	v_mov_b32_e32 v7, v3
	v_mov_b32_e32 v6, v2
	s_xor_b32 exec_lo, exec_lo, s0
	s_cbranch_execz .LBB160_40
; %bb.39:
	ds_read_b64 v[6:7], v11 offset:136
	s_waitcnt lgkmcnt(1)
	v_mov_b32_e32 v5, v1
	v_mov_b32_e32 v4, v0
.LBB160_40:
	s_or_b32 exec_lo, exec_lo, s0
	v_add_nc_u32_e32 v9, v9, v10
	v_add_nc_u32_e32 v12, 1, v8
	s_waitcnt lgkmcnt(0)
	v_cmp_lt_i64_e64 s0, v[6:7], v[4:5]
	v_add_nc_u32_e32 v10, 1, v9
	v_cndmask_b32_e32 v11, v10, v9, vcc_lo
	v_cndmask_b32_e32 v10, v8, v12, vcc_lo
                                        ; implicit-def: $vgpr8_vgpr9
	v_cmp_ge_i32_e64 s1, v11, v21
	v_cmp_lt_i32_e64 s2, v10, v20
	s_or_b32 s0, s1, s0
	s_and_b32 s0, s2, s0
	s_xor_b32 s1, s0, -1
	s_and_saveexec_b32 s2, s1
	s_xor_b32 s1, exec_lo, s2
; %bb.41:
	v_lshl_add_u32 v8, v11, 3, v17
	ds_read_b64 v[8:9], v8 offset:8
; %bb.42:
	s_or_saveexec_b32 s1, s1
	v_mov_b32_e32 v13, v7
	v_mov_b32_e32 v12, v6
	s_xor_b32 exec_lo, exec_lo, s1
	s_cbranch_execz .LBB160_44
; %bb.43:
	s_waitcnt lgkmcnt(0)
	v_lshl_add_u32 v8, v10, 3, v17
	ds_read_b64 v[12:13], v8 offset:8
	v_mov_b32_e32 v9, v5
	v_mov_b32_e32 v8, v4
.LBB160_44:
	s_or_b32 exec_lo, exec_lo, s1
	v_add_nc_u32_e32 v14, 1, v11
	v_add_nc_u32_e32 v15, 1, v10
	s_waitcnt lgkmcnt(0)
	v_cmp_lt_i64_e64 s1, v[12:13], v[8:9]
	v_cndmask_b32_e64 v23, v14, v11, s0
	v_cndmask_b32_e64 v22, v10, v15, s0
                                        ; implicit-def: $vgpr10_vgpr11
	v_cmp_ge_i32_e64 s2, v23, v21
	v_cmp_lt_i32_e64 s3, v22, v20
	s_or_b32 s1, s2, s1
	s_and_b32 s1, s3, s1
	s_xor_b32 s2, s1, -1
	s_and_saveexec_b32 s3, s2
	s_xor_b32 s2, exec_lo, s3
; %bb.45:
	v_lshl_add_u32 v10, v23, 3, v17
	ds_read_b64 v[10:11], v10 offset:8
; %bb.46:
	s_or_saveexec_b32 s2, s2
	v_mov_b32_e32 v15, v13
	v_mov_b32_e32 v14, v12
	s_xor_b32 exec_lo, exec_lo, s2
	s_cbranch_execz .LBB160_48
; %bb.47:
	s_waitcnt lgkmcnt(0)
	v_lshl_add_u32 v10, v22, 3, v17
	ds_read_b64 v[14:15], v10 offset:8
	v_mov_b32_e32 v11, v9
	v_mov_b32_e32 v10, v8
.LBB160_48:
	s_or_b32 exec_lo, exec_lo, s2
	v_add_nc_u32_e32 v24, 1, v23
	v_add_nc_u32_e32 v25, 1, v22
	v_cndmask_b32_e64 v8, v8, v12, s1
	v_cndmask_b32_e64 v5, v5, v7, s0
	;; [unrolled: 1-line block ×5, first 2 shown]
	s_waitcnt lgkmcnt(0)
	v_cmp_lt_i64_e64 s0, v[14:15], v[10:11]
	v_cndmask_b32_e64 v9, v9, v13, s1
	v_cndmask_b32_e32 v3, v1, v3, vcc_lo
	v_cmp_ge_i32_e64 s1, v12, v21
	v_cmp_lt_i32_e64 s2, v7, v20
	v_cndmask_b32_e32 v2, v0, v2, vcc_lo
	v_sub_nc_u32_e64 v0, v18, 32 clamp
	v_min_u32_e32 v1, 32, v18
	s_or_b32 s0, s1, s0
	s_and_b32 vcc_lo, s2, s0
	s_mov_b32 s0, exec_lo
	v_cndmask_b32_e32 v7, v11, v15, vcc_lo
	v_cndmask_b32_e32 v6, v10, v14, vcc_lo
	; wave barrier
	ds_write2_b64 v19, v[2:3], v[4:5] offset1:1
	ds_write2_b64 v19, v[8:9], v[6:7] offset0:2 offset1:3
	; wave barrier
	v_cmpx_lt_u32_e64 v0, v1
	s_cbranch_execz .LBB160_52
; %bb.49:
	s_mov_b32 s1, 0
	.p2align	6
.LBB160_50:                             ; =>This Inner Loop Header: Depth=1
	v_sub_nc_u32_e32 v2, v1, v0
	v_lshrrev_b32_e32 v2, 1, v2
	v_add_nc_u32_e32 v6, v2, v0
	v_not_b32_e32 v2, v6
	v_lshl_add_u32 v3, v6, 3, v17
	v_lshl_add_u32 v4, v2, 3, v19
	ds_read_b64 v[2:3], v3
	ds_read_b64 v[4:5], v4 offset:256
	s_waitcnt lgkmcnt(0)
	v_cmp_lt_i64_e32 vcc_lo, v[4:5], v[2:3]
	v_add_nc_u32_e32 v2, 1, v6
	v_cndmask_b32_e32 v1, v1, v6, vcc_lo
	v_cndmask_b32_e32 v0, v2, v0, vcc_lo
	v_cmp_ge_i32_e32 vcc_lo, v0, v1
	s_or_b32 s1, vcc_lo, s1
	s_andn2_b32 exec_lo, exec_lo, s1
	s_cbranch_execnz .LBB160_50
; %bb.51:
	s_or_b32 exec_lo, exec_lo, s1
.LBB160_52:
	s_or_b32 exec_lo, exec_lo, s0
	v_sub_nc_u32_e32 v1, v18, v0
	v_lshl_add_u32 v8, v0, 3, v17
	v_cmp_lt_i32_e64 s0, 31, v0
                                        ; implicit-def: $vgpr6_vgpr7
	v_lshl_add_u32 v10, v1, 3, v17
	v_add_nc_u32_e32 v1, 32, v1
	ds_read_b64 v[2:3], v8
	ds_read_b64 v[4:5], v10 offset:256
	v_cmp_gt_i32_e64 s1, 64, v1
	s_waitcnt lgkmcnt(0)
	v_cmp_lt_i64_e32 vcc_lo, v[4:5], v[2:3]
	s_or_b32 s0, s0, vcc_lo
	s_and_b32 vcc_lo, s1, s0
	s_xor_b32 s0, vcc_lo, -1
	s_and_saveexec_b32 s1, s0
	s_xor_b32 s0, exec_lo, s1
; %bb.53:
	ds_read_b64 v[6:7], v8 offset:8
                                        ; implicit-def: $vgpr10
; %bb.54:
	s_or_saveexec_b32 s0, s0
	v_mov_b32_e32 v9, v5
	v_mov_b32_e32 v8, v4
	s_xor_b32 exec_lo, exec_lo, s0
	s_cbranch_execz .LBB160_56
; %bb.55:
	ds_read_b64 v[8:9], v10 offset:264
	s_waitcnt lgkmcnt(1)
	v_mov_b32_e32 v7, v3
	v_mov_b32_e32 v6, v2
.LBB160_56:
	s_or_b32 exec_lo, exec_lo, s0
	v_add_nc_u32_e32 v10, 1, v0
	v_add_nc_u32_e32 v11, 1, v1
	s_waitcnt lgkmcnt(0)
	v_cmp_lt_i64_e64 s0, v[8:9], v[6:7]
                                        ; implicit-def: $vgpr12_vgpr13
	v_cndmask_b32_e32 v14, v10, v0, vcc_lo
	v_cndmask_b32_e32 v0, v1, v11, vcc_lo
	v_cmp_lt_i32_e64 s1, 31, v14
	v_cmp_gt_i32_e64 s2, 64, v0
	s_or_b32 s0, s1, s0
	s_and_b32 s0, s2, s0
	s_xor_b32 s1, s0, -1
	s_and_saveexec_b32 s2, s1
	s_xor_b32 s1, exec_lo, s2
; %bb.57:
	v_lshl_add_u32 v1, v14, 3, v17
	ds_read_b64 v[12:13], v1 offset:8
; %bb.58:
	s_or_saveexec_b32 s1, s1
	v_mov_b32_e32 v11, v9
	v_mov_b32_e32 v10, v8
	s_xor_b32 exec_lo, exec_lo, s1
	s_cbranch_execz .LBB160_60
; %bb.59:
	v_lshl_add_u32 v1, v0, 3, v17
	s_waitcnt lgkmcnt(0)
	v_mov_b32_e32 v13, v7
	v_mov_b32_e32 v12, v6
	ds_read_b64 v[10:11], v1 offset:8
.LBB160_60:
	s_or_b32 exec_lo, exec_lo, s1
	v_add_nc_u32_e32 v1, 1, v14
	v_add_nc_u32_e32 v15, 1, v0
	s_waitcnt lgkmcnt(0)
	v_cmp_ge_i64_e64 s1, v[10:11], v[12:13]
                                        ; implicit-def: $vgpr19
	v_cndmask_b32_e64 v20, v1, v14, s0
	v_cndmask_b32_e64 v18, v0, v15, s0
                                        ; implicit-def: $vgpr14_vgpr15
	v_cmp_gt_i32_e64 s2, 32, v20
	v_cmp_lt_i32_e64 s3, 63, v18
	s_and_b32 s1, s2, s1
	s_or_b32 s1, s3, s1
	s_and_saveexec_b32 s2, s1
	s_xor_b32 s1, exec_lo, s2
; %bb.61:
	v_lshl_add_u32 v0, v20, 3, v17
	v_add_nc_u32_e32 v19, 1, v20
                                        ; implicit-def: $vgpr17
                                        ; implicit-def: $vgpr20
	ds_read_b64 v[14:15], v0 offset:8
; %bb.62:
	s_or_saveexec_b32 s1, s1
	v_mov_b32_e32 v0, v12
	v_mov_b32_e32 v1, v13
	s_xor_b32 exec_lo, exec_lo, s1
	s_cbranch_execz .LBB160_64
; %bb.63:
	v_lshl_add_u32 v0, v18, 3, v17
	s_waitcnt lgkmcnt(0)
	v_mov_b32_e32 v15, v13
	v_add_nc_u32_e32 v18, 1, v18
	v_mov_b32_e32 v19, v20
	v_mov_b32_e32 v14, v12
	ds_read_b64 v[21:22], v0 offset:8
	v_mov_b32_e32 v0, v10
	v_mov_b32_e32 v1, v11
	s_waitcnt lgkmcnt(0)
	v_mov_b32_e32 v10, v21
	v_mov_b32_e32 v11, v22
.LBB160_64:
	s_or_b32 exec_lo, exec_lo, s1
	s_waitcnt lgkmcnt(0)
	v_cmp_lt_i64_e64 s1, v[10:11], v[14:15]
	v_cmp_lt_i32_e64 s2, 31, v19
	v_cmp_gt_i32_e64 s3, 64, v18
	v_cndmask_b32_e64 v7, v7, v9, s0
	v_cndmask_b32_e64 v6, v6, v8, s0
	v_cndmask_b32_e32 v5, v3, v5, vcc_lo
	s_or_b32 s0, s2, s1
	v_cndmask_b32_e32 v4, v2, v4, vcc_lo
	s_and_b32 vcc_lo, s3, s0
	v_lshlrev_b32_e32 v8, 3, v16
	v_cndmask_b32_e32 v3, v15, v11, vcc_lo
	v_cndmask_b32_e32 v2, v14, v10, vcc_lo
	s_add_u32 s0, s10, s4
	s_addc_u32 s1, s11, s5
	global_store_dwordx4 v8, v[4:7], s[0:1]
	global_store_dwordx4 v8, v[0:3], s[0:1] offset:16
	s_endpgm
	.section	.rodata,"a",@progbits
	.p2align	6, 0x0
	.amdhsa_kernel _Z9sort_keysILj256ELj16ELj4ExN10test_utils4lessEEvPKT2_PS2_T3_
		.amdhsa_group_segment_fixed_size 8320
		.amdhsa_private_segment_fixed_size 0
		.amdhsa_kernarg_size 20
		.amdhsa_user_sgpr_count 6
		.amdhsa_user_sgpr_private_segment_buffer 1
		.amdhsa_user_sgpr_dispatch_ptr 0
		.amdhsa_user_sgpr_queue_ptr 0
		.amdhsa_user_sgpr_kernarg_segment_ptr 1
		.amdhsa_user_sgpr_dispatch_id 0
		.amdhsa_user_sgpr_flat_scratch_init 0
		.amdhsa_user_sgpr_private_segment_size 0
		.amdhsa_wavefront_size32 1
		.amdhsa_uses_dynamic_stack 0
		.amdhsa_system_sgpr_private_segment_wavefront_offset 0
		.amdhsa_system_sgpr_workgroup_id_x 1
		.amdhsa_system_sgpr_workgroup_id_y 0
		.amdhsa_system_sgpr_workgroup_id_z 0
		.amdhsa_system_sgpr_workgroup_info 0
		.amdhsa_system_vgpr_workitem_id 0
		.amdhsa_next_free_vgpr 31
		.amdhsa_next_free_sgpr 12
		.amdhsa_reserve_vcc 1
		.amdhsa_reserve_flat_scratch 0
		.amdhsa_float_round_mode_32 0
		.amdhsa_float_round_mode_16_64 0
		.amdhsa_float_denorm_mode_32 3
		.amdhsa_float_denorm_mode_16_64 3
		.amdhsa_dx10_clamp 1
		.amdhsa_ieee_mode 1
		.amdhsa_fp16_overflow 0
		.amdhsa_workgroup_processor_mode 1
		.amdhsa_memory_ordered 1
		.amdhsa_forward_progress 1
		.amdhsa_shared_vgpr_count 0
		.amdhsa_exception_fp_ieee_invalid_op 0
		.amdhsa_exception_fp_denorm_src 0
		.amdhsa_exception_fp_ieee_div_zero 0
		.amdhsa_exception_fp_ieee_overflow 0
		.amdhsa_exception_fp_ieee_underflow 0
		.amdhsa_exception_fp_ieee_inexact 0
		.amdhsa_exception_int_div_zero 0
	.end_amdhsa_kernel
	.section	.text._Z9sort_keysILj256ELj16ELj4ExN10test_utils4lessEEvPKT2_PS2_T3_,"axG",@progbits,_Z9sort_keysILj256ELj16ELj4ExN10test_utils4lessEEvPKT2_PS2_T3_,comdat
.Lfunc_end160:
	.size	_Z9sort_keysILj256ELj16ELj4ExN10test_utils4lessEEvPKT2_PS2_T3_, .Lfunc_end160-_Z9sort_keysILj256ELj16ELj4ExN10test_utils4lessEEvPKT2_PS2_T3_
                                        ; -- End function
	.set _Z9sort_keysILj256ELj16ELj4ExN10test_utils4lessEEvPKT2_PS2_T3_.num_vgpr, 31
	.set _Z9sort_keysILj256ELj16ELj4ExN10test_utils4lessEEvPKT2_PS2_T3_.num_agpr, 0
	.set _Z9sort_keysILj256ELj16ELj4ExN10test_utils4lessEEvPKT2_PS2_T3_.numbered_sgpr, 12
	.set _Z9sort_keysILj256ELj16ELj4ExN10test_utils4lessEEvPKT2_PS2_T3_.num_named_barrier, 0
	.set _Z9sort_keysILj256ELj16ELj4ExN10test_utils4lessEEvPKT2_PS2_T3_.private_seg_size, 0
	.set _Z9sort_keysILj256ELj16ELj4ExN10test_utils4lessEEvPKT2_PS2_T3_.uses_vcc, 1
	.set _Z9sort_keysILj256ELj16ELj4ExN10test_utils4lessEEvPKT2_PS2_T3_.uses_flat_scratch, 0
	.set _Z9sort_keysILj256ELj16ELj4ExN10test_utils4lessEEvPKT2_PS2_T3_.has_dyn_sized_stack, 0
	.set _Z9sort_keysILj256ELj16ELj4ExN10test_utils4lessEEvPKT2_PS2_T3_.has_recursion, 0
	.set _Z9sort_keysILj256ELj16ELj4ExN10test_utils4lessEEvPKT2_PS2_T3_.has_indirect_call, 0
	.section	.AMDGPU.csdata,"",@progbits
; Kernel info:
; codeLenInByte = 3316
; TotalNumSgprs: 14
; NumVgprs: 31
; ScratchSize: 0
; MemoryBound: 0
; FloatMode: 240
; IeeeMode: 1
; LDSByteSize: 8320 bytes/workgroup (compile time only)
; SGPRBlocks: 0
; VGPRBlocks: 3
; NumSGPRsForWavesPerEU: 14
; NumVGPRsForWavesPerEU: 31
; Occupancy: 16
; WaveLimiterHint : 0
; COMPUTE_PGM_RSRC2:SCRATCH_EN: 0
; COMPUTE_PGM_RSRC2:USER_SGPR: 6
; COMPUTE_PGM_RSRC2:TRAP_HANDLER: 0
; COMPUTE_PGM_RSRC2:TGID_X_EN: 1
; COMPUTE_PGM_RSRC2:TGID_Y_EN: 0
; COMPUTE_PGM_RSRC2:TGID_Z_EN: 0
; COMPUTE_PGM_RSRC2:TIDIG_COMP_CNT: 0
	.section	.text._Z10sort_pairsILj256ELj16ELj4ExN10test_utils4lessEEvPKT2_PS2_T3_,"axG",@progbits,_Z10sort_pairsILj256ELj16ELj4ExN10test_utils4lessEEvPKT2_PS2_T3_,comdat
	.protected	_Z10sort_pairsILj256ELj16ELj4ExN10test_utils4lessEEvPKT2_PS2_T3_ ; -- Begin function _Z10sort_pairsILj256ELj16ELj4ExN10test_utils4lessEEvPKT2_PS2_T3_
	.globl	_Z10sort_pairsILj256ELj16ELj4ExN10test_utils4lessEEvPKT2_PS2_T3_
	.p2align	8
	.type	_Z10sort_pairsILj256ELj16ELj4ExN10test_utils4lessEEvPKT2_PS2_T3_,@function
_Z10sort_pairsILj256ELj16ELj4ExN10test_utils4lessEEvPKT2_PS2_T3_: ; @_Z10sort_pairsILj256ELj16ELj4ExN10test_utils4lessEEvPKT2_PS2_T3_
; %bb.0:
	s_load_dwordx4 s[8:11], s[4:5], 0x0
	s_mov_b32 s1, 0
	s_lshl_b32 s0, s6, 10
	v_lshlrev_b32_e32 v1, 5, v0
	s_lshl_b64 s[6:7], s[0:1], 3
	s_waitcnt lgkmcnt(0)
	s_add_u32 s0, s8, s6
	s_addc_u32 s1, s9, s7
	s_clause 0x1
	global_load_dwordx4 v[17:20], v1, s[0:1] offset:16
	global_load_dwordx4 v[1:4], v1, s[0:1]
	s_mov_b32 s1, exec_lo
	s_waitcnt vmcnt(1)
	v_add_co_u32 v5, vcc_lo, v19, 1
	v_add_co_ci_u32_e64 v6, null, 0, v20, vcc_lo
	s_waitcnt vmcnt(0)
	v_cmp_lt_i64_e64 s0, v[3:4], v[1:2]
	v_add_co_u32 v23, vcc_lo, v17, 1
	v_mov_b32_e32 v22, v6
	v_mov_b32_e32 v13, v17
	;; [unrolled: 1-line block ×4, first 2 shown]
	v_add_co_ci_u32_e64 v24, null, 0, v18, vcc_lo
	v_cndmask_b32_e64 v12, v4, v2, s0
	v_mov_b32_e32 v21, v5
	v_cndmask_b32_e64 v11, v3, v1, s0
	v_cndmask_b32_e64 v10, v2, v4, s0
	;; [unrolled: 1-line block ×3, first 2 shown]
	v_mov_b32_e32 v14, v18
	v_cmpx_lt_i64_e64 v[15:16], v[17:18]
	s_cbranch_execz .LBB161_2
; %bb.1:
	v_mov_b32_e32 v7, v17
	v_mov_b32_e32 v8, v18
	;; [unrolled: 1-line block ×12, first 2 shown]
.LBB161_2:
	s_or_b32 exec_lo, exec_lo, s1
	v_add_co_u32 v25, vcc_lo, v1, 1
	v_add_co_ci_u32_e64 v26, null, 0, v2, vcc_lo
	v_add_co_u32 v27, vcc_lo, v3, 1
	v_add_co_ci_u32_e64 v28, null, 0, v4, vcc_lo
	v_mov_b32_e32 v1, v9
	v_mov_b32_e32 v2, v10
	;; [unrolled: 1-line block ×9, first 2 shown]
	v_cndmask_b32_e64 v20, v28, v26, s0
	v_cndmask_b32_e64 v19, v27, v25, s0
	v_mov_b32_e32 v14, v24
	s_mov_b32 s1, exec_lo
	v_cmpx_lt_i64_e64 v[17:18], v[11:12]
	s_xor_b32 s1, exec_lo, s1
	s_cbranch_execz .LBB161_4
; %bb.3:
	v_mov_b32_e32 v1, v9
	v_mov_b32_e32 v2, v10
	;; [unrolled: 1-line block ×20, first 2 shown]
.LBB161_4:
	s_or_b32 exec_lo, exec_lo, s1
	v_cmp_lt_i64_e32 vcc_lo, v[11:12], v[9:10]
	v_mov_b32_e32 v9, v21
	v_mov_b32_e32 v16, v6
	;; [unrolled: 1-line block ×4, first 2 shown]
	s_mov_b32 s2, exec_lo
	v_cndmask_b32_e32 v18, v4, v2, vcc_lo
	v_cndmask_b32_e32 v17, v3, v1, vcc_lo
	;; [unrolled: 1-line block ×4, first 2 shown]
	v_cmpx_lt_i64_e64 v[7:8], v[5:6]
	s_cbranch_execz .LBB161_6
; %bb.5:
	v_mov_b32_e32 v1, v5
	v_mov_b32_e32 v2, v6
	;; [unrolled: 1-line block ×12, first 2 shown]
.LBB161_6:
	s_or_b32 exec_lo, exec_lo, s2
	v_cndmask_b32_e64 v35, v26, v28, s0
	v_cndmask_b32_e64 v34, v25, v27, s0
	v_mov_b32_e32 v22, v18
	v_mov_b32_e32 v3, v13
	v_mov_b32_e32 v21, v17
	v_cndmask_b32_e32 v2, v20, v35, vcc_lo
	v_cndmask_b32_e32 v1, v19, v34, vcc_lo
	v_mov_b32_e32 v4, v14
	s_mov_b32 s1, exec_lo
	v_cmpx_lt_i64_e64 v[5:6], v[17:18]
	s_cbranch_execz .LBB161_8
; %bb.7:
	v_mov_b32_e32 v4, v2
	v_mov_b32_e32 v22, v6
	;; [unrolled: 1-line block ×8, first 2 shown]
.LBB161_8:
	s_or_b32 exec_lo, exec_lo, s1
	v_mbcnt_lo_u32_b32 v5, -1, 0
	v_lshlrev_b32_e32 v29, 2, v0
	v_lshrrev_b32_e32 v6, 4, v0
	v_mov_b32_e32 v24, 0
	v_mov_b32_e32 v17, v7
	v_lshlrev_b32_e32 v33, 2, v5
	v_mov_b32_e32 v18, v8
	s_mov_b32 s1, exec_lo
	; wave barrier
	v_and_b32_e32 v23, 56, v33
	v_and_b32_e32 v32, 60, v33
	;; [unrolled: 1-line block ×3, first 2 shown]
	v_or_b32_e32 v5, 4, v23
	v_lshlrev_b32_e32 v13, 3, v32
	v_lshlrev_b32_e32 v25, 3, v23
	v_sub_nc_u32_e32 v14, v5, v23
	v_mad_u32_u24 v30, 0x208, v6, v13
	v_mad_u32_u24 v7, 0x208, v6, v25
	ds_write2_b64 v30, v[11:12], v[21:22] offset1:1
	ds_write2_b64 v30, v[15:16], v[17:18] offset0:2 offset1:3
	v_min_i32_e32 v13, v0, v14
	; wave barrier
	v_cmpx_lt_i32_e32 0, v13
	s_cbranch_execz .LBB161_12
; %bb.9:
	v_lshl_add_u32 v8, v0, 3, v7
	v_mov_b32_e32 v24, 0
	s_mov_b32 s2, 0
	.p2align	6
.LBB161_10:                             ; =>This Inner Loop Header: Depth=1
	v_sub_nc_u32_e32 v11, v13, v24
	v_lshrrev_b32_e32 v11, 1, v11
	v_add_nc_u32_e32 v16, v11, v24
	v_not_b32_e32 v11, v16
	v_lshl_add_u32 v12, v16, 3, v7
	v_lshl_add_u32 v14, v11, 3, v8
	ds_read_b64 v[11:12], v12
	ds_read_b64 v[14:15], v14 offset:32
	s_waitcnt lgkmcnt(0)
	v_cmp_lt_i64_e64 s0, v[14:15], v[11:12]
	v_add_nc_u32_e32 v11, 1, v16
	v_cndmask_b32_e64 v13, v13, v16, s0
	v_cndmask_b32_e64 v24, v11, v24, s0
	v_cmp_ge_i32_e64 s0, v24, v13
	s_or_b32 s2, s0, s2
	s_andn2_b32 exec_lo, exec_lo, s2
	s_cbranch_execnz .LBB161_10
; %bb.11:
	s_or_b32 exec_lo, exec_lo, s2
.LBB161_12:
	s_or_b32 exec_lo, exec_lo, s1
	v_mul_u32_u24_e32 v31, 0x208, v6
	v_add_nc_u32_e32 v6, v23, v0
	v_lshl_add_u32 v8, v24, 3, v7
	v_cmp_lt_i32_e64 s1, 3, v24
                                        ; implicit-def: $vgpr15_vgpr16
	v_sub_nc_u32_e32 v6, v6, v24
	v_lshl_add_u32 v7, v6, 3, v31
	v_add_nc_u32_e32 v6, v5, v0
	v_add_nc_u32_e32 v0, 8, v23
	ds_read_b64 v[11:12], v8
	ds_read_b64 v[13:14], v7 offset:32
	v_sub_nc_u32_e32 v6, v6, v24
	v_cmp_gt_i32_e64 s2, v0, v6
	s_waitcnt lgkmcnt(0)
	v_cmp_lt_i64_e64 s0, v[13:14], v[11:12]
	s_or_b32 s0, s1, s0
	s_and_b32 s0, s2, s0
	s_xor_b32 s1, s0, -1
	s_and_saveexec_b32 s2, s1
	s_xor_b32 s1, exec_lo, s2
; %bb.13:
	ds_read_b64 v[15:16], v8 offset:8
                                        ; implicit-def: $vgpr7
; %bb.14:
	s_or_saveexec_b32 s1, s1
	v_mov_b32_e32 v18, v14
	v_mov_b32_e32 v17, v13
	s_xor_b32 exec_lo, exec_lo, s1
	s_cbranch_execz .LBB161_16
; %bb.15:
	ds_read_b64 v[17:18], v7 offset:40
	s_waitcnt lgkmcnt(1)
	v_mov_b32_e32 v16, v12
	v_mov_b32_e32 v15, v11
.LBB161_16:
	s_or_b32 exec_lo, exec_lo, s1
	v_add_nc_u32_e32 v7, v24, v23
	v_add_nc_u32_e32 v21, 1, v6
	s_waitcnt lgkmcnt(0)
	v_cmp_lt_i64_e64 s1, v[17:18], v[15:16]
	v_add_nc_u32_e32 v8, 1, v7
	v_cndmask_b32_e64 v36, v6, v21, s0
                                        ; implicit-def: $vgpr21_vgpr22
	v_cndmask_b32_e64 v8, v8, v7, s0
	v_cmp_lt_i32_e64 s3, v36, v0
	v_cmp_ge_i32_e64 s2, v8, v5
	s_or_b32 s1, s2, s1
	s_and_b32 s1, s3, s1
	s_xor_b32 s2, s1, -1
	s_and_saveexec_b32 s3, s2
	s_xor_b32 s2, exec_lo, s3
; %bb.17:
	v_lshl_add_u32 v21, v8, 3, v31
	ds_read_b64 v[21:22], v21 offset:8
; %bb.18:
	s_or_saveexec_b32 s2, s2
	v_mov_b32_e32 v24, v18
	v_mov_b32_e32 v23, v17
	s_xor_b32 exec_lo, exec_lo, s2
	s_cbranch_execz .LBB161_20
; %bb.19:
	s_waitcnt lgkmcnt(0)
	v_lshl_add_u32 v21, v36, 3, v31
	ds_read_b64 v[23:24], v21 offset:8
	v_mov_b32_e32 v22, v16
	v_mov_b32_e32 v21, v15
.LBB161_20:
	s_or_b32 exec_lo, exec_lo, s2
	v_add_nc_u32_e32 v25, 1, v8
	v_add_nc_u32_e32 v26, 1, v36
	s_waitcnt lgkmcnt(0)
	v_cmp_lt_i64_e64 s2, v[23:24], v[21:22]
	v_cndmask_b32_e64 v38, v25, v8, s1
	v_cndmask_b32_e64 v37, v36, v26, s1
                                        ; implicit-def: $vgpr25_vgpr26
	v_cmp_ge_i32_e64 s3, v38, v5
	v_cmp_lt_i32_e64 s4, v37, v0
	s_or_b32 s2, s3, s2
	s_and_b32 s2, s4, s2
	s_xor_b32 s3, s2, -1
	s_and_saveexec_b32 s4, s3
	s_xor_b32 s3, exec_lo, s4
; %bb.21:
	v_lshl_add_u32 v25, v38, 3, v31
	ds_read_b64 v[25:26], v25 offset:8
; %bb.22:
	s_or_saveexec_b32 s3, s3
	v_mov_b32_e32 v28, v24
	v_mov_b32_e32 v27, v23
	s_xor_b32 exec_lo, exec_lo, s3
	s_cbranch_execz .LBB161_24
; %bb.23:
	s_waitcnt lgkmcnt(0)
	v_lshl_add_u32 v25, v37, 3, v31
	ds_read_b64 v[27:28], v25 offset:8
	v_mov_b32_e32 v26, v22
	v_mov_b32_e32 v25, v21
.LBB161_24:
	s_or_b32 exec_lo, exec_lo, s3
	v_add_nc_u32_e32 v39, 1, v38
	v_add_nc_u32_e32 v40, 1, v37
	v_cndmask_b32_e64 v41, v38, v37, s2
	v_cndmask_b32_e64 v8, v8, v36, s1
	v_cndmask_b32_e64 v36, v7, v6, s0
	v_cndmask_b32_e64 v38, v39, v38, s2
	v_cndmask_b32_e32 v7, v35, v20, vcc_lo
	v_cndmask_b32_e64 v20, v37, v40, s2
	v_cndmask_b32_e32 v6, v34, v19, vcc_lo
	s_waitcnt lgkmcnt(0)
	v_cmp_lt_i64_e32 vcc_lo, v[27:28], v[25:26]
	v_cmp_ge_i32_e64 s3, v38, v5
	v_cmp_lt_i32_e64 s4, v20, v0
	; wave barrier
	ds_write2_b64 v30, v[6:7], v[1:2] offset1:1
	s_or_b32 s3, s3, vcc_lo
	v_lshl_add_u32 v1, v36, 3, v31
	s_and_b32 vcc_lo, s4, s3
	v_lshl_add_u32 v2, v8, 3, v31
	v_cndmask_b32_e32 v0, v38, v20, vcc_lo
	ds_write2_b64 v30, v[3:4], v[9:10] offset0:2 offset1:3
	v_lshl_add_u32 v3, v41, 3, v31
	; wave barrier
	v_lshl_add_u32 v8, v0, 3, v31
	v_and_b32_e32 v19, 48, v33
	ds_read_b64 v[4:5], v1
	ds_read_b64 v[6:7], v2
	ds_read_b64 v[0:1], v3
	ds_read_b64 v[2:3], v8
	v_cndmask_b32_e32 v28, v26, v28, vcc_lo
	v_cndmask_b32_e64 v22, v22, v24, s2
	v_cndmask_b32_e64 v24, v16, v18, s1
	v_or_b32_e32 v26, 8, v19
	v_and_b32_e32 v18, 12, v33
	v_cndmask_b32_e64 v21, v21, v23, s2
	v_cndmask_b32_e64 v23, v15, v17, s1
	;; [unrolled: 1-line block ×3, first 2 shown]
	v_sub_nc_u32_e32 v8, v26, v19
	v_cndmask_b32_e64 v11, v11, v13, s0
	v_sub_nc_u32_e64 v16, v18, 8 clamp
	v_cndmask_b32_e32 v27, v25, v27, vcc_lo
	s_mov_b32 s0, exec_lo
	v_min_i32_e32 v9, v18, v8
	v_lshl_add_u32 v8, v19, 3, v31
	; wave barrier
	ds_write2_b64 v30, v[11:12], v[23:24] offset1:1
	ds_write2_b64 v30, v[21:22], v[27:28] offset0:2 offset1:3
	; wave barrier
	v_cmpx_lt_i32_e64 v16, v9
	s_cbranch_execz .LBB161_28
; %bb.25:
	v_lshl_add_u32 v10, v18, 3, v8
	s_mov_b32 s1, 0
	.p2align	6
.LBB161_26:                             ; =>This Inner Loop Header: Depth=1
	v_sub_nc_u32_e32 v11, v9, v16
	v_lshrrev_b32_e32 v11, 1, v11
	v_add_nc_u32_e32 v15, v11, v16
	v_not_b32_e32 v11, v15
	v_lshl_add_u32 v12, v15, 3, v8
	v_lshl_add_u32 v13, v11, 3, v10
	ds_read_b64 v[11:12], v12
	ds_read_b64 v[13:14], v13 offset:64
	s_waitcnt lgkmcnt(0)
	v_cmp_lt_i64_e32 vcc_lo, v[13:14], v[11:12]
	v_add_nc_u32_e32 v11, 1, v15
	v_cndmask_b32_e32 v9, v9, v15, vcc_lo
	v_cndmask_b32_e32 v16, v11, v16, vcc_lo
	v_cmp_ge_i32_e32 vcc_lo, v16, v9
	s_or_b32 s1, vcc_lo, s1
	s_andn2_b32 exec_lo, exec_lo, s1
	s_cbranch_execnz .LBB161_26
; %bb.27:
	s_or_b32 exec_lo, exec_lo, s1
.LBB161_28:
	s_or_b32 exec_lo, exec_lo, s0
	v_add_nc_u32_e32 v9, v19, v18
	v_lshl_add_u32 v14, v16, 3, v8
	v_add_nc_u32_e32 v12, v26, v18
	v_add_nc_u32_e32 v24, 16, v19
	v_cmp_lt_i32_e64 s0, 7, v16
	v_sub_nc_u32_e32 v9, v9, v16
	v_sub_nc_u32_e32 v25, v12, v16
                                        ; implicit-def: $vgpr12_vgpr13
	v_lshl_add_u32 v17, v9, 3, v31
	ds_read_b64 v[8:9], v14
	ds_read_b64 v[10:11], v17 offset:64
	v_cmp_gt_i32_e64 s1, v24, v25
	s_waitcnt lgkmcnt(0)
	v_cmp_lt_i64_e32 vcc_lo, v[10:11], v[8:9]
	s_or_b32 s0, s0, vcc_lo
	s_and_b32 vcc_lo, s1, s0
	s_xor_b32 s0, vcc_lo, -1
	s_and_saveexec_b32 s1, s0
	s_xor_b32 s0, exec_lo, s1
; %bb.29:
	ds_read_b64 v[12:13], v14 offset:8
                                        ; implicit-def: $vgpr17
; %bb.30:
	s_or_saveexec_b32 s0, s0
	v_mov_b32_e32 v15, v11
	v_mov_b32_e32 v14, v10
	s_xor_b32 exec_lo, exec_lo, s0
	s_cbranch_execz .LBB161_32
; %bb.31:
	ds_read_b64 v[14:15], v17 offset:72
	s_waitcnt lgkmcnt(1)
	v_mov_b32_e32 v13, v9
	v_mov_b32_e32 v12, v8
.LBB161_32:
	s_or_b32 exec_lo, exec_lo, s0
	v_add_nc_u32_e32 v27, v16, v19
	v_add_nc_u32_e32 v17, 1, v25
	s_waitcnt lgkmcnt(0)
	v_cmp_lt_i64_e64 s0, v[14:15], v[12:13]
	v_add_nc_u32_e32 v16, 1, v27
	v_cndmask_b32_e32 v34, v25, v17, vcc_lo
	v_cndmask_b32_e32 v28, v16, v27, vcc_lo
	v_cmp_lt_i32_e64 s2, v34, v24
                                        ; implicit-def: $vgpr16_vgpr17
	v_cmp_ge_i32_e64 s1, v28, v26
	s_or_b32 s0, s1, s0
	s_and_b32 s0, s2, s0
	s_xor_b32 s1, s0, -1
	s_and_saveexec_b32 s2, s1
	s_xor_b32 s1, exec_lo, s2
; %bb.33:
	v_lshl_add_u32 v16, v28, 3, v31
	ds_read_b64 v[16:17], v16 offset:8
; %bb.34:
	s_or_saveexec_b32 s1, s1
	v_mov_b32_e32 v19, v15
	v_mov_b32_e32 v18, v14
	s_xor_b32 exec_lo, exec_lo, s1
	s_cbranch_execz .LBB161_36
; %bb.35:
	s_waitcnt lgkmcnt(0)
	v_lshl_add_u32 v16, v34, 3, v31
	ds_read_b64 v[18:19], v16 offset:8
	v_mov_b32_e32 v17, v13
	v_mov_b32_e32 v16, v12
.LBB161_36:
	s_or_b32 exec_lo, exec_lo, s1
	v_add_nc_u32_e32 v20, 1, v28
	v_add_nc_u32_e32 v21, 1, v34
	s_waitcnt lgkmcnt(0)
	v_cmp_lt_i64_e64 s1, v[18:19], v[16:17]
	v_cndmask_b32_e64 v36, v20, v28, s0
	v_cndmask_b32_e64 v35, v34, v21, s0
                                        ; implicit-def: $vgpr20_vgpr21
	v_cmp_ge_i32_e64 s2, v36, v26
	v_cmp_lt_i32_e64 s3, v35, v24
	s_or_b32 s1, s2, s1
	s_and_b32 s1, s3, s1
	s_xor_b32 s2, s1, -1
	s_and_saveexec_b32 s3, s2
	s_xor_b32 s2, exec_lo, s3
; %bb.37:
	v_lshl_add_u32 v20, v36, 3, v31
	ds_read_b64 v[20:21], v20 offset:8
; %bb.38:
	s_or_saveexec_b32 s2, s2
	v_mov_b32_e32 v23, v19
	v_mov_b32_e32 v22, v18
	s_xor_b32 exec_lo, exec_lo, s2
	s_cbranch_execz .LBB161_40
; %bb.39:
	s_waitcnt lgkmcnt(0)
	v_lshl_add_u32 v20, v35, 3, v31
	ds_read_b64 v[22:23], v20 offset:8
	v_mov_b32_e32 v21, v17
	v_mov_b32_e32 v20, v16
.LBB161_40:
	s_or_b32 exec_lo, exec_lo, s2
	v_add_nc_u32_e32 v37, 1, v36
	v_add_nc_u32_e32 v38, 1, v35
	v_cndmask_b32_e64 v28, v28, v34, s0
	v_cndmask_b32_e32 v25, v27, v25, vcc_lo
	s_waitcnt lgkmcnt(0)
	v_cmp_lt_i64_e64 s2, v[22:23], v[20:21]
	v_cndmask_b32_e64 v34, v37, v36, s1
	v_cndmask_b32_e64 v27, v35, v38, s1
	;; [unrolled: 1-line block ×3, first 2 shown]
	; wave barrier
	v_cmp_ge_i32_e64 s3, v34, v26
	v_cmp_lt_i32_e64 s4, v27, v24
	ds_write2_b64 v30, v[4:5], v[6:7] offset1:1
	ds_write2_b64 v30, v[0:1], v[2:3] offset0:2 offset1:3
	v_lshl_add_u32 v1, v25, 3, v31
	v_lshl_add_u32 v2, v28, 3, v31
	s_or_b32 s2, s3, s2
	v_lshl_add_u32 v3, v39, 3, v31
	s_and_b32 s2, s4, s2
	v_cndmask_b32_e64 v0, v34, v27, s2
	; wave barrier
	v_cndmask_b32_e64 v23, v21, v23, s2
	v_and_b32_e32 v21, 32, v33
	v_cndmask_b32_e64 v19, v17, v19, s1
	v_lshl_add_u32 v24, v0, 3, v31
	v_cndmask_b32_e64 v15, v13, v15, s0
	ds_read_b64 v[4:5], v1
	ds_read_b64 v[6:7], v2
	;; [unrolled: 1-line block ×4, first 2 shown]
	v_or_b32_e32 v24, 16, v21
	v_and_b32_e32 v13, 28, v33
	v_cndmask_b32_e64 v18, v16, v18, s1
	v_cndmask_b32_e64 v14, v12, v14, s0
	v_cndmask_b32_e32 v11, v9, v11, vcc_lo
	v_sub_nc_u32_e32 v17, v24, v21
	v_cndmask_b32_e32 v10, v8, v10, vcc_lo
	v_sub_nc_u32_e64 v16, v13, 16 clamp
	v_lshl_add_u32 v8, v21, 3, v31
	v_cndmask_b32_e64 v22, v20, v22, s2
	v_min_i32_e32 v9, v13, v17
	s_mov_b32 s0, exec_lo
	; wave barrier
	ds_write2_b64 v30, v[10:11], v[14:15] offset1:1
	ds_write2_b64 v30, v[18:19], v[22:23] offset0:2 offset1:3
	; wave barrier
	v_cmpx_lt_i32_e64 v16, v9
	s_cbranch_execz .LBB161_44
; %bb.41:
	v_lshl_add_u32 v10, v13, 3, v8
	s_mov_b32 s1, 0
	.p2align	6
.LBB161_42:                             ; =>This Inner Loop Header: Depth=1
	v_sub_nc_u32_e32 v11, v9, v16
	v_lshrrev_b32_e32 v11, 1, v11
	v_add_nc_u32_e32 v17, v11, v16
	v_not_b32_e32 v11, v17
	v_lshl_add_u32 v12, v17, 3, v8
	v_lshl_add_u32 v14, v11, 3, v10
	ds_read_b64 v[11:12], v12
	ds_read_b64 v[14:15], v14 offset:128
	s_waitcnt lgkmcnt(0)
	v_cmp_lt_i64_e32 vcc_lo, v[14:15], v[11:12]
	v_add_nc_u32_e32 v11, 1, v17
	v_cndmask_b32_e32 v9, v9, v17, vcc_lo
	v_cndmask_b32_e32 v16, v11, v16, vcc_lo
	v_cmp_ge_i32_e32 vcc_lo, v16, v9
	s_or_b32 s1, vcc_lo, s1
	s_andn2_b32 exec_lo, exec_lo, s1
	s_cbranch_execnz .LBB161_42
; %bb.43:
	s_or_b32 exec_lo, exec_lo, s1
.LBB161_44:
	s_or_b32 exec_lo, exec_lo, s0
	v_add_nc_u32_e32 v9, v21, v13
	v_lshl_add_u32 v14, v16, 3, v8
	v_add_nc_u32_e32 v12, v24, v13
	v_add_nc_u32_e32 v25, 32, v21
	v_cmp_lt_i32_e64 s0, 15, v16
	v_sub_nc_u32_e32 v9, v9, v16
	v_sub_nc_u32_e32 v26, v12, v16
                                        ; implicit-def: $vgpr12_vgpr13
	v_lshl_add_u32 v17, v9, 3, v31
	ds_read_b64 v[8:9], v14
	ds_read_b64 v[10:11], v17 offset:128
	v_cmp_gt_i32_e64 s1, v25, v26
	s_waitcnt lgkmcnt(0)
	v_cmp_lt_i64_e32 vcc_lo, v[10:11], v[8:9]
	s_or_b32 s0, s0, vcc_lo
	s_and_b32 vcc_lo, s1, s0
	s_xor_b32 s0, vcc_lo, -1
	s_and_saveexec_b32 s1, s0
	s_xor_b32 s0, exec_lo, s1
; %bb.45:
	ds_read_b64 v[12:13], v14 offset:8
                                        ; implicit-def: $vgpr17
; %bb.46:
	s_or_saveexec_b32 s0, s0
	v_mov_b32_e32 v15, v11
	v_mov_b32_e32 v14, v10
	s_xor_b32 exec_lo, exec_lo, s0
	s_cbranch_execz .LBB161_48
; %bb.47:
	ds_read_b64 v[14:15], v17 offset:136
	s_waitcnt lgkmcnt(1)
	v_mov_b32_e32 v13, v9
	v_mov_b32_e32 v12, v8
.LBB161_48:
	s_or_b32 exec_lo, exec_lo, s0
	v_add_nc_u32_e32 v27, v16, v21
	v_add_nc_u32_e32 v17, 1, v26
	s_waitcnt lgkmcnt(0)
	v_cmp_lt_i64_e64 s0, v[14:15], v[12:13]
	v_add_nc_u32_e32 v16, 1, v27
	v_cndmask_b32_e32 v33, v26, v17, vcc_lo
	v_cndmask_b32_e32 v28, v16, v27, vcc_lo
	v_cmp_lt_i32_e64 s2, v33, v25
                                        ; implicit-def: $vgpr16_vgpr17
	v_cmp_ge_i32_e64 s1, v28, v24
	s_or_b32 s0, s1, s0
	s_and_b32 s0, s2, s0
	s_xor_b32 s1, s0, -1
	s_and_saveexec_b32 s2, s1
	s_xor_b32 s1, exec_lo, s2
; %bb.49:
	v_lshl_add_u32 v16, v28, 3, v31
	ds_read_b64 v[16:17], v16 offset:8
; %bb.50:
	s_or_saveexec_b32 s1, s1
	v_mov_b32_e32 v19, v15
	v_mov_b32_e32 v18, v14
	s_xor_b32 exec_lo, exec_lo, s1
	s_cbranch_execz .LBB161_52
; %bb.51:
	s_waitcnt lgkmcnt(0)
	v_lshl_add_u32 v16, v33, 3, v31
	ds_read_b64 v[18:19], v16 offset:8
	v_mov_b32_e32 v17, v13
	v_mov_b32_e32 v16, v12
.LBB161_52:
	s_or_b32 exec_lo, exec_lo, s1
	v_add_nc_u32_e32 v20, 1, v28
	v_add_nc_u32_e32 v21, 1, v33
	s_waitcnt lgkmcnt(0)
	v_cmp_lt_i64_e64 s1, v[18:19], v[16:17]
	v_cndmask_b32_e64 v35, v20, v28, s0
	v_cndmask_b32_e64 v34, v33, v21, s0
                                        ; implicit-def: $vgpr20_vgpr21
	v_cmp_ge_i32_e64 s2, v35, v24
	v_cmp_lt_i32_e64 s3, v34, v25
	s_or_b32 s1, s2, s1
	s_and_b32 s1, s3, s1
	s_xor_b32 s2, s1, -1
	s_and_saveexec_b32 s3, s2
	s_xor_b32 s2, exec_lo, s3
; %bb.53:
	v_lshl_add_u32 v20, v35, 3, v31
	ds_read_b64 v[20:21], v20 offset:8
; %bb.54:
	s_or_saveexec_b32 s2, s2
	v_mov_b32_e32 v23, v19
	v_mov_b32_e32 v22, v18
	s_xor_b32 exec_lo, exec_lo, s2
	s_cbranch_execz .LBB161_56
; %bb.55:
	s_waitcnt lgkmcnt(0)
	v_lshl_add_u32 v20, v34, 3, v31
	ds_read_b64 v[22:23], v20 offset:8
	v_mov_b32_e32 v21, v17
	v_mov_b32_e32 v20, v16
.LBB161_56:
	s_or_b32 exec_lo, exec_lo, s2
	v_add_nc_u32_e32 v36, 1, v35
	v_add_nc_u32_e32 v37, 1, v34
	s_waitcnt lgkmcnt(0)
	v_cmp_lt_i64_e64 s2, v[22:23], v[20:21]
	v_cndmask_b32_e64 v28, v28, v33, s0
	v_cndmask_b32_e64 v36, v36, v35, s1
	v_cndmask_b32_e64 v35, v35, v34, s1
	v_cndmask_b32_e64 v34, v34, v37, s1
	; wave barrier
	ds_write2_b64 v30, v[4:5], v[6:7] offset1:1
	v_cmp_ge_i32_e64 s3, v36, v24
	v_cndmask_b32_e32 v24, v27, v26, vcc_lo
	v_cmp_lt_i32_e64 s4, v34, v25
	ds_write2_b64 v30, v[0:1], v[2:3] offset0:2 offset1:3
	v_lshl_add_u32 v2, v28, 3, v31
	s_or_b32 s2, s3, s2
	v_lshl_add_u32 v0, v24, 3, v31
	s_and_b32 s2, s4, s2
	v_lshl_add_u32 v3, v35, 3, v31
	v_cndmask_b32_e64 v4, v36, v34, s2
	; wave barrier
	v_cndmask_b32_e64 v13, v13, v15, s0
	v_cndmask_b32_e64 v12, v12, v14, s0
	v_lshl_add_u32 v6, v4, 3, v31
	v_cndmask_b32_e32 v11, v9, v11, vcc_lo
	ds_read_b64 v[0:1], v0
	ds_read_b64 v[4:5], v2
	;; [unrolled: 1-line block ×4, first 2 shown]
	v_sub_nc_u32_e64 v24, v32, 32 clamp
	v_min_u32_e32 v9, 32, v32
	v_cndmask_b32_e32 v10, v8, v10, vcc_lo
	v_cndmask_b32_e64 v21, v21, v23, s2
	v_cndmask_b32_e64 v17, v17, v19, s1
	;; [unrolled: 1-line block ×4, first 2 shown]
	s_mov_b32 s0, exec_lo
	; wave barrier
	ds_write2_b64 v30, v[10:11], v[12:13] offset1:1
	ds_write2_b64 v30, v[16:17], v[20:21] offset0:2 offset1:3
	; wave barrier
	v_cmpx_lt_u32_e64 v24, v9
	s_cbranch_execz .LBB161_60
; %bb.57:
	s_mov_b32 s1, 0
	.p2align	6
.LBB161_58:                             ; =>This Inner Loop Header: Depth=1
	v_sub_nc_u32_e32 v8, v9, v24
	v_lshrrev_b32_e32 v8, 1, v8
	v_add_nc_u32_e32 v8, v8, v24
	v_not_b32_e32 v10, v8
	v_lshl_add_u32 v11, v8, 3, v31
	v_lshl_add_u32 v12, v10, 3, v30
	ds_read_b64 v[10:11], v11
	ds_read_b64 v[12:13], v12 offset:256
	s_waitcnt lgkmcnt(0)
	v_cmp_lt_i64_e32 vcc_lo, v[12:13], v[10:11]
	v_add_nc_u32_e32 v10, 1, v8
	v_cndmask_b32_e32 v9, v9, v8, vcc_lo
	v_cndmask_b32_e32 v24, v10, v24, vcc_lo
	v_cmp_ge_i32_e32 vcc_lo, v24, v9
	s_or_b32 s1, vcc_lo, s1
	s_andn2_b32 exec_lo, exec_lo, s1
	s_cbranch_execnz .LBB161_58
; %bb.59:
	s_or_b32 exec_lo, exec_lo, s1
.LBB161_60:
	s_or_b32 exec_lo, exec_lo, s0
	v_sub_nc_u32_e32 v12, v32, v24
	v_lshl_add_u32 v14, v24, 3, v31
	v_cmp_lt_i32_e64 s0, 31, v24
	v_lshl_add_u32 v16, v12, 3, v31
	v_add_nc_u32_e32 v25, 32, v12
                                        ; implicit-def: $vgpr12_vgpr13
	ds_read_b64 v[8:9], v14
	ds_read_b64 v[10:11], v16 offset:256
	v_cmp_gt_i32_e64 s1, 64, v25
	s_waitcnt lgkmcnt(0)
	v_cmp_lt_i64_e32 vcc_lo, v[10:11], v[8:9]
	s_or_b32 s0, s0, vcc_lo
	s_and_b32 vcc_lo, s1, s0
	s_xor_b32 s0, vcc_lo, -1
	s_and_saveexec_b32 s1, s0
	s_xor_b32 s0, exec_lo, s1
; %bb.61:
	ds_read_b64 v[12:13], v14 offset:8
                                        ; implicit-def: $vgpr16
; %bb.62:
	s_or_saveexec_b32 s0, s0
	v_mov_b32_e32 v15, v11
	v_mov_b32_e32 v14, v10
	s_xor_b32 exec_lo, exec_lo, s0
	s_cbranch_execz .LBB161_64
; %bb.63:
	ds_read_b64 v[14:15], v16 offset:264
	s_waitcnt lgkmcnt(1)
	v_mov_b32_e32 v13, v9
	v_mov_b32_e32 v12, v8
.LBB161_64:
	s_or_b32 exec_lo, exec_lo, s0
	v_add_nc_u32_e32 v16, 1, v24
	v_add_nc_u32_e32 v17, 1, v25
	s_waitcnt lgkmcnt(0)
	v_cmp_lt_i64_e64 s0, v[14:15], v[12:13]
                                        ; implicit-def: $vgpr22_vgpr23
	v_cndmask_b32_e32 v26, v16, v24, vcc_lo
	v_cndmask_b32_e32 v27, v25, v17, vcc_lo
	v_cmp_lt_i32_e64 s1, 31, v26
	v_cmp_gt_i32_e64 s2, 64, v27
	s_or_b32 s0, s1, s0
	s_and_b32 s0, s2, s0
	s_xor_b32 s1, s0, -1
	s_and_saveexec_b32 s2, s1
	s_xor_b32 s1, exec_lo, s2
; %bb.65:
	v_lshl_add_u32 v16, v26, 3, v31
	ds_read_b64 v[22:23], v16 offset:8
; %bb.66:
	s_or_saveexec_b32 s1, s1
	v_mov_b32_e32 v17, v15
	v_mov_b32_e32 v16, v14
	s_xor_b32 exec_lo, exec_lo, s1
	s_cbranch_execz .LBB161_68
; %bb.67:
	v_lshl_add_u32 v16, v27, 3, v31
	s_waitcnt lgkmcnt(0)
	v_mov_b32_e32 v23, v13
	v_mov_b32_e32 v22, v12
	ds_read_b64 v[16:17], v16 offset:8
.LBB161_68:
	s_or_b32 exec_lo, exec_lo, s1
	v_add_nc_u32_e32 v18, 1, v26
	v_add_nc_u32_e32 v19, 1, v27
	s_waitcnt lgkmcnt(0)
	v_cmp_ge_i64_e64 s1, v[16:17], v[22:23]
                                        ; implicit-def: $vgpr32
	v_cndmask_b32_e64 v34, v18, v26, s0
	v_cndmask_b32_e64 v28, v27, v19, s0
                                        ; implicit-def: $vgpr18_vgpr19
	v_cmp_gt_i32_e64 s2, 32, v34
	v_cmp_lt_i32_e64 s3, 63, v28
	s_and_b32 s1, s2, s1
	s_or_b32 s1, s3, s1
	s_and_saveexec_b32 s2, s1
	s_xor_b32 s1, exec_lo, s2
; %bb.69:
	v_lshl_add_u32 v18, v34, 3, v31
	v_add_nc_u32_e32 v32, 1, v34
	ds_read_b64 v[18:19], v18 offset:8
; %bb.70:
	s_or_saveexec_b32 s1, s1
	v_mov_b32_e32 v20, v22
	v_mov_b32_e32 v21, v23
	;; [unrolled: 1-line block ×3, first 2 shown]
	s_xor_b32 exec_lo, exec_lo, s1
	s_cbranch_execz .LBB161_72
; %bb.71:
	s_waitcnt lgkmcnt(0)
	v_lshl_add_u32 v18, v28, 3, v31
	v_mov_b32_e32 v21, v17
	v_mov_b32_e32 v20, v16
	;; [unrolled: 1-line block ×4, first 2 shown]
	ds_read_b64 v[35:36], v18 offset:8
	v_add_nc_u32_e32 v18, 1, v28
	v_mov_b32_e32 v28, v18
	v_mov_b32_e32 v18, v22
	;; [unrolled: 1-line block ×3, first 2 shown]
	s_waitcnt lgkmcnt(0)
	v_mov_b32_e32 v16, v35
	v_mov_b32_e32 v17, v36
.LBB161_72:
	s_or_b32 exec_lo, exec_lo, s1
	s_waitcnt lgkmcnt(0)
	v_cmp_lt_i64_e64 s1, v[16:17], v[18:19]
	v_cmp_lt_i32_e64 s2, 31, v32
	v_cmp_gt_i32_e64 s3, 64, v28
	v_cndmask_b32_e32 v23, v24, v25, vcc_lo
	v_cndmask_b32_e64 v22, v26, v27, s0
	s_or_b32 s1, s2, s1
	; wave barrier
	s_and_b32 s1, s3, s1
	v_lshl_add_u32 v23, v23, 3, v31
	ds_write2_b64 v30, v[0:1], v[4:5] offset1:1
	ds_write2_b64 v30, v[2:3], v[6:7] offset0:2 offset1:3
	v_cndmask_b32_e64 v4, v32, v28, s1
	v_lshl_add_u32 v2, v22, 3, v31
	; wave barrier
	ds_read_b64 v[0:1], v23
	v_lshl_add_u32 v5, v33, 3, v31
	v_lshl_add_u32 v6, v4, 3, v31
	ds_read_b64 v[2:3], v2
	ds_read_b64 v[4:5], v5
	;; [unrolled: 1-line block ×3, first 2 shown]
	v_cndmask_b32_e32 v8, v8, v10, vcc_lo
	v_cndmask_b32_e64 v10, v12, v14, s0
	v_cndmask_b32_e32 v9, v9, v11, vcc_lo
	v_cndmask_b32_e64 v13, v13, v15, s0
	v_cndmask_b32_e64 v11, v18, v16, s1
	;; [unrolled: 1-line block ×3, first 2 shown]
	s_add_u32 s0, s10, s6
	s_addc_u32 s1, s11, s7
	s_waitcnt lgkmcnt(3)
	v_add_co_u32 v0, vcc_lo, v0, v8
	v_add_co_ci_u32_e64 v1, null, v1, v9, vcc_lo
	s_waitcnt lgkmcnt(2)
	v_add_co_u32 v2, vcc_lo, v2, v10
	v_add_co_ci_u32_e64 v3, null, v3, v13, vcc_lo
	;; [unrolled: 3-line block ×3, first 2 shown]
	s_waitcnt lgkmcnt(0)
	v_add_co_u32 v6, vcc_lo, v6, v11
	v_lshlrev_b32_e32 v8, 3, v29
	v_add_co_ci_u32_e64 v7, null, v7, v17, vcc_lo
	global_store_dwordx4 v8, v[0:3], s[0:1]
	global_store_dwordx4 v8, v[4:7], s[0:1] offset:16
	s_endpgm
	.section	.rodata,"a",@progbits
	.p2align	6, 0x0
	.amdhsa_kernel _Z10sort_pairsILj256ELj16ELj4ExN10test_utils4lessEEvPKT2_PS2_T3_
		.amdhsa_group_segment_fixed_size 8320
		.amdhsa_private_segment_fixed_size 0
		.amdhsa_kernarg_size 20
		.amdhsa_user_sgpr_count 6
		.amdhsa_user_sgpr_private_segment_buffer 1
		.amdhsa_user_sgpr_dispatch_ptr 0
		.amdhsa_user_sgpr_queue_ptr 0
		.amdhsa_user_sgpr_kernarg_segment_ptr 1
		.amdhsa_user_sgpr_dispatch_id 0
		.amdhsa_user_sgpr_flat_scratch_init 0
		.amdhsa_user_sgpr_private_segment_size 0
		.amdhsa_wavefront_size32 1
		.amdhsa_uses_dynamic_stack 0
		.amdhsa_system_sgpr_private_segment_wavefront_offset 0
		.amdhsa_system_sgpr_workgroup_id_x 1
		.amdhsa_system_sgpr_workgroup_id_y 0
		.amdhsa_system_sgpr_workgroup_id_z 0
		.amdhsa_system_sgpr_workgroup_info 0
		.amdhsa_system_vgpr_workitem_id 0
		.amdhsa_next_free_vgpr 42
		.amdhsa_next_free_sgpr 12
		.amdhsa_reserve_vcc 1
		.amdhsa_reserve_flat_scratch 0
		.amdhsa_float_round_mode_32 0
		.amdhsa_float_round_mode_16_64 0
		.amdhsa_float_denorm_mode_32 3
		.amdhsa_float_denorm_mode_16_64 3
		.amdhsa_dx10_clamp 1
		.amdhsa_ieee_mode 1
		.amdhsa_fp16_overflow 0
		.amdhsa_workgroup_processor_mode 1
		.amdhsa_memory_ordered 1
		.amdhsa_forward_progress 1
		.amdhsa_shared_vgpr_count 0
		.amdhsa_exception_fp_ieee_invalid_op 0
		.amdhsa_exception_fp_denorm_src 0
		.amdhsa_exception_fp_ieee_div_zero 0
		.amdhsa_exception_fp_ieee_overflow 0
		.amdhsa_exception_fp_ieee_underflow 0
		.amdhsa_exception_fp_ieee_inexact 0
		.amdhsa_exception_int_div_zero 0
	.end_amdhsa_kernel
	.section	.text._Z10sort_pairsILj256ELj16ELj4ExN10test_utils4lessEEvPKT2_PS2_T3_,"axG",@progbits,_Z10sort_pairsILj256ELj16ELj4ExN10test_utils4lessEEvPKT2_PS2_T3_,comdat
.Lfunc_end161:
	.size	_Z10sort_pairsILj256ELj16ELj4ExN10test_utils4lessEEvPKT2_PS2_T3_, .Lfunc_end161-_Z10sort_pairsILj256ELj16ELj4ExN10test_utils4lessEEvPKT2_PS2_T3_
                                        ; -- End function
	.set _Z10sort_pairsILj256ELj16ELj4ExN10test_utils4lessEEvPKT2_PS2_T3_.num_vgpr, 42
	.set _Z10sort_pairsILj256ELj16ELj4ExN10test_utils4lessEEvPKT2_PS2_T3_.num_agpr, 0
	.set _Z10sort_pairsILj256ELj16ELj4ExN10test_utils4lessEEvPKT2_PS2_T3_.numbered_sgpr, 12
	.set _Z10sort_pairsILj256ELj16ELj4ExN10test_utils4lessEEvPKT2_PS2_T3_.num_named_barrier, 0
	.set _Z10sort_pairsILj256ELj16ELj4ExN10test_utils4lessEEvPKT2_PS2_T3_.private_seg_size, 0
	.set _Z10sort_pairsILj256ELj16ELj4ExN10test_utils4lessEEvPKT2_PS2_T3_.uses_vcc, 1
	.set _Z10sort_pairsILj256ELj16ELj4ExN10test_utils4lessEEvPKT2_PS2_T3_.uses_flat_scratch, 0
	.set _Z10sort_pairsILj256ELj16ELj4ExN10test_utils4lessEEvPKT2_PS2_T3_.has_dyn_sized_stack, 0
	.set _Z10sort_pairsILj256ELj16ELj4ExN10test_utils4lessEEvPKT2_PS2_T3_.has_recursion, 0
	.set _Z10sort_pairsILj256ELj16ELj4ExN10test_utils4lessEEvPKT2_PS2_T3_.has_indirect_call, 0
	.section	.AMDGPU.csdata,"",@progbits
; Kernel info:
; codeLenInByte = 4156
; TotalNumSgprs: 14
; NumVgprs: 42
; ScratchSize: 0
; MemoryBound: 0
; FloatMode: 240
; IeeeMode: 1
; LDSByteSize: 8320 bytes/workgroup (compile time only)
; SGPRBlocks: 0
; VGPRBlocks: 5
; NumSGPRsForWavesPerEU: 14
; NumVGPRsForWavesPerEU: 42
; Occupancy: 16
; WaveLimiterHint : 0
; COMPUTE_PGM_RSRC2:SCRATCH_EN: 0
; COMPUTE_PGM_RSRC2:USER_SGPR: 6
; COMPUTE_PGM_RSRC2:TRAP_HANDLER: 0
; COMPUTE_PGM_RSRC2:TGID_X_EN: 1
; COMPUTE_PGM_RSRC2:TGID_Y_EN: 0
; COMPUTE_PGM_RSRC2:TGID_Z_EN: 0
; COMPUTE_PGM_RSRC2:TIDIG_COMP_CNT: 0
	.section	.text._Z19sort_keys_segmentedILj256ELj16ELj4ExN10test_utils4lessEEvPKT2_PS2_PKjT3_,"axG",@progbits,_Z19sort_keys_segmentedILj256ELj16ELj4ExN10test_utils4lessEEvPKT2_PS2_PKjT3_,comdat
	.protected	_Z19sort_keys_segmentedILj256ELj16ELj4ExN10test_utils4lessEEvPKT2_PS2_PKjT3_ ; -- Begin function _Z19sort_keys_segmentedILj256ELj16ELj4ExN10test_utils4lessEEvPKT2_PS2_PKjT3_
	.globl	_Z19sort_keys_segmentedILj256ELj16ELj4ExN10test_utils4lessEEvPKT2_PS2_PKjT3_
	.p2align	8
	.type	_Z19sort_keys_segmentedILj256ELj16ELj4ExN10test_utils4lessEEvPKT2_PS2_PKjT3_,@function
_Z19sort_keys_segmentedILj256ELj16ELj4ExN10test_utils4lessEEvPKT2_PS2_PKjT3_: ; @_Z19sort_keys_segmentedILj256ELj16ELj4ExN10test_utils4lessEEvPKT2_PS2_PKjT3_
; %bb.0:
	s_clause 0x1
	s_load_dwordx2 s[0:1], s[4:5], 0x10
	s_load_dwordx4 s[8:11], s[4:5], 0x0
	v_lshrrev_b32_e32 v14, 4, v0
	v_mov_b32_e32 v1, 0
	v_lshl_or_b32 v0, s6, 4, v14
	v_mov_b32_e32 v4, v1
	v_mov_b32_e32 v5, v1
	;; [unrolled: 1-line block ×3, first 2 shown]
	v_lshlrev_b64 v[2:3], 2, v[0:1]
	v_lshlrev_b32_e32 v0, 6, v0
	v_lshlrev_b64 v[8:9], 3, v[0:1]
	v_mov_b32_e32 v0, v1
	s_waitcnt lgkmcnt(0)
	v_add_co_u32 v2, vcc_lo, s0, v2
	v_add_co_ci_u32_e64 v3, null, s1, v3, vcc_lo
	v_add_co_u32 v7, vcc_lo, s8, v8
	v_add_co_ci_u32_e64 v11, null, s9, v9, vcc_lo
	global_load_dword v19, v[2:3], off
	v_mbcnt_lo_u32_b32 v2, -1, 0
	v_mov_b32_e32 v3, v1
	v_lshlrev_b32_e32 v22, 2, v2
	v_mov_b32_e32 v2, v1
	v_and_b32_e32 v20, 60, v22
	v_lshlrev_b32_e32 v18, 3, v20
	v_add_co_u32 v10, vcc_lo, v7, v18
	v_add_co_ci_u32_e64 v11, null, 0, v11, vcc_lo
	v_mov_b32_e32 v7, v1
	s_waitcnt vmcnt(0)
	v_cmp_lt_u32_e32 vcc_lo, v20, v19
	s_and_saveexec_b32 s0, vcc_lo
	s_cbranch_execz .LBB162_2
; %bb.1:
	global_load_dwordx2 v[23:24], v[10:11], off
	v_mov_b32_e32 v25, v1
	v_mov_b32_e32 v26, v1
	;; [unrolled: 1-line block ×6, first 2 shown]
	s_waitcnt vmcnt(0)
	v_mov_b32_e32 v0, v23
	v_mov_b32_e32 v1, v24
	;; [unrolled: 1-line block ×8, first 2 shown]
.LBB162_2:
	s_or_b32 exec_lo, exec_lo, s0
	v_or_b32_e32 v12, 1, v20
	v_cmp_lt_u32_e64 s0, v12, v19
	s_and_saveexec_b32 s1, s0
	s_cbranch_execz .LBB162_4
; %bb.3:
	global_load_dwordx2 v[2:3], v[10:11], off offset:8
.LBB162_4:
	s_or_b32 exec_lo, exec_lo, s1
	v_or_b32_e32 v13, 2, v20
	v_cmp_lt_u32_e64 s1, v13, v19
	s_and_saveexec_b32 s2, s1
	s_cbranch_execz .LBB162_6
; %bb.5:
	global_load_dwordx2 v[4:5], v[10:11], off offset:16
.LBB162_6:
	;; [unrolled: 8-line block ×3, first 2 shown]
	s_or_b32 exec_lo, exec_lo, s3
	v_cmp_lt_i32_e64 s3, v13, v19
	v_cmp_lt_i32_e64 s4, v15, v19
	;; [unrolled: 1-line block ×3, first 2 shown]
	s_mov_b32 s6, exec_lo
	s_or_b32 s3, s4, s3
	s_waitcnt vmcnt(0)
	v_cndmask_b32_e64 v7, 0x7fffffff, v7, s4
	v_cndmask_b32_e64 v5, 0x7fffffff, v5, s3
	v_cndmask_b32_e64 v4, -1, v4, s3
	s_or_b32 s3, s3, s5
	v_cndmask_b32_e64 v6, -1, v6, s4
	v_cndmask_b32_e64 v3, 0x7fffffff, v3, s3
	v_cndmask_b32_e64 v2, -1, v2, s3
	v_cmpx_lt_i32_e64 v20, v19
	s_cbranch_execz .LBB162_12
; %bb.9:
	v_cmp_gt_i64_e64 s3, v[2:3], v[0:1]
	v_cmp_lt_i64_e64 s4, v[6:7], v[4:5]
	v_cmp_lt_i64_e64 s5, v[2:3], v[0:1]
	v_cndmask_b32_e64 v11, v1, v3, s3
	v_cndmask_b32_e64 v10, v0, v2, s3
	v_cmp_gt_i64_e64 s3, v[6:7], v[4:5]
	v_cndmask_b32_e64 v13, v5, v7, s4
	v_cndmask_b32_e64 v12, v4, v6, s4
	;; [unrolled: 1-line block ×7, first 2 shown]
	v_cmp_lt_i64_e64 s5, v[12:13], v[10:11]
	v_cndmask_b32_e64 v21, v7, v5, s4
	v_cndmask_b32_e64 v5, v5, v7, s3
	;; [unrolled: 1-line block ×3, first 2 shown]
	v_cmp_gt_i64_e64 s3, v[12:13], v[10:11]
	v_cmp_lt_i64_e64 s4, v[12:13], v[0:1]
	v_cndmask_b32_e64 v3, v15, v13, s5
	v_cndmask_b32_e64 v23, v12, v10, s5
	;; [unrolled: 1-line block ×6, first 2 shown]
	v_cmp_gt_i64_e64 s3, v[10:11], v[4:5]
	v_cndmask_b32_e64 v17, v11, v13, s5
	v_cndmask_b32_e64 v25, v10, v12, s5
	;; [unrolled: 1-line block ×14, first 2 shown]
	s_mov_b32 s3, exec_lo
	v_cmpx_lt_i64_e64 v[12:13], v[10:11]
; %bb.10:
	v_mov_b32_e32 v2, v12
	v_mov_b32_e32 v3, v13
	;; [unrolled: 1-line block ×4, first 2 shown]
; %bb.11:
	s_or_b32 exec_lo, exec_lo, s3
.LBB162_12:
	s_or_b32 exec_lo, exec_lo, s6
	v_and_b32_e32 v10, 56, v22
	v_and_b32_e32 v12, 4, v22
	v_mad_u32_u24 v23, 0x208, v14, v18
	v_mul_u32_u24_e32 v21, 0x208, v14
	v_min_i32_e32 v10, v19, v10
	; wave barrier
	ds_write2_b64 v23, v[0:1], v[2:3] offset1:1
	s_mov_b32 s5, 0
	s_mov_b32 s4, exec_lo
	v_add_nc_u32_e32 v11, 4, v10
	v_lshlrev_b32_e32 v16, 3, v10
	ds_write2_b64 v23, v[4:5], v[6:7] offset0:2 offset1:3
	; wave barrier
	v_min_i32_e32 v27, v19, v11
	v_mad_u32_u24 v0, 0x208, v14, v16
	v_add_nc_u32_e32 v11, 4, v27
	v_sub_nc_u32_e32 v15, v27, v10
	v_min_i32_e32 v25, v19, v11
	v_min_i32_e32 v11, v19, v12
	v_sub_nc_u32_e32 v12, v25, v27
	v_sub_nc_u32_e32 v13, v11, v12
	v_cmp_ge_i32_e64 s3, v11, v12
	v_cndmask_b32_e64 v12, 0, v13, s3
	v_min_i32_e32 v13, v11, v15
	v_cmpx_lt_i32_e64 v12, v13
	s_cbranch_execz .LBB162_16
; %bb.13:
	v_lshlrev_b32_e32 v1, 3, v27
	v_lshlrev_b32_e32 v2, 3, v11
	v_add3_u32 v1, v21, v1, v2
	.p2align	6
.LBB162_14:                             ; =>This Inner Loop Header: Depth=1
	v_sub_nc_u32_e32 v2, v13, v12
	v_lshrrev_b32_e32 v2, 1, v2
	v_add_nc_u32_e32 v6, v2, v12
	v_not_b32_e32 v2, v6
	v_lshl_add_u32 v3, v6, 3, v0
	v_lshl_add_u32 v4, v2, 3, v1
	ds_read_b64 v[2:3], v3
	ds_read_b64 v[4:5], v4
	s_waitcnt lgkmcnt(0)
	v_cmp_lt_i64_e64 s3, v[4:5], v[2:3]
	v_add_nc_u32_e32 v2, 1, v6
	v_cndmask_b32_e64 v13, v13, v6, s3
	v_cndmask_b32_e64 v12, v2, v12, s3
	v_cmp_ge_i32_e64 s3, v12, v13
	s_or_b32 s5, s3, s5
	s_andn2_b32 exec_lo, exec_lo, s5
	s_cbranch_execnz .LBB162_14
; %bb.15:
	s_or_b32 exec_lo, exec_lo, s5
.LBB162_16:
	s_or_b32 exec_lo, exec_lo, s4
	v_add_nc_u32_e32 v1, v27, v11
	v_lshl_add_u32 v6, v12, 3, v0
	v_add_nc_u32_e32 v10, v12, v10
                                        ; implicit-def: $vgpr4_vgpr5
	v_sub_nc_u32_e32 v11, v1, v12
	v_cmp_le_i32_e64 s4, v27, v10
	v_lshl_add_u32 v13, v11, 3, v21
	v_cmp_gt_i32_e64 s5, v25, v11
	ds_read_b64 v[0:1], v6
	ds_read_b64 v[2:3], v13
	s_waitcnt lgkmcnt(0)
	v_cmp_lt_i64_e64 s3, v[2:3], v[0:1]
	s_or_b32 s3, s4, s3
	s_and_b32 s3, s5, s3
	s_xor_b32 s4, s3, -1
	s_and_saveexec_b32 s5, s4
	s_xor_b32 s4, exec_lo, s5
; %bb.17:
	ds_read_b64 v[4:5], v6 offset:8
                                        ; implicit-def: $vgpr13
; %bb.18:
	s_or_saveexec_b32 s4, s4
	v_mov_b32_e32 v7, v3
	v_mov_b32_e32 v6, v2
	s_xor_b32 exec_lo, exec_lo, s4
	s_cbranch_execz .LBB162_20
; %bb.19:
	ds_read_b64 v[6:7], v13 offset:8
	s_waitcnt lgkmcnt(1)
	v_mov_b32_e32 v5, v1
	v_mov_b32_e32 v4, v0
.LBB162_20:
	s_or_b32 exec_lo, exec_lo, s4
	v_add_nc_u32_e32 v12, 1, v10
	v_add_nc_u32_e32 v13, 1, v11
	s_waitcnt lgkmcnt(0)
	v_cmp_lt_i64_e64 s4, v[6:7], v[4:5]
	v_cndmask_b32_e64 v15, v12, v10, s3
	v_cndmask_b32_e64 v14, v11, v13, s3
                                        ; implicit-def: $vgpr10_vgpr11
	v_cmp_ge_i32_e64 s5, v15, v27
	v_cmp_lt_i32_e64 s6, v14, v25
	s_or_b32 s4, s5, s4
	s_and_b32 s4, s6, s4
	s_xor_b32 s5, s4, -1
	s_and_saveexec_b32 s6, s5
	s_xor_b32 s5, exec_lo, s6
; %bb.21:
	v_lshl_add_u32 v10, v15, 3, v21
	ds_read_b64 v[10:11], v10 offset:8
; %bb.22:
	s_or_saveexec_b32 s5, s5
	v_mov_b32_e32 v13, v7
	v_mov_b32_e32 v12, v6
	s_xor_b32 exec_lo, exec_lo, s5
	s_cbranch_execz .LBB162_24
; %bb.23:
	s_waitcnt lgkmcnt(0)
	v_lshl_add_u32 v10, v14, 3, v21
	ds_read_b64 v[12:13], v10 offset:8
	v_mov_b32_e32 v11, v5
	v_mov_b32_e32 v10, v4
.LBB162_24:
	s_or_b32 exec_lo, exec_lo, s5
	v_add_nc_u32_e32 v16, 1, v15
	v_add_nc_u32_e32 v17, 1, v14
	s_waitcnt lgkmcnt(0)
	v_cmp_lt_i64_e64 s5, v[12:13], v[10:11]
	v_cndmask_b32_e64 v26, v16, v15, s4
	v_cndmask_b32_e64 v29, v14, v17, s4
                                        ; implicit-def: $vgpr14_vgpr15
	v_cmp_ge_i32_e64 s6, v26, v27
	v_cmp_lt_i32_e64 s7, v29, v25
	s_or_b32 s5, s6, s5
	s_and_b32 s5, s7, s5
	s_xor_b32 s6, s5, -1
	s_and_saveexec_b32 s7, s6
	s_xor_b32 s6, exec_lo, s7
; %bb.25:
	v_lshl_add_u32 v14, v26, 3, v21
	ds_read_b64 v[14:15], v14 offset:8
; %bb.26:
	s_or_saveexec_b32 s6, s6
	v_mov_b32_e32 v17, v13
	v_mov_b32_e32 v16, v12
	s_xor_b32 exec_lo, exec_lo, s6
	s_cbranch_execz .LBB162_28
; %bb.27:
	s_waitcnt lgkmcnt(0)
	v_lshl_add_u32 v14, v29, 3, v21
	ds_read_b64 v[16:17], v14 offset:8
	v_mov_b32_e32 v15, v11
	v_mov_b32_e32 v14, v10
.LBB162_28:
	s_or_b32 exec_lo, exec_lo, s6
	v_and_b32_e32 v24, 48, v22
	v_add_nc_u32_e32 v30, 1, v26
	v_cndmask_b32_e64 v10, v10, v12, s5
	v_add_nc_u32_e32 v12, 1, v29
	v_cndmask_b32_e64 v7, v5, v7, s4
	v_min_i32_e32 v28, v19, v24
	v_cndmask_b32_e64 v11, v11, v13, s5
	v_cndmask_b32_e64 v13, v1, v3, s3
	;; [unrolled: 1-line block ×4, first 2 shown]
	v_add_nc_u32_e32 v24, 8, v28
	v_cndmask_b32_e64 v4, v29, v12, s5
	v_and_b32_e32 v3, 12, v22
	s_waitcnt lgkmcnt(0)
	v_cmp_lt_i64_e64 s4, v[16:17], v[14:15]
	v_cmp_ge_i32_e64 s5, v1, v27
	v_min_i32_e32 v24, v19, v24
	v_cmp_lt_i32_e64 s6, v4, v25
	v_min_i32_e32 v1, v19, v3
	v_cndmask_b32_e64 v12, v0, v2, s3
	s_or_b32 s3, s5, s4
	v_add_nc_u32_e32 v5, 8, v24
	s_and_b32 s3, s6, s3
	v_sub_nc_u32_e32 v0, v24, v28
	v_cndmask_b32_e64 v15, v15, v17, s3
	v_cndmask_b32_e64 v14, v14, v16, s3
	v_min_i32_e32 v26, v19, v5
	s_mov_b32 s5, 0
	s_mov_b32 s4, exec_lo
	; wave barrier
	v_sub_nc_u32_e32 v3, v26, v24
	ds_write2_b64 v23, v[12:13], v[6:7] offset1:1
	ds_write2_b64 v23, v[10:11], v[14:15] offset0:2 offset1:3
	; wave barrier
	v_sub_nc_u32_e32 v2, v1, v3
	v_cmp_ge_i32_e64 s3, v1, v3
	v_cndmask_b32_e64 v4, 0, v2, s3
	v_min_i32_e32 v2, v1, v0
	v_lshl_add_u32 v0, v28, 3, v21
	v_cmpx_lt_i32_e64 v4, v2
	s_cbranch_execz .LBB162_32
; %bb.29:
	v_lshlrev_b32_e32 v3, 3, v24
	v_lshlrev_b32_e32 v5, 3, v1
	v_add3_u32 v3, v21, v3, v5
	.p2align	6
.LBB162_30:                             ; =>This Inner Loop Header: Depth=1
	v_sub_nc_u32_e32 v5, v2, v4
	v_lshrrev_b32_e32 v5, 1, v5
	v_add_nc_u32_e32 v7, v5, v4
	v_not_b32_e32 v5, v7
	v_lshl_add_u32 v6, v7, 3, v0
	v_lshl_add_u32 v10, v5, 3, v3
	ds_read_b64 v[5:6], v6
	ds_read_b64 v[10:11], v10
	s_waitcnt lgkmcnt(0)
	v_cmp_lt_i64_e64 s3, v[10:11], v[5:6]
	v_add_nc_u32_e32 v5, 1, v7
	v_cndmask_b32_e64 v2, v2, v7, s3
	v_cndmask_b32_e64 v4, v5, v4, s3
	v_cmp_ge_i32_e64 s3, v4, v2
	s_or_b32 s5, s3, s5
	s_andn2_b32 exec_lo, exec_lo, s5
	s_cbranch_execnz .LBB162_30
; %bb.31:
	s_or_b32 exec_lo, exec_lo, s5
.LBB162_32:
	s_or_b32 exec_lo, exec_lo, s4
	v_add_nc_u32_e32 v1, v24, v1
	v_lshl_add_u32 v6, v4, 3, v0
	v_add_nc_u32_e32 v11, v4, v28
	v_sub_nc_u32_e32 v10, v1, v4
                                        ; implicit-def: $vgpr4_vgpr5
	v_cmp_le_i32_e64 s4, v24, v11
	v_lshl_add_u32 v12, v10, 3, v21
	v_cmp_gt_i32_e64 s5, v26, v10
	ds_read_b64 v[0:1], v6
	ds_read_b64 v[2:3], v12
	s_waitcnt lgkmcnt(0)
	v_cmp_lt_i64_e64 s3, v[2:3], v[0:1]
	s_or_b32 s3, s4, s3
	s_and_b32 s3, s5, s3
	s_xor_b32 s4, s3, -1
	s_and_saveexec_b32 s5, s4
	s_xor_b32 s4, exec_lo, s5
; %bb.33:
	ds_read_b64 v[4:5], v6 offset:8
                                        ; implicit-def: $vgpr12
; %bb.34:
	s_or_saveexec_b32 s4, s4
	v_mov_b32_e32 v7, v3
	v_mov_b32_e32 v6, v2
	s_xor_b32 exec_lo, exec_lo, s4
	s_cbranch_execz .LBB162_36
; %bb.35:
	ds_read_b64 v[6:7], v12 offset:8
	s_waitcnt lgkmcnt(1)
	v_mov_b32_e32 v5, v1
	v_mov_b32_e32 v4, v0
.LBB162_36:
	s_or_b32 exec_lo, exec_lo, s4
	v_add_nc_u32_e32 v12, 1, v11
	v_add_nc_u32_e32 v13, 1, v10
	s_waitcnt lgkmcnt(0)
	v_cmp_lt_i64_e64 s4, v[6:7], v[4:5]
	v_cndmask_b32_e64 v15, v12, v11, s3
	v_cndmask_b32_e64 v14, v10, v13, s3
                                        ; implicit-def: $vgpr10_vgpr11
	v_cmp_ge_i32_e64 s5, v15, v24
	v_cmp_lt_i32_e64 s6, v14, v26
	s_or_b32 s4, s5, s4
	s_and_b32 s4, s6, s4
	s_xor_b32 s5, s4, -1
	s_and_saveexec_b32 s6, s5
	s_xor_b32 s5, exec_lo, s6
; %bb.37:
	v_lshl_add_u32 v10, v15, 3, v21
	ds_read_b64 v[10:11], v10 offset:8
; %bb.38:
	s_or_saveexec_b32 s5, s5
	v_mov_b32_e32 v13, v7
	v_mov_b32_e32 v12, v6
	s_xor_b32 exec_lo, exec_lo, s5
	s_cbranch_execz .LBB162_40
; %bb.39:
	s_waitcnt lgkmcnt(0)
	v_lshl_add_u32 v10, v14, 3, v21
	ds_read_b64 v[12:13], v10 offset:8
	v_mov_b32_e32 v11, v5
	v_mov_b32_e32 v10, v4
.LBB162_40:
	s_or_b32 exec_lo, exec_lo, s5
	v_add_nc_u32_e32 v16, 1, v15
	v_add_nc_u32_e32 v17, 1, v14
	s_waitcnt lgkmcnt(0)
	v_cmp_lt_i64_e64 s5, v[12:13], v[10:11]
	v_cndmask_b32_e64 v27, v16, v15, s4
	v_cndmask_b32_e64 v29, v14, v17, s4
                                        ; implicit-def: $vgpr14_vgpr15
	v_cmp_ge_i32_e64 s6, v27, v24
	v_cmp_lt_i32_e64 s7, v29, v26
	s_or_b32 s5, s6, s5
	s_and_b32 s5, s7, s5
	s_xor_b32 s6, s5, -1
	s_and_saveexec_b32 s7, s6
	s_xor_b32 s6, exec_lo, s7
; %bb.41:
	v_lshl_add_u32 v14, v27, 3, v21
	ds_read_b64 v[14:15], v14 offset:8
; %bb.42:
	s_or_saveexec_b32 s6, s6
	v_mov_b32_e32 v17, v13
	v_mov_b32_e32 v16, v12
	s_xor_b32 exec_lo, exec_lo, s6
	s_cbranch_execz .LBB162_44
; %bb.43:
	s_waitcnt lgkmcnt(0)
	v_lshl_add_u32 v14, v29, 3, v21
	ds_read_b64 v[16:17], v14 offset:8
	v_mov_b32_e32 v15, v11
	v_mov_b32_e32 v14, v10
.LBB162_44:
	s_or_b32 exec_lo, exec_lo, s6
	v_and_b32_e32 v25, 32, v22
	v_add_nc_u32_e32 v30, 1, v27
	v_cndmask_b32_e64 v10, v10, v12, s5
	v_add_nc_u32_e32 v12, 1, v29
	v_cndmask_b32_e64 v7, v5, v7, s4
	v_min_i32_e32 v28, v19, v25
	v_cndmask_b32_e64 v11, v11, v13, s5
	v_cndmask_b32_e64 v13, v1, v3, s3
	v_cndmask_b32_e64 v1, v30, v27, s5
	v_cndmask_b32_e64 v6, v4, v6, s4
	v_add_nc_u32_e32 v25, 16, v28
	v_cndmask_b32_e64 v4, v29, v12, s5
	v_and_b32_e32 v3, 28, v22
	s_waitcnt lgkmcnt(0)
	v_cmp_lt_i64_e64 s4, v[16:17], v[14:15]
	v_cmp_ge_i32_e64 s5, v1, v24
	v_min_i32_e32 v25, v19, v25
	v_cmp_lt_i32_e64 s6, v4, v26
	v_min_i32_e32 v1, v19, v3
	v_cndmask_b32_e64 v12, v0, v2, s3
	s_or_b32 s3, s5, s4
	v_add_nc_u32_e32 v5, 16, v25
	s_and_b32 s3, s6, s3
	v_sub_nc_u32_e32 v0, v25, v28
	v_cndmask_b32_e64 v15, v15, v17, s3
	v_cndmask_b32_e64 v14, v14, v16, s3
	v_min_i32_e32 v27, v19, v5
	s_mov_b32 s5, 0
	s_mov_b32 s4, exec_lo
	; wave barrier
	v_sub_nc_u32_e32 v3, v27, v25
	ds_write2_b64 v23, v[12:13], v[6:7] offset1:1
	ds_write2_b64 v23, v[10:11], v[14:15] offset0:2 offset1:3
	; wave barrier
	v_sub_nc_u32_e32 v2, v1, v3
	v_cmp_ge_i32_e64 s3, v1, v3
	v_cndmask_b32_e64 v4, 0, v2, s3
	v_min_i32_e32 v2, v1, v0
	v_lshl_add_u32 v0, v28, 3, v21
	v_cmpx_lt_i32_e64 v4, v2
	s_cbranch_execz .LBB162_48
; %bb.45:
	v_lshlrev_b32_e32 v3, 3, v25
	v_lshlrev_b32_e32 v5, 3, v1
	v_add3_u32 v3, v21, v3, v5
	.p2align	6
.LBB162_46:                             ; =>This Inner Loop Header: Depth=1
	v_sub_nc_u32_e32 v5, v2, v4
	v_lshrrev_b32_e32 v5, 1, v5
	v_add_nc_u32_e32 v7, v5, v4
	v_not_b32_e32 v5, v7
	v_lshl_add_u32 v6, v7, 3, v0
	v_lshl_add_u32 v10, v5, 3, v3
	ds_read_b64 v[5:6], v6
	ds_read_b64 v[10:11], v10
	s_waitcnt lgkmcnt(0)
	v_cmp_lt_i64_e64 s3, v[10:11], v[5:6]
	v_add_nc_u32_e32 v5, 1, v7
	v_cndmask_b32_e64 v2, v2, v7, s3
	v_cndmask_b32_e64 v4, v5, v4, s3
	v_cmp_ge_i32_e64 s3, v4, v2
	s_or_b32 s5, s3, s5
	s_andn2_b32 exec_lo, exec_lo, s5
	s_cbranch_execnz .LBB162_46
; %bb.47:
	s_or_b32 exec_lo, exec_lo, s5
.LBB162_48:
	s_or_b32 exec_lo, exec_lo, s4
	v_add_nc_u32_e32 v1, v25, v1
	v_lshl_add_u32 v6, v4, 3, v0
	v_add_nc_u32_e32 v11, v4, v28
	v_sub_nc_u32_e32 v10, v1, v4
                                        ; implicit-def: $vgpr4_vgpr5
	v_cmp_le_i32_e64 s4, v25, v11
	v_lshl_add_u32 v12, v10, 3, v21
	v_cmp_gt_i32_e64 s5, v27, v10
	ds_read_b64 v[0:1], v6
	ds_read_b64 v[2:3], v12
	s_waitcnt lgkmcnt(0)
	v_cmp_lt_i64_e64 s3, v[2:3], v[0:1]
	s_or_b32 s3, s4, s3
	s_and_b32 s3, s5, s3
	s_xor_b32 s4, s3, -1
	s_and_saveexec_b32 s5, s4
	s_xor_b32 s4, exec_lo, s5
; %bb.49:
	ds_read_b64 v[4:5], v6 offset:8
                                        ; implicit-def: $vgpr12
; %bb.50:
	s_or_saveexec_b32 s4, s4
	v_mov_b32_e32 v7, v3
	v_mov_b32_e32 v6, v2
	s_xor_b32 exec_lo, exec_lo, s4
	s_cbranch_execz .LBB162_52
; %bb.51:
	ds_read_b64 v[6:7], v12 offset:8
	s_waitcnt lgkmcnt(1)
	v_mov_b32_e32 v5, v1
	v_mov_b32_e32 v4, v0
.LBB162_52:
	s_or_b32 exec_lo, exec_lo, s4
	v_add_nc_u32_e32 v12, 1, v11
	v_add_nc_u32_e32 v13, 1, v10
	s_waitcnt lgkmcnt(0)
	v_cmp_lt_i64_e64 s4, v[6:7], v[4:5]
	v_cndmask_b32_e64 v15, v12, v11, s3
	v_cndmask_b32_e64 v14, v10, v13, s3
                                        ; implicit-def: $vgpr10_vgpr11
	v_cmp_ge_i32_e64 s5, v15, v25
	v_cmp_lt_i32_e64 s6, v14, v27
	s_or_b32 s4, s5, s4
	s_and_b32 s4, s6, s4
	s_xor_b32 s5, s4, -1
	s_and_saveexec_b32 s6, s5
	s_xor_b32 s5, exec_lo, s6
; %bb.53:
	v_lshl_add_u32 v10, v15, 3, v21
	ds_read_b64 v[10:11], v10 offset:8
; %bb.54:
	s_or_saveexec_b32 s5, s5
	v_mov_b32_e32 v13, v7
	v_mov_b32_e32 v12, v6
	s_xor_b32 exec_lo, exec_lo, s5
	s_cbranch_execz .LBB162_56
; %bb.55:
	s_waitcnt lgkmcnt(0)
	v_lshl_add_u32 v10, v14, 3, v21
	ds_read_b64 v[12:13], v10 offset:8
	v_mov_b32_e32 v11, v5
	v_mov_b32_e32 v10, v4
.LBB162_56:
	s_or_b32 exec_lo, exec_lo, s5
	v_add_nc_u32_e32 v16, 1, v15
	v_add_nc_u32_e32 v17, 1, v14
	s_waitcnt lgkmcnt(0)
	v_cmp_lt_i64_e64 s5, v[12:13], v[10:11]
	v_cndmask_b32_e64 v24, v16, v15, s4
	v_cndmask_b32_e64 v28, v14, v17, s4
                                        ; implicit-def: $vgpr14_vgpr15
	v_cmp_ge_i32_e64 s6, v24, v25
	v_cmp_lt_i32_e64 s7, v28, v27
	s_or_b32 s5, s6, s5
	s_and_b32 s5, s7, s5
	s_xor_b32 s6, s5, -1
	s_and_saveexec_b32 s7, s6
	s_xor_b32 s6, exec_lo, s7
; %bb.57:
	v_lshl_add_u32 v14, v24, 3, v21
	ds_read_b64 v[14:15], v14 offset:8
; %bb.58:
	s_or_saveexec_b32 s6, s6
	v_mov_b32_e32 v17, v13
	v_mov_b32_e32 v16, v12
	s_xor_b32 exec_lo, exec_lo, s6
	s_cbranch_execz .LBB162_60
; %bb.59:
	s_waitcnt lgkmcnt(0)
	v_lshl_add_u32 v14, v28, 3, v21
	ds_read_b64 v[16:17], v14 offset:8
	v_mov_b32_e32 v15, v11
	v_mov_b32_e32 v14, v10
.LBB162_60:
	s_or_b32 exec_lo, exec_lo, s6
	v_min_i32_e32 v26, 0, v19
	v_cndmask_b32_e64 v10, v10, v12, s5
	v_add_nc_u32_e32 v12, 1, v24
	v_add_nc_u32_e32 v29, 1, v28
	v_cndmask_b32_e64 v6, v4, v6, s4
	v_add_nc_u32_e32 v22, 32, v26
	v_cndmask_b32_e64 v11, v11, v13, s5
	v_cndmask_b32_e64 v4, v12, v24, s5
	;; [unrolled: 1-line block ×4, first 2 shown]
	v_min_i32_e32 v22, v19, v22
	v_cndmask_b32_e64 v7, v5, v7, s4
	s_waitcnt lgkmcnt(0)
	v_cmp_lt_i64_e64 s4, v[16:17], v[14:15]
	v_cmp_ge_i32_e64 s5, v4, v25
	v_cmp_lt_i32_e64 s6, v3, v27
	v_add_nc_u32_e32 v30, 32, v22
	v_min_i32_e32 v1, v19, v20
	v_cndmask_b32_e64 v12, v0, v2, s3
	s_or_b32 s3, s5, s4
	v_sub_nc_u32_e32 v0, v22, v26
	v_min_i32_e32 v24, v19, v30
	s_and_b32 s3, s6, s3
	s_mov_b32 s5, 0
	v_cndmask_b32_e64 v15, v15, v17, s3
	v_cndmask_b32_e64 v14, v14, v16, s3
	v_sub_nc_u32_e32 v4, v24, v22
	s_mov_b32 s4, exec_lo
	; wave barrier
	ds_write2_b64 v23, v[12:13], v[6:7] offset1:1
	v_sub_nc_u32_e32 v2, v1, v4
	v_cmp_ge_i32_e64 s3, v1, v4
	ds_write2_b64 v23, v[10:11], v[14:15] offset0:2 offset1:3
	; wave barrier
	v_cndmask_b32_e64 v4, 0, v2, s3
	v_min_i32_e32 v2, v1, v0
	v_lshl_add_u32 v0, v26, 3, v21
	v_cmpx_lt_i32_e64 v4, v2
	s_cbranch_execz .LBB162_64
; %bb.61:
	v_lshlrev_b32_e32 v3, 3, v22
	v_lshlrev_b32_e32 v5, 3, v1
	v_add3_u32 v3, v21, v3, v5
	.p2align	6
.LBB162_62:                             ; =>This Inner Loop Header: Depth=1
	v_sub_nc_u32_e32 v5, v2, v4
	v_lshrrev_b32_e32 v5, 1, v5
	v_add_nc_u32_e32 v7, v5, v4
	v_not_b32_e32 v5, v7
	v_lshl_add_u32 v6, v7, 3, v0
	v_lshl_add_u32 v10, v5, 3, v3
	ds_read_b64 v[5:6], v6
	ds_read_b64 v[10:11], v10
	s_waitcnt lgkmcnt(0)
	v_cmp_lt_i64_e64 s3, v[10:11], v[5:6]
	v_add_nc_u32_e32 v5, 1, v7
	v_cndmask_b32_e64 v2, v2, v7, s3
	v_cndmask_b32_e64 v4, v5, v4, s3
	v_cmp_ge_i32_e64 s3, v4, v2
	s_or_b32 s5, s3, s5
	s_andn2_b32 exec_lo, exec_lo, s5
	s_cbranch_execnz .LBB162_62
; %bb.63:
	s_or_b32 exec_lo, exec_lo, s5
.LBB162_64:
	s_or_b32 exec_lo, exec_lo, s4
	v_add_nc_u32_e32 v1, v22, v1
	v_lshl_add_u32 v6, v4, 3, v0
	v_add_nc_u32_e32 v11, v4, v26
	v_sub_nc_u32_e32 v10, v1, v4
                                        ; implicit-def: $vgpr4_vgpr5
	v_cmp_le_i32_e64 s4, v22, v11
	v_lshl_add_u32 v12, v10, 3, v21
	v_cmp_gt_i32_e64 s5, v24, v10
	ds_read_b64 v[0:1], v6
	ds_read_b64 v[2:3], v12
	s_waitcnt lgkmcnt(0)
	v_cmp_lt_i64_e64 s3, v[2:3], v[0:1]
	s_or_b32 s3, s4, s3
	s_and_b32 s3, s5, s3
	s_xor_b32 s4, s3, -1
	s_and_saveexec_b32 s5, s4
	s_xor_b32 s4, exec_lo, s5
; %bb.65:
	ds_read_b64 v[4:5], v6 offset:8
                                        ; implicit-def: $vgpr12
; %bb.66:
	s_or_saveexec_b32 s4, s4
	v_mov_b32_e32 v7, v3
	v_mov_b32_e32 v6, v2
	s_xor_b32 exec_lo, exec_lo, s4
	s_cbranch_execz .LBB162_68
; %bb.67:
	ds_read_b64 v[6:7], v12 offset:8
	s_waitcnt lgkmcnt(1)
	v_mov_b32_e32 v5, v1
	v_mov_b32_e32 v4, v0
.LBB162_68:
	s_or_b32 exec_lo, exec_lo, s4
	v_add_nc_u32_e32 v12, 1, v11
	v_add_nc_u32_e32 v13, 1, v10
	s_waitcnt lgkmcnt(0)
	v_cmp_lt_i64_e64 s4, v[6:7], v[4:5]
	v_cndmask_b32_e64 v15, v12, v11, s3
	v_cndmask_b32_e64 v14, v10, v13, s3
                                        ; implicit-def: $vgpr10_vgpr11
	v_cmp_ge_i32_e64 s5, v15, v22
	v_cmp_lt_i32_e64 s6, v14, v24
	s_or_b32 s4, s5, s4
	s_and_b32 s4, s6, s4
	s_xor_b32 s5, s4, -1
	s_and_saveexec_b32 s6, s5
	s_xor_b32 s5, exec_lo, s6
; %bb.69:
	v_lshl_add_u32 v10, v15, 3, v21
	ds_read_b64 v[10:11], v10 offset:8
; %bb.70:
	s_or_saveexec_b32 s5, s5
	v_mov_b32_e32 v13, v7
	v_mov_b32_e32 v12, v6
	s_xor_b32 exec_lo, exec_lo, s5
	s_cbranch_execz .LBB162_72
; %bb.71:
	s_waitcnt lgkmcnt(0)
	v_lshl_add_u32 v10, v14, 3, v21
	ds_read_b64 v[12:13], v10 offset:8
	v_mov_b32_e32 v11, v5
	v_mov_b32_e32 v10, v4
.LBB162_72:
	s_or_b32 exec_lo, exec_lo, s5
	v_add_nc_u32_e32 v16, 1, v15
	v_add_nc_u32_e32 v17, 1, v14
	s_waitcnt lgkmcnt(0)
	v_cmp_lt_i64_e64 s5, v[12:13], v[10:11]
                                        ; implicit-def: $vgpr20
	v_cndmask_b32_e64 v23, v16, v15, s4
	v_cndmask_b32_e64 v19, v14, v17, s4
                                        ; implicit-def: $vgpr14_vgpr15
	v_cmp_ge_i32_e64 s6, v23, v22
	v_cmp_lt_i32_e64 s7, v19, v24
	s_or_b32 s5, s6, s5
	s_and_b32 s5, s7, s5
	s_xor_b32 s6, s5, -1
	s_and_saveexec_b32 s7, s6
	s_xor_b32 s6, exec_lo, s7
; %bb.73:
	v_lshl_add_u32 v14, v23, 3, v21
	v_add_nc_u32_e32 v20, 1, v23
                                        ; implicit-def: $vgpr21
                                        ; implicit-def: $vgpr23
	ds_read_b64 v[14:15], v14 offset:8
; %bb.74:
	s_or_saveexec_b32 s6, s6
	v_mov_b32_e32 v17, v13
	v_mov_b32_e32 v16, v12
	s_xor_b32 exec_lo, exec_lo, s6
	s_cbranch_execz .LBB162_76
; %bb.75:
	s_waitcnt lgkmcnt(0)
	v_lshl_add_u32 v14, v19, 3, v21
	v_add_nc_u32_e32 v19, 1, v19
	v_mov_b32_e32 v20, v23
	ds_read_b64 v[16:17], v14 offset:8
	v_mov_b32_e32 v15, v11
	v_mov_b32_e32 v14, v10
.LBB162_76:
	s_or_b32 exec_lo, exec_lo, s6
	v_add_co_u32 v8, s6, s10, v8
	v_add_co_ci_u32_e64 v9, null, s11, v9, s6
	v_add_co_u32 v8, s6, v8, v18
	v_add_co_ci_u32_e64 v9, null, 0, v9, s6
	s_and_saveexec_b32 s6, vcc_lo
	s_cbranch_execnz .LBB162_81
; %bb.77:
	s_or_b32 exec_lo, exec_lo, s6
	s_and_saveexec_b32 s3, s0
	s_cbranch_execnz .LBB162_82
.LBB162_78:
	s_or_b32 exec_lo, exec_lo, s3
	s_and_saveexec_b32 s0, s1
	s_cbranch_execnz .LBB162_83
.LBB162_79:
	s_or_b32 exec_lo, exec_lo, s0
	s_and_saveexec_b32 s0, s2
	s_cbranch_execnz .LBB162_84
.LBB162_80:
	s_endpgm
.LBB162_81:
	v_cndmask_b32_e64 v1, v1, v3, s3
	v_cndmask_b32_e64 v0, v0, v2, s3
	global_store_dwordx2 v[8:9], v[0:1], off
	s_or_b32 exec_lo, exec_lo, s6
	s_and_saveexec_b32 s3, s0
	s_cbranch_execz .LBB162_78
.LBB162_82:
	v_cndmask_b32_e64 v1, v5, v7, s4
	v_cndmask_b32_e64 v0, v4, v6, s4
	global_store_dwordx2 v[8:9], v[0:1], off offset:8
	s_or_b32 exec_lo, exec_lo, s3
	s_and_saveexec_b32 s0, s1
	s_cbranch_execz .LBB162_79
.LBB162_83:
	v_cndmask_b32_e64 v1, v11, v13, s5
	v_cndmask_b32_e64 v0, v10, v12, s5
	global_store_dwordx2 v[8:9], v[0:1], off offset:16
	s_or_b32 exec_lo, exec_lo, s0
	s_and_saveexec_b32 s0, s2
	s_cbranch_execz .LBB162_80
.LBB162_84:
	s_waitcnt lgkmcnt(0)
	v_cmp_lt_i64_e32 vcc_lo, v[16:17], v[14:15]
	v_cmp_ge_i32_e64 s0, v20, v22
	v_cmp_lt_i32_e64 s1, v19, v24
	s_or_b32 s0, s0, vcc_lo
	s_and_b32 vcc_lo, s1, s0
	v_cndmask_b32_e32 v1, v15, v17, vcc_lo
	v_cndmask_b32_e32 v0, v14, v16, vcc_lo
	global_store_dwordx2 v[8:9], v[0:1], off offset:24
	s_endpgm
	.section	.rodata,"a",@progbits
	.p2align	6, 0x0
	.amdhsa_kernel _Z19sort_keys_segmentedILj256ELj16ELj4ExN10test_utils4lessEEvPKT2_PS2_PKjT3_
		.amdhsa_group_segment_fixed_size 8320
		.amdhsa_private_segment_fixed_size 0
		.amdhsa_kernarg_size 28
		.amdhsa_user_sgpr_count 6
		.amdhsa_user_sgpr_private_segment_buffer 1
		.amdhsa_user_sgpr_dispatch_ptr 0
		.amdhsa_user_sgpr_queue_ptr 0
		.amdhsa_user_sgpr_kernarg_segment_ptr 1
		.amdhsa_user_sgpr_dispatch_id 0
		.amdhsa_user_sgpr_flat_scratch_init 0
		.amdhsa_user_sgpr_private_segment_size 0
		.amdhsa_wavefront_size32 1
		.amdhsa_uses_dynamic_stack 0
		.amdhsa_system_sgpr_private_segment_wavefront_offset 0
		.amdhsa_system_sgpr_workgroup_id_x 1
		.amdhsa_system_sgpr_workgroup_id_y 0
		.amdhsa_system_sgpr_workgroup_id_z 0
		.amdhsa_system_sgpr_workgroup_info 0
		.amdhsa_system_vgpr_workitem_id 0
		.amdhsa_next_free_vgpr 31
		.amdhsa_next_free_sgpr 12
		.amdhsa_reserve_vcc 1
		.amdhsa_reserve_flat_scratch 0
		.amdhsa_float_round_mode_32 0
		.amdhsa_float_round_mode_16_64 0
		.amdhsa_float_denorm_mode_32 3
		.amdhsa_float_denorm_mode_16_64 3
		.amdhsa_dx10_clamp 1
		.amdhsa_ieee_mode 1
		.amdhsa_fp16_overflow 0
		.amdhsa_workgroup_processor_mode 1
		.amdhsa_memory_ordered 1
		.amdhsa_forward_progress 1
		.amdhsa_shared_vgpr_count 0
		.amdhsa_exception_fp_ieee_invalid_op 0
		.amdhsa_exception_fp_denorm_src 0
		.amdhsa_exception_fp_ieee_div_zero 0
		.amdhsa_exception_fp_ieee_overflow 0
		.amdhsa_exception_fp_ieee_underflow 0
		.amdhsa_exception_fp_ieee_inexact 0
		.amdhsa_exception_int_div_zero 0
	.end_amdhsa_kernel
	.section	.text._Z19sort_keys_segmentedILj256ELj16ELj4ExN10test_utils4lessEEvPKT2_PS2_PKjT3_,"axG",@progbits,_Z19sort_keys_segmentedILj256ELj16ELj4ExN10test_utils4lessEEvPKT2_PS2_PKjT3_,comdat
.Lfunc_end162:
	.size	_Z19sort_keys_segmentedILj256ELj16ELj4ExN10test_utils4lessEEvPKT2_PS2_PKjT3_, .Lfunc_end162-_Z19sort_keys_segmentedILj256ELj16ELj4ExN10test_utils4lessEEvPKT2_PS2_PKjT3_
                                        ; -- End function
	.set _Z19sort_keys_segmentedILj256ELj16ELj4ExN10test_utils4lessEEvPKT2_PS2_PKjT3_.num_vgpr, 31
	.set _Z19sort_keys_segmentedILj256ELj16ELj4ExN10test_utils4lessEEvPKT2_PS2_PKjT3_.num_agpr, 0
	.set _Z19sort_keys_segmentedILj256ELj16ELj4ExN10test_utils4lessEEvPKT2_PS2_PKjT3_.numbered_sgpr, 12
	.set _Z19sort_keys_segmentedILj256ELj16ELj4ExN10test_utils4lessEEvPKT2_PS2_PKjT3_.num_named_barrier, 0
	.set _Z19sort_keys_segmentedILj256ELj16ELj4ExN10test_utils4lessEEvPKT2_PS2_PKjT3_.private_seg_size, 0
	.set _Z19sort_keys_segmentedILj256ELj16ELj4ExN10test_utils4lessEEvPKT2_PS2_PKjT3_.uses_vcc, 1
	.set _Z19sort_keys_segmentedILj256ELj16ELj4ExN10test_utils4lessEEvPKT2_PS2_PKjT3_.uses_flat_scratch, 0
	.set _Z19sort_keys_segmentedILj256ELj16ELj4ExN10test_utils4lessEEvPKT2_PS2_PKjT3_.has_dyn_sized_stack, 0
	.set _Z19sort_keys_segmentedILj256ELj16ELj4ExN10test_utils4lessEEvPKT2_PS2_PKjT3_.has_recursion, 0
	.set _Z19sort_keys_segmentedILj256ELj16ELj4ExN10test_utils4lessEEvPKT2_PS2_PKjT3_.has_indirect_call, 0
	.section	.AMDGPU.csdata,"",@progbits
; Kernel info:
; codeLenInByte = 4304
; TotalNumSgprs: 14
; NumVgprs: 31
; ScratchSize: 0
; MemoryBound: 1
; FloatMode: 240
; IeeeMode: 1
; LDSByteSize: 8320 bytes/workgroup (compile time only)
; SGPRBlocks: 0
; VGPRBlocks: 3
; NumSGPRsForWavesPerEU: 14
; NumVGPRsForWavesPerEU: 31
; Occupancy: 16
; WaveLimiterHint : 0
; COMPUTE_PGM_RSRC2:SCRATCH_EN: 0
; COMPUTE_PGM_RSRC2:USER_SGPR: 6
; COMPUTE_PGM_RSRC2:TRAP_HANDLER: 0
; COMPUTE_PGM_RSRC2:TGID_X_EN: 1
; COMPUTE_PGM_RSRC2:TGID_Y_EN: 0
; COMPUTE_PGM_RSRC2:TGID_Z_EN: 0
; COMPUTE_PGM_RSRC2:TIDIG_COMP_CNT: 0
	.section	.text._Z20sort_pairs_segmentedILj256ELj16ELj4ExN10test_utils4lessEEvPKT2_PS2_PKjT3_,"axG",@progbits,_Z20sort_pairs_segmentedILj256ELj16ELj4ExN10test_utils4lessEEvPKT2_PS2_PKjT3_,comdat
	.protected	_Z20sort_pairs_segmentedILj256ELj16ELj4ExN10test_utils4lessEEvPKT2_PS2_PKjT3_ ; -- Begin function _Z20sort_pairs_segmentedILj256ELj16ELj4ExN10test_utils4lessEEvPKT2_PS2_PKjT3_
	.globl	_Z20sort_pairs_segmentedILj256ELj16ELj4ExN10test_utils4lessEEvPKT2_PS2_PKjT3_
	.p2align	8
	.type	_Z20sort_pairs_segmentedILj256ELj16ELj4ExN10test_utils4lessEEvPKT2_PS2_PKjT3_,@function
_Z20sort_pairs_segmentedILj256ELj16ELj4ExN10test_utils4lessEEvPKT2_PS2_PKjT3_: ; @_Z20sort_pairs_segmentedILj256ELj16ELj4ExN10test_utils4lessEEvPKT2_PS2_PKjT3_
; %bb.0:
	s_clause 0x1
	s_load_dwordx2 s[0:1], s[4:5], 0x10
	s_load_dwordx4 s[8:11], s[4:5], 0x0
	v_lshrrev_b32_e32 v36, 4, v0
	v_mov_b32_e32 v1, 0
	v_lshl_or_b32 v0, s6, 4, v36
	v_mov_b32_e32 v4, v1
	v_mov_b32_e32 v5, v1
	;; [unrolled: 1-line block ×3, first 2 shown]
	v_lshlrev_b64 v[2:3], 2, v[0:1]
	v_lshlrev_b32_e32 v0, 6, v0
	v_lshlrev_b64 v[18:19], 3, v[0:1]
	v_mov_b32_e32 v0, v1
	s_waitcnt lgkmcnt(0)
	v_add_co_u32 v2, vcc_lo, s0, v2
	v_add_co_ci_u32_e64 v3, null, s1, v3, vcc_lo
	v_add_co_u32 v7, vcc_lo, s8, v18
	v_add_co_ci_u32_e64 v9, null, s9, v19, vcc_lo
	global_load_dword v33, v[2:3], off
	v_mbcnt_lo_u32_b32 v2, -1, 0
	v_mov_b32_e32 v3, v1
	v_lshlrev_b32_e32 v35, 2, v2
	v_mov_b32_e32 v2, v1
	v_and_b32_e32 v34, 60, v35
	v_lshlrev_b32_e32 v32, 3, v34
	v_add_co_u32 v8, vcc_lo, v7, v32
	v_add_co_ci_u32_e64 v9, null, 0, v9, vcc_lo
	v_mov_b32_e32 v7, v1
	s_waitcnt vmcnt(0)
	v_cmp_lt_u32_e32 vcc_lo, v34, v33
	s_and_saveexec_b32 s0, vcc_lo
	s_cbranch_execz .LBB163_2
; %bb.1:
	global_load_dwordx2 v[10:11], v[8:9], off
	v_mov_b32_e32 v12, v1
	v_mov_b32_e32 v13, v1
	;; [unrolled: 1-line block ×6, first 2 shown]
	s_waitcnt vmcnt(0)
	v_mov_b32_e32 v0, v10
	v_mov_b32_e32 v1, v11
	;; [unrolled: 1-line block ×8, first 2 shown]
.LBB163_2:
	s_or_b32 exec_lo, exec_lo, s0
	v_or_b32_e32 v12, 1, v34
	v_cmp_lt_u32_e64 s0, v12, v33
	s_and_saveexec_b32 s1, s0
	s_cbranch_execz .LBB163_4
; %bb.3:
	global_load_dwordx2 v[2:3], v[8:9], off offset:8
.LBB163_4:
	s_or_b32 exec_lo, exec_lo, s1
	v_or_b32_e32 v10, 2, v34
	v_cmp_lt_u32_e64 s1, v10, v33
	s_and_saveexec_b32 s2, s1
	s_cbranch_execz .LBB163_6
; %bb.5:
	global_load_dwordx2 v[4:5], v[8:9], off offset:16
.LBB163_6:
	;; [unrolled: 8-line block ×3, first 2 shown]
	s_or_b32 exec_lo, exec_lo, s3
	v_add_co_u32 v20, s3, v0, 1
	v_add_co_ci_u32_e64 v21, null, 0, v1, s3
	s_waitcnt vmcnt(0)
	v_add_co_u32 v22, s3, v2, 1
	v_add_co_ci_u32_e64 v23, null, 0, v3, s3
	v_add_co_u32 v24, s3, v4, 1
	v_add_co_ci_u32_e64 v25, null, 0, v5, s3
	v_cmp_lt_i32_e64 s3, v10, v33
	v_cmp_lt_i32_e64 s4, v11, v33
	v_add_co_u32 v10, s5, v6, 1
	v_add_co_ci_u32_e64 v11, null, 0, v7, s5
	v_cmp_lt_i32_e64 s5, v12, v33
	s_or_b32 s3, s4, s3
	v_cndmask_b32_e64 v9, 0x7fffffff, v7, s4
	v_cndmask_b32_e64 v27, 0x7fffffff, v5, s3
	v_cndmask_b32_e64 v26, -1, v4, s3
	s_or_b32 s3, s3, s5
	v_cndmask_b32_e64 v8, -1, v6, s4
	v_cndmask_b32_e64 v3, 0x7fffffff, v3, s3
	v_cndmask_b32_e64 v2, -1, v2, s3
	s_mov_b32 s6, exec_lo
	v_cmpx_lt_i32_e64 v34, v33
	s_cbranch_execz .LBB163_18
; %bb.9:
	v_cmp_lt_i64_e64 s3, v[2:3], v[0:1]
	v_mov_b32_e32 v29, v11
	v_mov_b32_e32 v6, v26
	;; [unrolled: 1-line block ×4, first 2 shown]
	s_mov_b32 s5, exec_lo
	v_cndmask_b32_e64 v5, v3, v1, s3
	v_cndmask_b32_e64 v4, v2, v0, s3
	;; [unrolled: 1-line block ×4, first 2 shown]
	v_cmpx_lt_i64_e64 v[8:9], v[26:27]
	s_cbranch_execz .LBB163_11
; %bb.10:
	v_mov_b32_e32 v0, v26
	v_mov_b32_e32 v1, v27
	;; [unrolled: 1-line block ×12, first 2 shown]
.LBB163_11:
	s_or_b32 exec_lo, exec_lo, s5
	v_mov_b32_e32 v17, v9
	v_cmp_lt_i64_e64 s4, v[26:27], v[4:5]
	v_mov_b32_e32 v16, v8
	v_mov_b32_e32 v15, v7
	;; [unrolled: 1-line block ×8, first 2 shown]
	v_cndmask_b32_e64 v31, v23, v21, s3
	v_cndmask_b32_e64 v30, v22, v20, s3
	v_mov_b32_e32 v7, v25
	s_and_saveexec_b32 s5, s4
	s_xor_b32 s4, exec_lo, s5
	s_cbranch_execz .LBB163_13
; %bb.12:
	v_mov_b32_e32 v17, v9
	v_mov_b32_e32 v16, v8
	;; [unrolled: 1-line block ×20, first 2 shown]
.LBB163_13:
	s_or_b32 exec_lo, exec_lo, s4
	v_cmp_lt_i64_e64 s4, v[4:5], v[2:3]
	v_mov_b32_e32 v27, v15
	v_mov_b32_e32 v8, v16
	;; [unrolled: 1-line block ×4, first 2 shown]
	s_mov_b32 s7, exec_lo
	v_cndmask_b32_e64 v3, v13, v11, s4
	v_cndmask_b32_e64 v2, v12, v10, s4
	;; [unrolled: 1-line block ×4, first 2 shown]
	v_mov_b32_e32 v10, v28
	v_mov_b32_e32 v11, v29
	v_cmpx_lt_i64_e64 v[8:9], v[14:15]
	s_cbranch_execz .LBB163_15
; %bb.14:
	v_mov_b32_e32 v4, v14
	v_mov_b32_e32 v5, v15
	;; [unrolled: 1-line block ×12, first 2 shown]
.LBB163_15:
	s_or_b32 exec_lo, exec_lo, s7
	v_cndmask_b32_e64 v12, v21, v23, s3
	v_cndmask_b32_e64 v13, v20, v22, s3
	;; [unrolled: 1-line block ×6, first 2 shown]
	s_mov_b32 s4, exec_lo
	v_mov_b32_e32 v23, v5
	v_mov_b32_e32 v22, v4
	v_cmpx_lt_i64_e64 v[14:15], v[2:3]
	s_cbranch_execz .LBB163_17
; %bb.16:
	v_mov_b32_e32 v27, v3
	v_mov_b32_e32 v23, v7
	;; [unrolled: 1-line block ×8, first 2 shown]
.LBB163_17:
	s_or_b32 exec_lo, exec_lo, s4
	v_mov_b32_e32 v25, v7
	v_mov_b32_e32 v24, v6
.LBB163_18:
	s_or_b32 exec_lo, exec_lo, s6
	v_and_b32_e32 v4, 56, v35
	v_and_b32_e32 v6, 4, v35
	v_mad_u32_u24 v31, 0x208, v36, v32
	v_mul_u32_u24_e32 v30, 0x208, v36
	v_min_i32_e32 v7, v33, v4
	v_min_i32_e32 v6, v33, v6
	; wave barrier
	v_mov_b32_e32 v12, v8
	ds_write2_b64 v31, v[0:1], v[2:3] offset1:1
	v_add_nc_u32_e32 v4, 4, v7
	v_lshlrev_b32_e32 v16, 3, v7
	s_mov_b32 s5, 0
	s_mov_b32 s4, exec_lo
	v_min_i32_e32 v4, v33, v4
	v_mad_u32_u24 v0, 0x208, v36, v16
	v_add_nc_u32_e32 v5, 4, v4
	v_sub_nc_u32_e32 v15, v4, v7
	v_min_i32_e32 v5, v33, v5
	v_min_i32_e32 v8, v6, v15
	v_sub_nc_u32_e32 v13, v5, v4
	v_sub_nc_u32_e32 v14, v6, v13
	v_cmp_ge_i32_e64 s3, v6, v13
	v_mov_b32_e32 v13, v9
	v_cndmask_b32_e64 v14, 0, v14, s3
	ds_write2_b64 v31, v[26:27], v[12:13] offset0:2 offset1:3
	; wave barrier
	v_cmpx_lt_i32_e64 v14, v8
	s_cbranch_execz .LBB163_22
; %bb.19:
	v_lshlrev_b32_e32 v1, 3, v4
	v_lshlrev_b32_e32 v2, 3, v6
	v_add3_u32 v1, v30, v1, v2
	.p2align	6
.LBB163_20:                             ; =>This Inner Loop Header: Depth=1
	v_sub_nc_u32_e32 v2, v8, v14
	v_lshrrev_b32_e32 v2, 1, v2
	v_add_nc_u32_e32 v9, v2, v14
	v_not_b32_e32 v2, v9
	v_lshl_add_u32 v3, v9, 3, v0
	v_lshl_add_u32 v12, v2, 3, v1
	ds_read_b64 v[2:3], v3
	ds_read_b64 v[12:13], v12
	s_waitcnt lgkmcnt(0)
	v_cmp_lt_i64_e64 s3, v[12:13], v[2:3]
	v_add_nc_u32_e32 v2, 1, v9
	v_cndmask_b32_e64 v8, v8, v9, s3
	v_cndmask_b32_e64 v14, v2, v14, s3
	v_cmp_ge_i32_e64 s3, v14, v8
	s_or_b32 s5, s3, s5
	s_andn2_b32 exec_lo, exec_lo, s5
	s_cbranch_execnz .LBB163_20
; %bb.21:
	s_or_b32 exec_lo, exec_lo, s5
.LBB163_22:
	s_or_b32 exec_lo, exec_lo, s4
	v_add_nc_u32_e32 v1, v4, v6
	v_add_nc_u32_e32 v7, v14, v7
	v_sub_nc_u32_e32 v6, v1, v14
	v_lshl_add_u32 v1, v14, 3, v0
	v_cmp_le_i32_e64 s4, v4, v7
                                        ; implicit-def: $vgpr14_vgpr15
	v_lshl_add_u32 v0, v6, 3, v30
	v_cmp_gt_i32_e64 s5, v5, v6
	ds_read_b64 v[8:9], v1
	ds_read_b64 v[12:13], v0
	s_waitcnt lgkmcnt(0)
	v_cmp_lt_i64_e64 s3, v[12:13], v[8:9]
	s_or_b32 s3, s4, s3
	s_and_b32 s3, s5, s3
	s_xor_b32 s4, s3, -1
	s_and_saveexec_b32 s5, s4
	s_xor_b32 s4, exec_lo, s5
; %bb.23:
	ds_read_b64 v[14:15], v1 offset:8
                                        ; implicit-def: $vgpr0
; %bb.24:
	s_or_saveexec_b32 s4, s4
	v_mov_b32_e32 v17, v13
	v_mov_b32_e32 v16, v12
	s_xor_b32 exec_lo, exec_lo, s4
	s_cbranch_execz .LBB163_26
; %bb.25:
	ds_read_b64 v[16:17], v0 offset:8
	s_waitcnt lgkmcnt(1)
	v_mov_b32_e32 v15, v9
	v_mov_b32_e32 v14, v8
.LBB163_26:
	s_or_b32 exec_lo, exec_lo, s4
	v_add_nc_u32_e32 v0, 1, v7
	v_add_nc_u32_e32 v1, 1, v6
	s_waitcnt lgkmcnt(0)
	v_cmp_lt_i64_e64 s4, v[16:17], v[14:15]
	v_cndmask_b32_e64 v36, v0, v7, s3
	v_cndmask_b32_e64 v37, v6, v1, s3
                                        ; implicit-def: $vgpr0_vgpr1
	v_cmp_ge_i32_e64 s5, v36, v4
	v_cmp_lt_i32_e64 s6, v37, v5
	s_or_b32 s4, s5, s4
	s_and_b32 s4, s6, s4
	s_xor_b32 s5, s4, -1
	s_and_saveexec_b32 s6, s5
	s_xor_b32 s5, exec_lo, s6
; %bb.27:
	v_lshl_add_u32 v0, v36, 3, v30
	ds_read_b64 v[0:1], v0 offset:8
; %bb.28:
	s_or_saveexec_b32 s5, s5
	v_mov_b32_e32 v2, v16
	v_mov_b32_e32 v3, v17
	s_xor_b32 exec_lo, exec_lo, s5
	s_cbranch_execz .LBB163_30
; %bb.29:
	s_waitcnt lgkmcnt(0)
	v_lshl_add_u32 v0, v37, 3, v30
	ds_read_b64 v[2:3], v0 offset:8
	v_mov_b32_e32 v0, v14
	v_mov_b32_e32 v1, v15
.LBB163_30:
	s_or_b32 exec_lo, exec_lo, s5
	v_add_nc_u32_e32 v26, 1, v36
	v_add_nc_u32_e32 v27, 1, v37
	s_waitcnt lgkmcnt(0)
	v_cmp_lt_i64_e64 s5, v[2:3], v[0:1]
	v_cndmask_b32_e64 v39, v26, v36, s4
	v_cndmask_b32_e64 v40, v37, v27, s4
                                        ; implicit-def: $vgpr26_vgpr27
	v_cmp_ge_i32_e64 s6, v39, v4
	v_cmp_lt_i32_e64 s7, v40, v5
	s_or_b32 s5, s6, s5
	s_and_b32 s5, s7, s5
	s_xor_b32 s6, s5, -1
	s_and_saveexec_b32 s7, s6
	s_xor_b32 s6, exec_lo, s7
; %bb.31:
	v_lshl_add_u32 v26, v39, 3, v30
	ds_read_b64 v[26:27], v26 offset:8
; %bb.32:
	s_or_saveexec_b32 s6, s6
	v_mov_b32_e32 v29, v3
	v_mov_b32_e32 v28, v2
	s_xor_b32 exec_lo, exec_lo, s6
	s_cbranch_execz .LBB163_34
; %bb.33:
	s_waitcnt lgkmcnt(0)
	v_lshl_add_u32 v26, v40, 3, v30
	ds_read_b64 v[28:29], v26 offset:8
	v_mov_b32_e32 v27, v1
	v_mov_b32_e32 v26, v0
.LBB163_34:
	s_or_b32 exec_lo, exec_lo, s6
	v_add_nc_u32_e32 v38, 1, v39
	v_and_b32_e32 v43, 48, v35
	v_add_nc_u32_e32 v44, 1, v40
	v_cndmask_b32_e64 v41, v0, v2, s5
	v_cndmask_b32_e64 v42, v1, v3, s5
	;; [unrolled: 1-line block ×3, first 2 shown]
	v_min_i32_e32 v38, v33, v43
	v_cndmask_b32_e64 v1, v40, v44, s5
	v_cndmask_b32_e64 v2, v39, v40, s5
	s_waitcnt lgkmcnt(0)
	v_cmp_lt_i64_e64 s5, v[28:29], v[26:27]
	v_cmp_ge_i32_e64 s6, v0, v4
	v_add_nc_u32_e32 v3, 8, v38
	v_cmp_lt_i32_e64 s7, v1, v5
	v_cndmask_b32_e64 v4, v36, v37, s4
	v_cndmask_b32_e64 v5, v7, v6, s3
	s_or_b32 s5, s6, s5
	v_min_i32_e32 v36, v33, v3
	s_and_b32 s5, s7, s5
	v_lshl_add_u32 v4, v4, 3, v30
	v_cndmask_b32_e64 v0, v0, v1, s5
	v_lshl_add_u32 v3, v5, 3, v30
	v_add_nc_u32_e32 v1, 8, v36
	v_and_b32_e32 v5, 12, v35
	v_lshl_add_u32 v2, v2, 3, v30
	v_lshl_add_u32 v6, v0, 3, v30
	v_cndmask_b32_e64 v29, v27, v29, s5
	; wave barrier
	ds_write2_b64 v31, v[20:21], v[22:23] offset1:1
	ds_write2_b64 v31, v[24:25], v[10:11] offset0:2 offset1:3
	; wave barrier
	v_min_i32_e32 v27, v33, v1
	v_min_i32_e32 v10, v33, v5
	ds_read_b64 v[0:1], v3
	ds_read_b64 v[4:5], v4
	;; [unrolled: 1-line block ×4, first 2 shown]
	v_cndmask_b32_e64 v15, v15, v17, s4
	v_cndmask_b32_e64 v14, v14, v16, s4
	v_sub_nc_u32_e32 v11, v27, v36
	v_cndmask_b32_e64 v17, v9, v13, s3
	v_sub_nc_u32_e32 v13, v36, v38
	v_cndmask_b32_e64 v16, v8, v12, s3
	v_cndmask_b32_e64 v28, v26, v28, s5
	v_sub_nc_u32_e32 v9, v10, v11
	v_cmp_ge_i32_e64 s3, v10, v11
	v_lshl_add_u32 v8, v38, 3, v30
	s_mov_b32 s5, 0
	s_mov_b32 s4, exec_lo
	v_cndmask_b32_e64 v12, 0, v9, s3
	v_min_i32_e32 v9, v10, v13
	; wave barrier
	ds_write2_b64 v31, v[16:17], v[14:15] offset1:1
	ds_write2_b64 v31, v[41:42], v[28:29] offset0:2 offset1:3
	; wave barrier
	v_cmpx_lt_i32_e64 v12, v9
	s_cbranch_execz .LBB163_38
; %bb.35:
	v_lshlrev_b32_e32 v11, 3, v36
	v_lshlrev_b32_e32 v13, 3, v10
	v_add3_u32 v11, v30, v11, v13
	.p2align	6
.LBB163_36:                             ; =>This Inner Loop Header: Depth=1
	v_sub_nc_u32_e32 v13, v9, v12
	v_lshrrev_b32_e32 v13, 1, v13
	v_add_nc_u32_e32 v17, v13, v12
	v_not_b32_e32 v13, v17
	v_lshl_add_u32 v14, v17, 3, v8
	v_lshl_add_u32 v15, v13, 3, v11
	ds_read_b64 v[13:14], v14
	ds_read_b64 v[15:16], v15
	s_waitcnt lgkmcnt(0)
	v_cmp_lt_i64_e64 s3, v[15:16], v[13:14]
	v_add_nc_u32_e32 v13, 1, v17
	v_cndmask_b32_e64 v9, v9, v17, s3
	v_cndmask_b32_e64 v12, v13, v12, s3
	v_cmp_ge_i32_e64 s3, v12, v9
	s_or_b32 s5, s3, s5
	s_andn2_b32 exec_lo, exec_lo, s5
	s_cbranch_execnz .LBB163_36
; %bb.37:
	s_or_b32 exec_lo, exec_lo, s5
.LBB163_38:
	s_or_b32 exec_lo, exec_lo, s4
	v_add_nc_u32_e32 v9, v36, v10
	v_lshl_add_u32 v14, v12, 3, v8
	v_add_nc_u32_e32 v28, v12, v38
	v_sub_nc_u32_e32 v26, v9, v12
                                        ; implicit-def: $vgpr12_vgpr13
	v_cmp_le_i32_e64 s4, v36, v28
	v_lshl_add_u32 v16, v26, 3, v30
	v_cmp_gt_i32_e64 s5, v27, v26
	ds_read_b64 v[8:9], v14
	ds_read_b64 v[10:11], v16
	s_waitcnt lgkmcnt(0)
	v_cmp_lt_i64_e64 s3, v[10:11], v[8:9]
	s_or_b32 s3, s4, s3
	s_and_b32 s3, s5, s3
	s_xor_b32 s4, s3, -1
	s_and_saveexec_b32 s5, s4
	s_xor_b32 s4, exec_lo, s5
; %bb.39:
	ds_read_b64 v[12:13], v14 offset:8
                                        ; implicit-def: $vgpr16
; %bb.40:
	s_or_saveexec_b32 s4, s4
	v_mov_b32_e32 v15, v11
	v_mov_b32_e32 v14, v10
	s_xor_b32 exec_lo, exec_lo, s4
	s_cbranch_execz .LBB163_42
; %bb.41:
	ds_read_b64 v[14:15], v16 offset:8
	s_waitcnt lgkmcnt(1)
	v_mov_b32_e32 v13, v9
	v_mov_b32_e32 v12, v8
.LBB163_42:
	s_or_b32 exec_lo, exec_lo, s4
	v_add_nc_u32_e32 v16, 1, v28
	v_add_nc_u32_e32 v17, 1, v26
	s_waitcnt lgkmcnt(0)
	v_cmp_lt_i64_e64 s4, v[14:15], v[12:13]
                                        ; implicit-def: $vgpr20_vgpr21
	v_cndmask_b32_e64 v29, v16, v28, s3
	v_cndmask_b32_e64 v37, v26, v17, s3
	v_cmp_ge_i32_e64 s5, v29, v36
	v_cmp_lt_i32_e64 s6, v37, v27
	s_or_b32 s4, s5, s4
	s_and_b32 s4, s6, s4
	s_xor_b32 s5, s4, -1
	s_and_saveexec_b32 s6, s5
	s_xor_b32 s5, exec_lo, s6
; %bb.43:
	v_lshl_add_u32 v16, v29, 3, v30
	ds_read_b64 v[20:21], v16 offset:8
; %bb.44:
	s_or_saveexec_b32 s5, s5
	v_mov_b32_e32 v25, v15
	v_mov_b32_e32 v24, v14
	s_xor_b32 exec_lo, exec_lo, s5
	s_cbranch_execz .LBB163_46
; %bb.45:
	v_lshl_add_u32 v16, v37, 3, v30
	s_waitcnt lgkmcnt(0)
	v_mov_b32_e32 v21, v13
	v_mov_b32_e32 v20, v12
	ds_read_b64 v[24:25], v16 offset:8
.LBB163_46:
	s_or_b32 exec_lo, exec_lo, s5
	v_add_nc_u32_e32 v16, 1, v29
	v_add_nc_u32_e32 v17, 1, v37
	s_waitcnt lgkmcnt(0)
	v_cmp_lt_i64_e64 s5, v[24:25], v[20:21]
	v_cndmask_b32_e64 v38, v16, v29, s4
	v_cndmask_b32_e64 v39, v37, v17, s4
                                        ; implicit-def: $vgpr16_vgpr17
	v_cmp_ge_i32_e64 s6, v38, v36
	v_cmp_lt_i32_e64 s7, v39, v27
	s_or_b32 s5, s6, s5
	s_and_b32 s5, s7, s5
	s_xor_b32 s6, s5, -1
	s_and_saveexec_b32 s7, s6
	s_xor_b32 s6, exec_lo, s7
; %bb.47:
	v_lshl_add_u32 v16, v38, 3, v30
	ds_read_b64 v[16:17], v16 offset:8
; %bb.48:
	s_or_saveexec_b32 s6, s6
	v_mov_b32_e32 v22, v24
	v_mov_b32_e32 v23, v25
	s_xor_b32 exec_lo, exec_lo, s6
	s_cbranch_execz .LBB163_50
; %bb.49:
	s_waitcnt lgkmcnt(0)
	v_lshl_add_u32 v16, v39, 3, v30
	ds_read_b64 v[22:23], v16 offset:8
	v_mov_b32_e32 v16, v20
	v_mov_b32_e32 v17, v21
.LBB163_50:
	s_or_b32 exec_lo, exec_lo, s6
	v_add_nc_u32_e32 v40, 1, v38
	v_and_b32_e32 v41, 32, v35
	v_add_nc_u32_e32 v42, 1, v39
	v_cndmask_b32_e64 v25, v21, v25, s5
	v_cndmask_b32_e64 v24, v20, v24, s5
	;; [unrolled: 1-line block ×3, first 2 shown]
	v_min_i32_e32 v20, v33, v41
	v_cndmask_b32_e64 v40, v39, v42, s5
	v_cndmask_b32_e64 v38, v38, v39, s5
	s_waitcnt lgkmcnt(0)
	v_cmp_lt_i64_e64 s5, v[22:23], v[16:17]
	v_cmp_ge_i32_e64 s6, v21, v36
	v_add_nc_u32_e32 v36, 16, v20
	v_cmp_lt_i32_e64 s7, v40, v27
	v_cndmask_b32_e64 v27, v28, v26, s3
	v_cndmask_b32_e64 v29, v29, v37, s4
	s_or_b32 s5, s6, s5
	v_min_i32_e32 v26, v33, v36
	s_and_b32 s5, s7, s5
	; wave barrier
	ds_write2_b64 v31, v[0:1], v[4:5] offset1:1
	ds_write2_b64 v31, v[2:3], v[6:7] offset0:2 offset1:3
	v_add_nc_u32_e32 v0, 16, v26
	v_cndmask_b32_e64 v23, v17, v23, s5
	v_cndmask_b32_e64 v17, v21, v40, s5
	v_lshl_add_u32 v1, v27, 3, v30
	v_and_b32_e32 v2, 28, v35
	v_min_i32_e32 v27, v33, v0
	v_lshl_add_u32 v0, v29, 3, v30
	v_lshl_add_u32 v4, v38, 3, v30
	;; [unrolled: 1-line block ×3, first 2 shown]
	; wave barrier
	v_min_i32_e32 v17, v33, v2
	ds_read_b64 v[2:3], v1
	ds_read_b64 v[6:7], v0
	;; [unrolled: 1-line block ×4, first 2 shown]
	v_sub_nc_u32_e32 v21, v27, v26
	v_cndmask_b32_e64 v15, v13, v15, s4
	v_cndmask_b32_e64 v11, v9, v11, s3
	v_sub_nc_u32_e32 v13, v26, v20
	v_cndmask_b32_e64 v10, v8, v10, s3
	v_sub_nc_u32_e32 v9, v17, v21
	v_cmp_ge_i32_e64 s3, v17, v21
	v_cndmask_b32_e64 v14, v12, v14, s4
	v_cndmask_b32_e64 v22, v16, v22, s5
	v_lshl_add_u32 v8, v20, 3, v30
	s_mov_b32 s5, 0
	v_cndmask_b32_e64 v12, 0, v9, s3
	v_min_i32_e32 v9, v17, v13
	s_mov_b32 s4, exec_lo
	; wave barrier
	ds_write2_b64 v31, v[10:11], v[14:15] offset1:1
	ds_write2_b64 v31, v[24:25], v[22:23] offset0:2 offset1:3
	; wave barrier
	v_cmpx_lt_i32_e64 v12, v9
	s_cbranch_execz .LBB163_54
; %bb.51:
	v_lshlrev_b32_e32 v10, 3, v26
	v_lshlrev_b32_e32 v11, 3, v17
	v_add3_u32 v10, v30, v10, v11
	.p2align	6
.LBB163_52:                             ; =>This Inner Loop Header: Depth=1
	v_sub_nc_u32_e32 v11, v9, v12
	v_lshrrev_b32_e32 v11, 1, v11
	v_add_nc_u32_e32 v11, v11, v12
	v_not_b32_e32 v13, v11
	v_lshl_add_u32 v14, v11, 3, v8
	v_lshl_add_u32 v15, v13, 3, v10
	ds_read_b64 v[13:14], v14
	ds_read_b64 v[15:16], v15
	s_waitcnt lgkmcnt(0)
	v_cmp_lt_i64_e64 s3, v[15:16], v[13:14]
	v_add_nc_u32_e32 v13, 1, v11
	v_cndmask_b32_e64 v9, v9, v11, s3
	v_cndmask_b32_e64 v12, v13, v12, s3
	v_cmp_ge_i32_e64 s3, v12, v9
	s_or_b32 s5, s3, s5
	s_andn2_b32 exec_lo, exec_lo, s5
	s_cbranch_execnz .LBB163_52
; %bb.53:
	s_or_b32 exec_lo, exec_lo, s5
.LBB163_54:
	s_or_b32 exec_lo, exec_lo, s4
	v_add_nc_u32_e32 v9, v26, v17
	v_lshl_add_u32 v14, v12, 3, v8
	v_add_nc_u32_e32 v29, v12, v20
	v_sub_nc_u32_e32 v28, v9, v12
                                        ; implicit-def: $vgpr12_vgpr13
	v_cmp_le_i32_e64 s4, v26, v29
	v_lshl_add_u32 v16, v28, 3, v30
	v_cmp_gt_i32_e64 s5, v27, v28
	ds_read_b64 v[8:9], v14
	ds_read_b64 v[10:11], v16
	s_waitcnt lgkmcnt(0)
	v_cmp_lt_i64_e64 s3, v[10:11], v[8:9]
	s_or_b32 s3, s4, s3
	s_and_b32 s3, s5, s3
	s_xor_b32 s4, s3, -1
	s_and_saveexec_b32 s5, s4
	s_xor_b32 s4, exec_lo, s5
; %bb.55:
	ds_read_b64 v[12:13], v14 offset:8
                                        ; implicit-def: $vgpr16
; %bb.56:
	s_or_saveexec_b32 s4, s4
	v_mov_b32_e32 v15, v11
	v_mov_b32_e32 v14, v10
	s_xor_b32 exec_lo, exec_lo, s4
	s_cbranch_execz .LBB163_58
; %bb.57:
	ds_read_b64 v[14:15], v16 offset:8
	s_waitcnt lgkmcnt(1)
	v_mov_b32_e32 v13, v9
	v_mov_b32_e32 v12, v8
.LBB163_58:
	s_or_b32 exec_lo, exec_lo, s4
	v_add_nc_u32_e32 v16, 1, v29
	v_add_nc_u32_e32 v17, 1, v28
	s_waitcnt lgkmcnt(0)
	v_cmp_lt_i64_e64 s4, v[14:15], v[12:13]
                                        ; implicit-def: $vgpr22_vgpr23
	v_cndmask_b32_e64 v35, v16, v29, s3
	v_cndmask_b32_e64 v36, v28, v17, s3
	v_cmp_ge_i32_e64 s5, v35, v26
	v_cmp_lt_i32_e64 s6, v36, v27
	s_or_b32 s4, s5, s4
	s_and_b32 s4, s6, s4
	s_xor_b32 s5, s4, -1
	s_and_saveexec_b32 s6, s5
	s_xor_b32 s5, exec_lo, s6
; %bb.59:
	v_lshl_add_u32 v16, v35, 3, v30
	ds_read_b64 v[22:23], v16 offset:8
; %bb.60:
	s_or_saveexec_b32 s5, s5
	v_mov_b32_e32 v25, v15
	v_mov_b32_e32 v24, v14
	s_xor_b32 exec_lo, exec_lo, s5
	s_cbranch_execz .LBB163_62
; %bb.61:
	v_lshl_add_u32 v16, v36, 3, v30
	s_waitcnt lgkmcnt(0)
	v_mov_b32_e32 v23, v13
	v_mov_b32_e32 v22, v12
	ds_read_b64 v[24:25], v16 offset:8
.LBB163_62:
	s_or_b32 exec_lo, exec_lo, s5
	v_add_nc_u32_e32 v16, 1, v35
	v_add_nc_u32_e32 v17, 1, v36
	s_waitcnt lgkmcnt(0)
	v_cmp_lt_i64_e64 s5, v[24:25], v[22:23]
	v_cndmask_b32_e64 v38, v16, v35, s4
	v_cndmask_b32_e64 v37, v36, v17, s4
                                        ; implicit-def: $vgpr16_vgpr17
	v_cmp_ge_i32_e64 s6, v38, v26
	v_cmp_lt_i32_e64 s7, v37, v27
	s_or_b32 s5, s6, s5
	s_and_b32 s5, s7, s5
	s_xor_b32 s6, s5, -1
	s_and_saveexec_b32 s7, s6
	s_xor_b32 s6, exec_lo, s7
; %bb.63:
	v_lshl_add_u32 v16, v38, 3, v30
	ds_read_b64 v[16:17], v16 offset:8
; %bb.64:
	s_or_saveexec_b32 s6, s6
	v_mov_b32_e32 v20, v24
	v_mov_b32_e32 v21, v25
	s_xor_b32 exec_lo, exec_lo, s6
	s_cbranch_execz .LBB163_66
; %bb.65:
	s_waitcnt lgkmcnt(0)
	v_lshl_add_u32 v16, v37, 3, v30
	ds_read_b64 v[20:21], v16 offset:8
	v_mov_b32_e32 v16, v22
	v_mov_b32_e32 v17, v23
.LBB163_66:
	s_or_b32 exec_lo, exec_lo, s6
	v_add_nc_u32_e32 v39, 1, v38
	v_cndmask_b32_e64 v25, v23, v25, s5
	v_add_nc_u32_e32 v23, 1, v37
	v_cndmask_b32_e64 v24, v22, v24, s5
	v_cndmask_b32_e64 v40, v38, v37, s5
	v_cndmask_b32_e64 v38, v39, v38, s5
	v_min_i32_e32 v22, 0, v33
	v_cndmask_b32_e64 v23, v37, v23, s5
	s_waitcnt lgkmcnt(0)
	v_cmp_lt_i64_e64 s5, v[20:21], v[16:17]
	v_cndmask_b32_e64 v35, v35, v36, s4
	v_cmp_ge_i32_e64 s6, v38, v26
	v_add_nc_u32_e32 v26, 32, v22
	v_cmp_lt_i32_e64 s7, v23, v27
	v_cndmask_b32_e64 v27, v29, v28, s3
	s_or_b32 s5, s6, s5
	v_min_i32_e32 v26, v33, v26
	s_and_b32 s5, s7, s5
	; wave barrier
	ds_write2_b64 v31, v[2:3], v[6:7] offset1:1
	v_cndmask_b32_e64 v21, v17, v21, s5
	v_add_nc_u32_e32 v2, 32, v26
	v_cndmask_b32_e64 v17, v38, v23, s5
	ds_write2_b64 v31, v[0:1], v[4:5] offset0:2 offset1:3
	v_lshl_add_u32 v0, v27, 3, v30
	v_lshl_add_u32 v1, v35, 3, v30
	v_min_i32_e32 v27, v33, v2
	v_lshl_add_u32 v2, v40, 3, v30
	v_lshl_add_u32 v3, v17, 3, v30
	; wave barrier
	ds_read_b64 v[4:5], v0
	ds_read_b64 v[6:7], v1
	;; [unrolled: 1-line block ×4, first 2 shown]
	v_min_i32_e32 v17, v33, v34
	v_sub_nc_u32_e32 v23, v27, v26
	v_cndmask_b32_e64 v15, v13, v15, s4
	v_cndmask_b32_e64 v11, v9, v11, s3
	v_sub_nc_u32_e32 v13, v26, v22
	v_cndmask_b32_e64 v10, v8, v10, s3
	v_sub_nc_u32_e32 v9, v17, v23
	v_cmp_ge_i32_e64 s3, v17, v23
	v_cndmask_b32_e64 v14, v12, v14, s4
	v_cndmask_b32_e64 v20, v16, v20, s5
	v_lshl_add_u32 v8, v22, 3, v30
	s_mov_b32 s5, 0
	v_cndmask_b32_e64 v12, 0, v9, s3
	v_min_i32_e32 v9, v17, v13
	s_mov_b32 s4, exec_lo
	; wave barrier
	ds_write2_b64 v31, v[10:11], v[14:15] offset1:1
	ds_write2_b64 v31, v[24:25], v[20:21] offset0:2 offset1:3
	; wave barrier
	v_cmpx_lt_i32_e64 v12, v9
	s_cbranch_execz .LBB163_70
; %bb.67:
	v_lshlrev_b32_e32 v10, 3, v26
	v_lshlrev_b32_e32 v11, 3, v17
	v_add3_u32 v10, v30, v10, v11
	.p2align	6
.LBB163_68:                             ; =>This Inner Loop Header: Depth=1
	v_sub_nc_u32_e32 v11, v9, v12
	v_lshrrev_b32_e32 v11, 1, v11
	v_add_nc_u32_e32 v11, v11, v12
	v_not_b32_e32 v13, v11
	v_lshl_add_u32 v14, v11, 3, v8
	v_lshl_add_u32 v15, v13, 3, v10
	ds_read_b64 v[13:14], v14
	ds_read_b64 v[15:16], v15
	s_waitcnt lgkmcnt(0)
	v_cmp_lt_i64_e64 s3, v[15:16], v[13:14]
	v_add_nc_u32_e32 v13, 1, v11
	v_cndmask_b32_e64 v9, v9, v11, s3
	v_cndmask_b32_e64 v12, v13, v12, s3
	v_cmp_ge_i32_e64 s3, v12, v9
	s_or_b32 s5, s3, s5
	s_andn2_b32 exec_lo, exec_lo, s5
	s_cbranch_execnz .LBB163_68
; %bb.69:
	s_or_b32 exec_lo, exec_lo, s5
.LBB163_70:
	s_or_b32 exec_lo, exec_lo, s4
	v_add_nc_u32_e32 v9, v26, v17
	v_lshl_add_u32 v14, v12, 3, v8
	v_add_nc_u32_e32 v29, v12, v22
	v_sub_nc_u32_e32 v28, v9, v12
                                        ; implicit-def: $vgpr12_vgpr13
	v_cmp_le_i32_e64 s4, v26, v29
	v_lshl_add_u32 v16, v28, 3, v30
	v_cmp_gt_i32_e64 s5, v27, v28
	ds_read_b64 v[8:9], v14
	ds_read_b64 v[10:11], v16
	s_waitcnt lgkmcnt(0)
	v_cmp_lt_i64_e64 s3, v[10:11], v[8:9]
	s_or_b32 s3, s4, s3
	s_and_b32 s3, s5, s3
	s_xor_b32 s4, s3, -1
	s_and_saveexec_b32 s5, s4
	s_xor_b32 s4, exec_lo, s5
; %bb.71:
	ds_read_b64 v[12:13], v14 offset:8
                                        ; implicit-def: $vgpr16
; %bb.72:
	s_or_saveexec_b32 s4, s4
	v_mov_b32_e32 v15, v11
	v_mov_b32_e32 v14, v10
	s_xor_b32 exec_lo, exec_lo, s4
	s_cbranch_execz .LBB163_74
; %bb.73:
	ds_read_b64 v[14:15], v16 offset:8
	s_waitcnt lgkmcnt(1)
	v_mov_b32_e32 v13, v9
	v_mov_b32_e32 v12, v8
.LBB163_74:
	s_or_b32 exec_lo, exec_lo, s4
	v_add_nc_u32_e32 v16, 1, v29
	v_add_nc_u32_e32 v17, 1, v28
	s_waitcnt lgkmcnt(0)
	v_cmp_lt_i64_e64 s4, v[14:15], v[12:13]
	v_cndmask_b32_e64 v33, v16, v29, s3
	v_cndmask_b32_e64 v34, v28, v17, s3
                                        ; implicit-def: $vgpr16_vgpr17
	v_cmp_ge_i32_e64 s5, v33, v26
	v_cmp_lt_i32_e64 s6, v34, v27
	s_or_b32 s4, s5, s4
	s_and_b32 s4, s6, s4
	s_xor_b32 s5, s4, -1
	s_and_saveexec_b32 s6, s5
	s_xor_b32 s5, exec_lo, s6
; %bb.75:
	v_lshl_add_u32 v16, v33, 3, v30
	ds_read_b64 v[16:17], v16 offset:8
; %bb.76:
	s_or_saveexec_b32 s5, s5
	v_mov_b32_e32 v21, v15
	v_mov_b32_e32 v20, v14
	s_xor_b32 exec_lo, exec_lo, s5
	s_cbranch_execz .LBB163_78
; %bb.77:
	s_waitcnt lgkmcnt(0)
	v_lshl_add_u32 v16, v34, 3, v30
	ds_read_b64 v[20:21], v16 offset:8
	v_mov_b32_e32 v17, v13
	v_mov_b32_e32 v16, v12
.LBB163_78:
	s_or_b32 exec_lo, exec_lo, s5
	v_add_nc_u32_e32 v22, 1, v33
	v_add_nc_u32_e32 v23, 1, v34
	s_waitcnt lgkmcnt(0)
	v_cmp_lt_i64_e64 s5, v[20:21], v[16:17]
                                        ; implicit-def: $vgpr37
	v_cndmask_b32_e64 v38, v22, v33, s4
	v_cndmask_b32_e64 v35, v34, v23, s4
                                        ; implicit-def: $vgpr22_vgpr23
	v_cmp_ge_i32_e64 s6, v38, v26
	v_cmp_lt_i32_e64 s7, v35, v27
	s_or_b32 s5, s6, s5
	s_and_b32 s5, s7, s5
	s_xor_b32 s6, s5, -1
	s_and_saveexec_b32 s7, s6
	s_xor_b32 s6, exec_lo, s7
; %bb.79:
	v_lshl_add_u32 v22, v38, 3, v30
	v_add_nc_u32_e32 v37, 1, v38
	ds_read_b64 v[22:23], v22 offset:8
; %bb.80:
	s_or_saveexec_b32 s6, s6
	v_mov_b32_e32 v25, v21
	v_mov_b32_e32 v36, v38
	;; [unrolled: 1-line block ×3, first 2 shown]
	s_xor_b32 exec_lo, exec_lo, s6
	s_cbranch_execz .LBB163_82
; %bb.81:
	s_waitcnt lgkmcnt(0)
	v_lshl_add_u32 v22, v35, 3, v30
	v_mov_b32_e32 v36, v35
	v_mov_b32_e32 v37, v38
	ds_read_b64 v[24:25], v22 offset:8
	v_add_nc_u32_e32 v22, 1, v35
	v_mov_b32_e32 v35, v22
	v_mov_b32_e32 v23, v17
	;; [unrolled: 1-line block ×3, first 2 shown]
.LBB163_82:
	s_or_b32 exec_lo, exec_lo, s6
	s_waitcnt lgkmcnt(0)
	v_cmp_lt_i64_e64 s6, v[24:25], v[22:23]
	v_cmp_ge_i32_e64 s7, v37, v26
	v_cmp_lt_i32_e64 s8, v35, v27
	v_cndmask_b32_e64 v26, v33, v34, s4
	; wave barrier
	s_or_b32 s6, s7, s6
	ds_write2_b64 v31, v[4:5], v[6:7] offset1:1
	ds_write2_b64 v31, v[0:1], v[2:3] offset0:2 offset1:3
	s_and_b32 s6, s8, s6
	v_lshl_add_u32 v0, v26, 3, v30
	v_cndmask_b32_e64 v23, v23, v25, s6
	v_cndmask_b32_e64 v25, v37, v35, s6
	v_lshl_add_u32 v1, v36, 3, v30
	; wave barrier
	v_lshl_add_u32 v2, v25, 3, v30
	ds_read_b64 v[6:7], v0
	ds_read_b64 v[4:5], v1
	;; [unrolled: 1-line block ×3, first 2 shown]
	v_cndmask_b32_e64 v1, v9, v11, s3
	v_cndmask_b32_e64 v0, v8, v10, s3
	v_cndmask_b32_e64 v9, v13, v15, s4
	v_cndmask_b32_e64 v8, v12, v14, s4
	v_cndmask_b32_e64 v12, v17, v21, s5
	v_cndmask_b32_e64 v11, v16, v20, s5
	v_cndmask_b32_e64 v10, v22, v24, s6
	s_and_saveexec_b32 s4, vcc_lo
	s_cbranch_execz .LBB163_84
; %bb.83:
	v_cndmask_b32_e64 v13, v29, v28, s3
	v_lshl_add_u32 v13, v13, 3, v30
	ds_read_b64 v[13:14], v13
	s_waitcnt lgkmcnt(0)
	v_add_co_u32 v0, s3, v13, v0
	v_add_co_ci_u32_e64 v1, null, v14, v1, s3
.LBB163_84:
	s_or_b32 exec_lo, exec_lo, s4
	s_waitcnt lgkmcnt(2)
	v_add_co_u32 v6, s3, v8, v6
	v_add_co_ci_u32_e64 v7, null, v9, v7, s3
	s_waitcnt lgkmcnt(1)
	v_add_co_u32 v4, s3, v11, v4
	v_add_co_ci_u32_e64 v5, null, v12, v5, s3
	;; [unrolled: 3-line block ×3, first 2 shown]
	v_cndmask_b32_e64 v8, v8, v6, s0
	v_cndmask_b32_e64 v6, v11, v4, s1
	v_add_co_u32 v4, s3, s10, v18
	v_cndmask_b32_e64 v9, v9, v7, s0
	v_cndmask_b32_e64 v7, v12, v5, s1
	v_add_co_ci_u32_e64 v5, null, s11, v19, s3
	v_add_co_u32 v4, s3, v4, v32
	v_cndmask_b32_e64 v3, v23, v3, s2
	v_cndmask_b32_e64 v2, v10, v2, s2
	v_add_co_ci_u32_e64 v5, null, 0, v5, s3
	s_and_saveexec_b32 s3, vcc_lo
	s_xor_b32 s3, exec_lo, s3
	s_cbranch_execnz .LBB163_89
; %bb.85:
	s_or_b32 exec_lo, exec_lo, s3
	s_and_saveexec_b32 s3, s0
	s_cbranch_execnz .LBB163_90
.LBB163_86:
	s_or_b32 exec_lo, exec_lo, s3
	s_and_saveexec_b32 s0, s1
	s_cbranch_execnz .LBB163_91
.LBB163_87:
	s_or_b32 exec_lo, exec_lo, s0
	s_and_saveexec_b32 s0, s2
	s_cbranch_execnz .LBB163_92
.LBB163_88:
	s_endpgm
.LBB163_89:
	global_store_dwordx2 v[4:5], v[0:1], off
	s_or_b32 exec_lo, exec_lo, s3
	s_and_saveexec_b32 s3, s0
	s_cbranch_execz .LBB163_86
.LBB163_90:
	global_store_dwordx2 v[4:5], v[8:9], off offset:8
	s_or_b32 exec_lo, exec_lo, s3
	s_and_saveexec_b32 s0, s1
	s_cbranch_execz .LBB163_87
.LBB163_91:
	global_store_dwordx2 v[4:5], v[6:7], off offset:16
	s_or_b32 exec_lo, exec_lo, s0
	s_and_saveexec_b32 s0, s2
	s_cbranch_execz .LBB163_88
.LBB163_92:
	global_store_dwordx2 v[4:5], v[2:3], off offset:24
	s_endpgm
	.section	.rodata,"a",@progbits
	.p2align	6, 0x0
	.amdhsa_kernel _Z20sort_pairs_segmentedILj256ELj16ELj4ExN10test_utils4lessEEvPKT2_PS2_PKjT3_
		.amdhsa_group_segment_fixed_size 8320
		.amdhsa_private_segment_fixed_size 0
		.amdhsa_kernarg_size 28
		.amdhsa_user_sgpr_count 6
		.amdhsa_user_sgpr_private_segment_buffer 1
		.amdhsa_user_sgpr_dispatch_ptr 0
		.amdhsa_user_sgpr_queue_ptr 0
		.amdhsa_user_sgpr_kernarg_segment_ptr 1
		.amdhsa_user_sgpr_dispatch_id 0
		.amdhsa_user_sgpr_flat_scratch_init 0
		.amdhsa_user_sgpr_private_segment_size 0
		.amdhsa_wavefront_size32 1
		.amdhsa_uses_dynamic_stack 0
		.amdhsa_system_sgpr_private_segment_wavefront_offset 0
		.amdhsa_system_sgpr_workgroup_id_x 1
		.amdhsa_system_sgpr_workgroup_id_y 0
		.amdhsa_system_sgpr_workgroup_id_z 0
		.amdhsa_system_sgpr_workgroup_info 0
		.amdhsa_system_vgpr_workitem_id 0
		.amdhsa_next_free_vgpr 45
		.amdhsa_next_free_sgpr 12
		.amdhsa_reserve_vcc 1
		.amdhsa_reserve_flat_scratch 0
		.amdhsa_float_round_mode_32 0
		.amdhsa_float_round_mode_16_64 0
		.amdhsa_float_denorm_mode_32 3
		.amdhsa_float_denorm_mode_16_64 3
		.amdhsa_dx10_clamp 1
		.amdhsa_ieee_mode 1
		.amdhsa_fp16_overflow 0
		.amdhsa_workgroup_processor_mode 1
		.amdhsa_memory_ordered 1
		.amdhsa_forward_progress 1
		.amdhsa_shared_vgpr_count 0
		.amdhsa_exception_fp_ieee_invalid_op 0
		.amdhsa_exception_fp_denorm_src 0
		.amdhsa_exception_fp_ieee_div_zero 0
		.amdhsa_exception_fp_ieee_overflow 0
		.amdhsa_exception_fp_ieee_underflow 0
		.amdhsa_exception_fp_ieee_inexact 0
		.amdhsa_exception_int_div_zero 0
	.end_amdhsa_kernel
	.section	.text._Z20sort_pairs_segmentedILj256ELj16ELj4ExN10test_utils4lessEEvPKT2_PS2_PKjT3_,"axG",@progbits,_Z20sort_pairs_segmentedILj256ELj16ELj4ExN10test_utils4lessEEvPKT2_PS2_PKjT3_,comdat
.Lfunc_end163:
	.size	_Z20sort_pairs_segmentedILj256ELj16ELj4ExN10test_utils4lessEEvPKT2_PS2_PKjT3_, .Lfunc_end163-_Z20sort_pairs_segmentedILj256ELj16ELj4ExN10test_utils4lessEEvPKT2_PS2_PKjT3_
                                        ; -- End function
	.set _Z20sort_pairs_segmentedILj256ELj16ELj4ExN10test_utils4lessEEvPKT2_PS2_PKjT3_.num_vgpr, 45
	.set _Z20sort_pairs_segmentedILj256ELj16ELj4ExN10test_utils4lessEEvPKT2_PS2_PKjT3_.num_agpr, 0
	.set _Z20sort_pairs_segmentedILj256ELj16ELj4ExN10test_utils4lessEEvPKT2_PS2_PKjT3_.numbered_sgpr, 12
	.set _Z20sort_pairs_segmentedILj256ELj16ELj4ExN10test_utils4lessEEvPKT2_PS2_PKjT3_.num_named_barrier, 0
	.set _Z20sort_pairs_segmentedILj256ELj16ELj4ExN10test_utils4lessEEvPKT2_PS2_PKjT3_.private_seg_size, 0
	.set _Z20sort_pairs_segmentedILj256ELj16ELj4ExN10test_utils4lessEEvPKT2_PS2_PKjT3_.uses_vcc, 1
	.set _Z20sort_pairs_segmentedILj256ELj16ELj4ExN10test_utils4lessEEvPKT2_PS2_PKjT3_.uses_flat_scratch, 0
	.set _Z20sort_pairs_segmentedILj256ELj16ELj4ExN10test_utils4lessEEvPKT2_PS2_PKjT3_.has_dyn_sized_stack, 0
	.set _Z20sort_pairs_segmentedILj256ELj16ELj4ExN10test_utils4lessEEvPKT2_PS2_PKjT3_.has_recursion, 0
	.set _Z20sort_pairs_segmentedILj256ELj16ELj4ExN10test_utils4lessEEvPKT2_PS2_PKjT3_.has_indirect_call, 0
	.section	.AMDGPU.csdata,"",@progbits
; Kernel info:
; codeLenInByte = 5024
; TotalNumSgprs: 14
; NumVgprs: 45
; ScratchSize: 0
; MemoryBound: 1
; FloatMode: 240
; IeeeMode: 1
; LDSByteSize: 8320 bytes/workgroup (compile time only)
; SGPRBlocks: 0
; VGPRBlocks: 5
; NumSGPRsForWavesPerEU: 14
; NumVGPRsForWavesPerEU: 45
; Occupancy: 16
; WaveLimiterHint : 0
; COMPUTE_PGM_RSRC2:SCRATCH_EN: 0
; COMPUTE_PGM_RSRC2:USER_SGPR: 6
; COMPUTE_PGM_RSRC2:TRAP_HANDLER: 0
; COMPUTE_PGM_RSRC2:TGID_X_EN: 1
; COMPUTE_PGM_RSRC2:TGID_Y_EN: 0
; COMPUTE_PGM_RSRC2:TGID_Z_EN: 0
; COMPUTE_PGM_RSRC2:TIDIG_COMP_CNT: 0
	.section	.text._Z9sort_keysILj256ELj16ELj8ExN10test_utils4lessEEvPKT2_PS2_T3_,"axG",@progbits,_Z9sort_keysILj256ELj16ELj8ExN10test_utils4lessEEvPKT2_PS2_T3_,comdat
	.protected	_Z9sort_keysILj256ELj16ELj8ExN10test_utils4lessEEvPKT2_PS2_T3_ ; -- Begin function _Z9sort_keysILj256ELj16ELj8ExN10test_utils4lessEEvPKT2_PS2_T3_
	.globl	_Z9sort_keysILj256ELj16ELj8ExN10test_utils4lessEEvPKT2_PS2_T3_
	.p2align	8
	.type	_Z9sort_keysILj256ELj16ELj8ExN10test_utils4lessEEvPKT2_PS2_T3_,@function
_Z9sort_keysILj256ELj16ELj8ExN10test_utils4lessEEvPKT2_PS2_T3_: ; @_Z9sort_keysILj256ELj16ELj8ExN10test_utils4lessEEvPKT2_PS2_T3_
; %bb.0:
	s_load_dwordx4 s[8:11], s[4:5], 0x0
	s_mov_b32 s7, 0
	s_lshl_b32 s6, s6, 11
	v_lshlrev_b32_e32 v1, 6, v0
	s_lshl_b64 s[12:13], s[6:7], 3
	v_lshlrev_b32_e32 v32, 3, v0
	v_mov_b32_e32 v9, 0
	s_waitcnt lgkmcnt(0)
	s_add_u32 s0, s8, s12
	s_addc_u32 s1, s9, s13
	s_clause 0x3
	global_load_dwordx4 v[10:13], v1, s[0:1]
	global_load_dwordx4 v[14:17], v1, s[0:1] offset:16
	global_load_dwordx4 v[18:21], v1, s[0:1] offset:32
	global_load_dwordx4 v[22:25], v1, s[0:1] offset:48
	v_mbcnt_lo_u32_b32 v1, -1, 0
	; wave barrier
	v_lshlrev_b32_e32 v36, 3, v1
	v_lshrrev_b32_e32 v1, 4, v0
	v_and_b32_e32 v8, 0x70, v36
	v_and_b32_e32 v34, 0x78, v36
	v_and_b32_e32 v4, 8, v36
	v_or_b32_e32 v37, 8, v8
	v_lshlrev_b32_e32 v2, 3, v34
	v_lshlrev_b32_e32 v3, 3, v8
	v_sub_nc_u32_e32 v5, v37, v8
	v_mad_u32_u24 v35, 0x408, v1, v2
	v_mad_u32_u24 v0, 0x408, v1, v3
	v_min_i32_e32 v2, v4, v5
	s_waitcnt vmcnt(3)
	v_cmp_gt_i64_e32 vcc_lo, v[12:13], v[10:11]
	v_cmp_lt_i64_e64 s0, v[12:13], v[10:11]
	s_waitcnt vmcnt(2)
	v_cmp_gt_i64_e64 s1, v[16:17], v[14:15]
	v_cmp_lt_i64_e64 s2, v[16:17], v[14:15]
	s_waitcnt vmcnt(1)
	v_cmp_lt_i64_e64 s3, v[20:21], v[18:19]
	v_cmp_gt_i64_e64 s4, v[20:21], v[18:19]
	s_waitcnt vmcnt(0)
	v_cmp_lt_i64_e64 s5, v[24:25], v[22:23]
	v_cndmask_b32_e32 v6, v11, v13, vcc_lo
	v_cndmask_b32_e64 v11, v11, v13, s0
	v_cndmask_b32_e64 v13, v15, v17, s1
	;; [unrolled: 1-line block ×6, first 2 shown]
	v_cndmask_b32_e32 v5, v10, v12, vcc_lo
	v_cndmask_b32_e64 v10, v10, v12, s0
	v_cndmask_b32_e64 v12, v14, v16, s1
	;; [unrolled: 1-line block ×6, first 2 shown]
	v_cmp_gt_i64_e64 s6, v[24:25], v[22:23]
	v_cmp_gt_i64_e32 vcc_lo, v[14:15], v[5:6]
	v_cmp_lt_i64_e64 s0, v[14:15], v[5:6]
	v_cmp_lt_i64_e64 s1, v[16:17], v[12:13]
	v_cmp_gt_i64_e64 s2, v[16:17], v[12:13]
	v_cmp_lt_i64_e64 s3, v[20:21], v[18:19]
	v_cmp_gt_i64_e64 s4, v[20:21], v[18:19]
	v_cndmask_b32_e64 v23, v23, v25, s6
	v_cndmask_b32_e64 v22, v22, v24, s6
	v_cndmask_b32_e32 v25, v6, v15, vcc_lo
	v_cndmask_b32_e64 v3, v5, v14, s0
	v_cndmask_b32_e64 v7, v13, v17, s1
	;; [unrolled: 1-line block ×4, first 2 shown]
	v_cndmask_b32_e32 v24, v5, v14, vcc_lo
	v_cndmask_b32_e64 v5, v6, v15, s0
	v_cndmask_b32_e64 v6, v12, v16, s1
	;; [unrolled: 1-line block ×6, first 2 shown]
	v_cmp_gt_i64_e32 vcc_lo, v[18:19], v[22:23]
	v_cmp_lt_i64_e64 s0, v[14:15], v[10:11]
	v_cmp_gt_i64_e64 s1, v[6:7], v[24:25]
	v_cmp_lt_i64_e64 s2, v[6:7], v[24:25]
	v_cmp_lt_i64_e64 s3, v[16:17], v[12:13]
	v_cmp_gt_i64_e64 s4, v[16:17], v[12:13]
	v_cndmask_b32_e32 v27, v21, v23, vcc_lo
	v_cndmask_b32_e64 v14, v5, v11, s0
	v_cndmask_b32_e64 v18, v25, v7, s1
	;; [unrolled: 1-line block ×6, first 2 shown]
	v_cndmask_b32_e32 v26, v28, v22, vcc_lo
	v_cndmask_b32_e64 v19, v24, v6, s2
	v_cndmask_b32_e64 v17, v24, v6, s1
	;; [unrolled: 1-line block ×6, first 2 shown]
	v_cndmask_b32_e32 v23, v23, v21, vcc_lo
	v_cndmask_b32_e32 v22, v22, v28, vcc_lo
	v_cmp_gt_i64_e32 vcc_lo, v[19:20], v[13:14]
	v_cmp_lt_i64_e64 s0, v[19:20], v[13:14]
	v_cmp_lt_i64_e64 s1, v[6:7], v[17:18]
	v_cmp_gt_i64_e64 s2, v[6:7], v[17:18]
	v_cmp_lt_i64_e64 s3, v[26:27], v[24:25]
	v_cmp_gt_i64_e64 s4, v[26:27], v[24:25]
	v_cndmask_b32_e32 v15, v14, v20, vcc_lo
	v_cndmask_b32_e64 v20, v14, v20, s0
	v_cndmask_b32_e64 v28, v18, v7, s1
	;; [unrolled: 1-line block ×5, first 2 shown]
	v_cndmask_b32_e32 v14, v13, v19, vcc_lo
	v_cndmask_b32_e64 v19, v13, v19, s0
	v_cndmask_b32_e64 v27, v17, v6, s1
	;; [unrolled: 1-line block ×5, first 2 shown]
	v_cmp_gt_i64_e32 vcc_lo, v[19:20], v[10:11]
	v_cmp_lt_i64_e64 s0, v[19:20], v[10:11]
	v_cmp_gt_i64_e64 s1, v[27:28], v[14:15]
	v_cmp_lt_i64_e64 s2, v[27:28], v[14:15]
	v_cmp_lt_i64_e64 s3, v[17:18], v[6:7]
	v_cmp_gt_i64_e64 s4, v[17:18], v[6:7]
	v_cmp_lt_i64_e64 s5, v[22:23], v[24:25]
	v_cmp_gt_i64_e64 s6, v[22:23], v[24:25]
	v_cndmask_b32_e32 v12, v11, v20, vcc_lo
	v_cndmask_b32_e64 v16, v11, v20, s0
	v_cndmask_b32_e64 v20, v15, v28, s1
	;; [unrolled: 1-line block ×7, first 2 shown]
	v_cndmask_b32_e32 v11, v10, v19, vcc_lo
	v_cndmask_b32_e64 v15, v10, v19, s0
	v_cndmask_b32_e64 v19, v14, v27, s1
	;; [unrolled: 1-line block ×7, first 2 shown]
	v_cmp_gt_i64_e32 vcc_lo, v[25:26], v[11:12]
	v_cmp_lt_i64_e64 s0, v[25:26], v[11:12]
	v_cmp_lt_i64_e64 s1, v[27:28], v[19:20]
	v_cmp_gt_i64_e64 s2, v[27:28], v[19:20]
	v_cmp_lt_i64_e64 s3, v[17:18], v[6:7]
	v_cmp_gt_i64_e64 s4, v[17:18], v[6:7]
	v_cndmask_b32_e32 v13, v12, v26, vcc_lo
	v_cndmask_b32_e64 v21, v12, v26, s0
	v_cndmask_b32_e64 v29, v20, v28, s1
	;; [unrolled: 1-line block ×4, first 2 shown]
	v_cndmask_b32_e32 v12, v11, v25, vcc_lo
	v_cndmask_b32_e64 v20, v11, v25, s0
	v_cndmask_b32_e64 v28, v19, v27, s1
	v_cndmask_b32_e64 v30, v19, v27, s2
	v_cndmask_b32_e64 v38, v6, v17, s3
	v_cndmask_b32_e64 v3, v6, v17, s4
	v_cndmask_b32_e64 v5, v7, v18, s4
	v_cmp_lt_i64_e64 s0, v[25:26], v[15:16]
	v_cmp_lt_i64_e64 s1, v[20:21], v[15:16]
	v_cmp_gt_i64_e64 s2, v[20:21], v[15:16]
	v_cmp_gt_i64_e64 s3, v[28:29], v[12:13]
	v_cmp_lt_i64_e64 s4, v[28:29], v[12:13]
	v_cmp_lt_i64_e64 s5, v[38:39], v[30:31]
	v_cmp_gt_i64_e32 vcc_lo, v[6:7], v[22:23]
	v_cmp_gt_i64_e64 s6, v[38:39], v[30:31]
	v_cndmask_b32_e64 v6, v16, v21, s1
	v_cndmask_b32_e64 v11, v16, v21, s2
	;; [unrolled: 1-line block ×11, first 2 shown]
	v_cndmask_b32_e32 v26, v5, v23, vcc_lo
	v_cndmask_b32_e32 v25, v3, v22, vcc_lo
	v_cndmask_b32_e32 v40, v23, v5, vcc_lo
	v_cndmask_b32_e64 v23, v30, v38, s6
	v_cndmask_b32_e64 v7, v20, v15, s0
	v_cndmask_b32_e32 v39, v22, v3, vcc_lo
	v_cndmask_b32_e64 v5, v15, v20, s1
	v_cmp_gt_i64_e32 vcc_lo, v[16:17], v[10:11]
	v_cmp_lt_i64_e64 s0, v[16:17], v[10:11]
	v_cmp_lt_i64_e64 s1, v[18:19], v[13:14]
	v_cmp_gt_i64_e64 s2, v[18:19], v[13:14]
	v_cmp_lt_i64_e64 s3, v[25:26], v[23:24]
	v_cmp_gt_i64_e64 s4, v[25:26], v[23:24]
	v_cndmask_b32_e32 v12, v11, v17, vcc_lo
	v_cndmask_b32_e64 v15, v21, v17, s0
	v_cndmask_b32_e64 v17, v14, v19, s1
	;; [unrolled: 1-line block ×4, first 2 shown]
	v_cndmask_b32_e32 v11, v10, v16, vcc_lo
	v_cndmask_b32_e64 v16, v13, v18, s1
	v_cndmask_b32_e64 v21, v24, v26, s3
	;; [unrolled: 1-line block ×6, first 2 shown]
	s_mov_b32 s0, exec_lo
	ds_write2_b64 v35, v[5:6], v[14:15] offset1:1
	ds_write2_b64 v35, v[11:12], v[16:17] offset0:2 offset1:3
	ds_write2_b64 v35, v[18:19], v[20:21] offset0:4 offset1:5
	;; [unrolled: 1-line block ×3, first 2 shown]
	; wave barrier
	v_cmpx_lt_i32_e32 0, v2
	s_cbranch_execz .LBB164_4
; %bb.1:
	v_lshl_add_u32 v3, v4, 3, v0
	v_mov_b32_e32 v9, 0
	.p2align	6
.LBB164_2:                              ; =>This Inner Loop Header: Depth=1
	v_sub_nc_u32_e32 v5, v2, v9
	v_lshrrev_b32_e32 v5, 1, v5
	v_add_nc_u32_e32 v7, v5, v9
	v_not_b32_e32 v5, v7
	v_lshl_add_u32 v6, v7, 3, v0
	v_lshl_add_u32 v10, v5, 3, v3
	ds_read_b64 v[5:6], v6
	ds_read_b64 v[10:11], v10 offset:64
	s_waitcnt lgkmcnt(0)
	v_cmp_lt_i64_e32 vcc_lo, v[10:11], v[5:6]
	v_add_nc_u32_e32 v5, 1, v7
	v_cndmask_b32_e32 v2, v2, v7, vcc_lo
	v_cndmask_b32_e32 v9, v5, v9, vcc_lo
	v_cmp_ge_i32_e32 vcc_lo, v9, v2
	s_or_b32 s7, vcc_lo, s7
	s_andn2_b32 exec_lo, exec_lo, s7
	s_cbranch_execnz .LBB164_2
; %bb.3:
	s_or_b32 exec_lo, exec_lo, s7
.LBB164_4:
	s_or_b32 exec_lo, exec_lo, s0
	v_mul_u32_u24_e32 v33, 0x408, v1
	v_add_nc_u32_e32 v1, v8, v4
	v_lshl_add_u32 v6, v9, 3, v0
	v_add_nc_u32_e32 v4, v37, v4
	v_add_nc_u32_e32 v38, 16, v8
	v_cmp_lt_i32_e64 s0, 7, v9
	v_sub_nc_u32_e32 v1, v1, v9
	v_sub_nc_u32_e32 v10, v4, v9
                                        ; implicit-def: $vgpr4_vgpr5
	v_lshl_add_u32 v11, v1, 3, v33
	ds_read_b64 v[0:1], v6
	ds_read_b64 v[2:3], v11 offset:64
	v_cmp_gt_i32_e64 s1, v38, v10
	s_waitcnt lgkmcnt(0)
	v_cmp_lt_i64_e32 vcc_lo, v[2:3], v[0:1]
	s_or_b32 s0, s0, vcc_lo
	s_and_b32 vcc_lo, s1, s0
	s_xor_b32 s0, vcc_lo, -1
	s_and_saveexec_b32 s1, s0
	s_xor_b32 s0, exec_lo, s1
; %bb.5:
	ds_read_b64 v[4:5], v6 offset:8
                                        ; implicit-def: $vgpr11
; %bb.6:
	s_or_saveexec_b32 s0, s0
	v_mov_b32_e32 v7, v3
	v_mov_b32_e32 v6, v2
	s_xor_b32 exec_lo, exec_lo, s0
	s_cbranch_execz .LBB164_8
; %bb.7:
	ds_read_b64 v[6:7], v11 offset:72
	s_waitcnt lgkmcnt(1)
	v_mov_b32_e32 v5, v1
	v_mov_b32_e32 v4, v0
.LBB164_8:
	s_or_b32 exec_lo, exec_lo, s0
	v_add_nc_u32_e32 v8, v9, v8
	v_add_nc_u32_e32 v11, 1, v10
	s_waitcnt lgkmcnt(0)
	v_cmp_lt_i64_e64 s0, v[6:7], v[4:5]
	v_add_nc_u32_e32 v9, 1, v8
	v_cndmask_b32_e32 v12, v10, v11, vcc_lo
	v_cndmask_b32_e32 v13, v9, v8, vcc_lo
	v_cmp_lt_i32_e64 s2, v12, v38
                                        ; implicit-def: $vgpr8_vgpr9
	v_cmp_ge_i32_e64 s1, v13, v37
	s_or_b32 s0, s1, s0
	s_and_b32 s0, s2, s0
	s_xor_b32 s1, s0, -1
	s_and_saveexec_b32 s2, s1
	s_xor_b32 s1, exec_lo, s2
; %bb.9:
	v_lshl_add_u32 v8, v13, 3, v33
	ds_read_b64 v[8:9], v8 offset:8
; %bb.10:
	s_or_saveexec_b32 s1, s1
	v_mov_b32_e32 v11, v7
	v_mov_b32_e32 v10, v6
	s_xor_b32 exec_lo, exec_lo, s1
	s_cbranch_execz .LBB164_12
; %bb.11:
	s_waitcnt lgkmcnt(0)
	v_lshl_add_u32 v8, v12, 3, v33
	ds_read_b64 v[10:11], v8 offset:8
	v_mov_b32_e32 v9, v5
	v_mov_b32_e32 v8, v4
.LBB164_12:
	s_or_b32 exec_lo, exec_lo, s1
	v_add_nc_u32_e32 v14, 1, v13
	v_add_nc_u32_e32 v15, 1, v12
	s_waitcnt lgkmcnt(0)
	v_cmp_lt_i64_e64 s1, v[10:11], v[8:9]
	v_cndmask_b32_e64 v17, v14, v13, s0
	v_cndmask_b32_e64 v16, v12, v15, s0
                                        ; implicit-def: $vgpr12_vgpr13
	v_cmp_ge_i32_e64 s2, v17, v37
	v_cmp_lt_i32_e64 s3, v16, v38
	s_or_b32 s1, s2, s1
	s_and_b32 s1, s3, s1
	s_xor_b32 s2, s1, -1
	s_and_saveexec_b32 s3, s2
	s_xor_b32 s2, exec_lo, s3
; %bb.13:
	v_lshl_add_u32 v12, v17, 3, v33
	ds_read_b64 v[12:13], v12 offset:8
; %bb.14:
	s_or_saveexec_b32 s2, s2
	v_mov_b32_e32 v15, v11
	v_mov_b32_e32 v14, v10
	s_xor_b32 exec_lo, exec_lo, s2
	s_cbranch_execz .LBB164_16
; %bb.15:
	s_waitcnt lgkmcnt(0)
	v_lshl_add_u32 v12, v16, 3, v33
	ds_read_b64 v[14:15], v12 offset:8
	v_mov_b32_e32 v13, v9
	v_mov_b32_e32 v12, v8
.LBB164_16:
	s_or_b32 exec_lo, exec_lo, s2
	v_add_nc_u32_e32 v18, 1, v17
	v_add_nc_u32_e32 v19, 1, v16
	s_waitcnt lgkmcnt(0)
	v_cmp_lt_i64_e64 s2, v[14:15], v[12:13]
	v_cndmask_b32_e64 v21, v18, v17, s1
	v_cndmask_b32_e64 v20, v16, v19, s1
                                        ; implicit-def: $vgpr16_vgpr17
	v_cmp_ge_i32_e64 s3, v21, v37
	v_cmp_lt_i32_e64 s4, v20, v38
	s_or_b32 s2, s3, s2
	s_and_b32 s2, s4, s2
	s_xor_b32 s3, s2, -1
	s_and_saveexec_b32 s4, s3
	s_xor_b32 s3, exec_lo, s4
; %bb.17:
	v_lshl_add_u32 v16, v21, 3, v33
	ds_read_b64 v[16:17], v16 offset:8
; %bb.18:
	s_or_saveexec_b32 s3, s3
	v_mov_b32_e32 v19, v15
	v_mov_b32_e32 v18, v14
	s_xor_b32 exec_lo, exec_lo, s3
	s_cbranch_execz .LBB164_20
; %bb.19:
	s_waitcnt lgkmcnt(0)
	v_lshl_add_u32 v16, v20, 3, v33
	ds_read_b64 v[18:19], v16 offset:8
	v_mov_b32_e32 v17, v13
	v_mov_b32_e32 v16, v12
.LBB164_20:
	s_or_b32 exec_lo, exec_lo, s3
	v_add_nc_u32_e32 v22, 1, v21
	v_add_nc_u32_e32 v23, 1, v20
	s_waitcnt lgkmcnt(0)
	v_cmp_lt_i64_e64 s3, v[18:19], v[16:17]
	v_cndmask_b32_e64 v25, v22, v21, s2
	v_cndmask_b32_e64 v24, v20, v23, s2
                                        ; implicit-def: $vgpr20_vgpr21
	v_cmp_ge_i32_e64 s4, v25, v37
	v_cmp_lt_i32_e64 s5, v24, v38
	s_or_b32 s3, s4, s3
	s_and_b32 s3, s5, s3
	s_xor_b32 s4, s3, -1
	s_and_saveexec_b32 s5, s4
	s_xor_b32 s4, exec_lo, s5
; %bb.21:
	v_lshl_add_u32 v20, v25, 3, v33
	ds_read_b64 v[20:21], v20 offset:8
; %bb.22:
	s_or_saveexec_b32 s4, s4
	v_mov_b32_e32 v23, v19
	v_mov_b32_e32 v22, v18
	s_xor_b32 exec_lo, exec_lo, s4
	s_cbranch_execz .LBB164_24
; %bb.23:
	s_waitcnt lgkmcnt(0)
	v_lshl_add_u32 v20, v24, 3, v33
	ds_read_b64 v[22:23], v20 offset:8
	v_mov_b32_e32 v21, v17
	v_mov_b32_e32 v20, v16
.LBB164_24:
	s_or_b32 exec_lo, exec_lo, s4
	v_add_nc_u32_e32 v26, 1, v25
	v_add_nc_u32_e32 v27, 1, v24
	s_waitcnt lgkmcnt(0)
	v_cmp_lt_i64_e64 s4, v[22:23], v[20:21]
                                        ; implicit-def: $vgpr28_vgpr29
	v_cndmask_b32_e64 v25, v26, v25, s3
	v_cndmask_b32_e64 v24, v24, v27, s3
	v_cmp_ge_i32_e64 s5, v25, v37
	v_cmp_lt_i32_e64 s6, v24, v38
	s_or_b32 s4, s5, s4
	s_and_b32 s4, s6, s4
	s_xor_b32 s5, s4, -1
	s_and_saveexec_b32 s6, s5
	s_xor_b32 s5, exec_lo, s6
; %bb.25:
	v_lshl_add_u32 v26, v25, 3, v33
	ds_read_b64 v[28:29], v26 offset:8
; %bb.26:
	s_or_saveexec_b32 s5, s5
	v_mov_b32_e32 v31, v23
	v_mov_b32_e32 v30, v22
	s_xor_b32 exec_lo, exec_lo, s5
	s_cbranch_execz .LBB164_28
; %bb.27:
	v_lshl_add_u32 v26, v24, 3, v33
	s_waitcnt lgkmcnt(0)
	v_mov_b32_e32 v29, v21
	v_mov_b32_e32 v28, v20
	ds_read_b64 v[30:31], v26 offset:8
.LBB164_28:
	s_or_b32 exec_lo, exec_lo, s5
	v_add_nc_u32_e32 v26, 1, v25
	v_add_nc_u32_e32 v27, 1, v24
	s_waitcnt lgkmcnt(0)
	v_cmp_lt_i64_e64 s5, v[30:31], v[28:29]
	v_cndmask_b32_e64 v39, v26, v25, s4
	v_cndmask_b32_e64 v40, v24, v27, s4
                                        ; implicit-def: $vgpr24_vgpr25
	v_cmp_ge_i32_e64 s6, v39, v37
	v_cmp_lt_i32_e64 s7, v40, v38
	s_or_b32 s5, s6, s5
	s_and_b32 s5, s7, s5
	s_xor_b32 s6, s5, -1
	s_and_saveexec_b32 s7, s6
	s_xor_b32 s6, exec_lo, s7
; %bb.29:
	v_lshl_add_u32 v24, v39, 3, v33
	ds_read_b64 v[24:25], v24 offset:8
; %bb.30:
	s_or_saveexec_b32 s6, s6
	v_mov_b32_e32 v26, v30
	v_mov_b32_e32 v27, v31
	s_xor_b32 exec_lo, exec_lo, s6
	s_cbranch_execz .LBB164_32
; %bb.31:
	s_waitcnt lgkmcnt(0)
	v_lshl_add_u32 v24, v40, 3, v33
	ds_read_b64 v[26:27], v24 offset:8
	v_mov_b32_e32 v24, v28
	v_mov_b32_e32 v25, v29
.LBB164_32:
	s_or_b32 exec_lo, exec_lo, s6
	v_add_nc_u32_e32 v42, 1, v39
	v_add_nc_u32_e32 v41, 1, v40
	v_cndmask_b32_e64 v29, v29, v31, s5
	v_cndmask_b32_e64 v10, v8, v10, s1
	v_and_b32_e32 v8, 0x60, v36
	v_cndmask_b32_e64 v31, v42, v39, s5
	v_cndmask_b32_e64 v28, v28, v30, s5
	v_cndmask_b32_e64 v30, v40, v41, s5
	v_cndmask_b32_e64 v11, v9, v11, s1
	v_cndmask_b32_e64 v7, v5, v7, s0
	v_cmp_ge_i32_e64 s1, v31, v37
	v_or_b32_e32 v37, 16, v8
	v_cndmask_b32_e64 v6, v4, v6, s0
	s_waitcnt lgkmcnt(0)
	v_cmp_lt_i64_e64 s0, v[26:27], v[24:25]
	v_cndmask_b32_e64 v13, v13, v15, s2
	v_cndmask_b32_e64 v12, v12, v14, s2
	v_cmp_lt_i32_e64 s2, v30, v38
	v_cndmask_b32_e32 v2, v0, v2, vcc_lo
	v_and_b32_e32 v4, 24, v36
	v_sub_nc_u32_e32 v0, v37, v8
	s_or_b32 s0, s1, s0
	v_cndmask_b32_e32 v3, v1, v3, vcc_lo
	s_and_b32 vcc_lo, s2, s0
	v_cndmask_b32_e64 v21, v21, v23, s4
	v_cndmask_b32_e64 v20, v20, v22, s4
	;; [unrolled: 1-line block ×4, first 2 shown]
	v_sub_nc_u32_e64 v9, v4, 16 clamp
	v_min_i32_e32 v1, v4, v0
	v_lshl_add_u32 v0, v8, 3, v33
	v_cndmask_b32_e32 v15, v25, v27, vcc_lo
	v_cndmask_b32_e32 v14, v24, v26, vcc_lo
	s_mov_b32 s0, exec_lo
	; wave barrier
	ds_write2_b64 v35, v[2:3], v[6:7] offset1:1
	ds_write2_b64 v35, v[10:11], v[12:13] offset0:2 offset1:3
	ds_write2_b64 v35, v[16:17], v[20:21] offset0:4 offset1:5
	;; [unrolled: 1-line block ×3, first 2 shown]
	; wave barrier
	v_cmpx_lt_i32_e64 v9, v1
	s_cbranch_execz .LBB164_36
; %bb.33:
	v_lshl_add_u32 v2, v4, 3, v0
	s_mov_b32 s1, 0
	.p2align	6
.LBB164_34:                             ; =>This Inner Loop Header: Depth=1
	v_sub_nc_u32_e32 v3, v1, v9
	v_lshrrev_b32_e32 v3, 1, v3
	v_add_nc_u32_e32 v3, v3, v9
	v_not_b32_e32 v5, v3
	v_lshl_add_u32 v6, v3, 3, v0
	v_lshl_add_u32 v7, v5, 3, v2
	ds_read_b64 v[5:6], v6
	ds_read_b64 v[10:11], v7 offset:128
	s_waitcnt lgkmcnt(0)
	v_cmp_lt_i64_e32 vcc_lo, v[10:11], v[5:6]
	v_add_nc_u32_e32 v5, 1, v3
	v_cndmask_b32_e32 v1, v1, v3, vcc_lo
	v_cndmask_b32_e32 v9, v5, v9, vcc_lo
	v_cmp_ge_i32_e32 vcc_lo, v9, v1
	s_or_b32 s1, vcc_lo, s1
	s_andn2_b32 exec_lo, exec_lo, s1
	s_cbranch_execnz .LBB164_34
; %bb.35:
	s_or_b32 exec_lo, exec_lo, s1
.LBB164_36:
	s_or_b32 exec_lo, exec_lo, s0
	v_add_nc_u32_e32 v1, v8, v4
	v_lshl_add_u32 v6, v9, 3, v0
	v_add_nc_u32_e32 v4, v37, v4
	v_add_nc_u32_e32 v38, 32, v8
	v_cmp_lt_i32_e64 s0, 15, v9
	v_sub_nc_u32_e32 v1, v1, v9
	v_sub_nc_u32_e32 v10, v4, v9
                                        ; implicit-def: $vgpr4_vgpr5
	v_lshl_add_u32 v11, v1, 3, v33
	ds_read_b64 v[0:1], v6
	ds_read_b64 v[2:3], v11 offset:128
	v_cmp_gt_i32_e64 s1, v38, v10
	s_waitcnt lgkmcnt(0)
	v_cmp_lt_i64_e32 vcc_lo, v[2:3], v[0:1]
	s_or_b32 s0, s0, vcc_lo
	s_and_b32 vcc_lo, s1, s0
	s_xor_b32 s0, vcc_lo, -1
	s_and_saveexec_b32 s1, s0
	s_xor_b32 s0, exec_lo, s1
; %bb.37:
	ds_read_b64 v[4:5], v6 offset:8
                                        ; implicit-def: $vgpr11
; %bb.38:
	s_or_saveexec_b32 s0, s0
	v_mov_b32_e32 v7, v3
	v_mov_b32_e32 v6, v2
	s_xor_b32 exec_lo, exec_lo, s0
	s_cbranch_execz .LBB164_40
; %bb.39:
	ds_read_b64 v[6:7], v11 offset:136
	s_waitcnt lgkmcnt(1)
	v_mov_b32_e32 v5, v1
	v_mov_b32_e32 v4, v0
.LBB164_40:
	s_or_b32 exec_lo, exec_lo, s0
	v_add_nc_u32_e32 v8, v9, v8
	v_add_nc_u32_e32 v11, 1, v10
	s_waitcnt lgkmcnt(0)
	v_cmp_lt_i64_e64 s0, v[6:7], v[4:5]
	v_add_nc_u32_e32 v9, 1, v8
	v_cndmask_b32_e32 v12, v10, v11, vcc_lo
	v_cndmask_b32_e32 v13, v9, v8, vcc_lo
	v_cmp_lt_i32_e64 s2, v12, v38
                                        ; implicit-def: $vgpr8_vgpr9
	v_cmp_ge_i32_e64 s1, v13, v37
	s_or_b32 s0, s1, s0
	s_and_b32 s0, s2, s0
	s_xor_b32 s1, s0, -1
	s_and_saveexec_b32 s2, s1
	s_xor_b32 s1, exec_lo, s2
; %bb.41:
	v_lshl_add_u32 v8, v13, 3, v33
	ds_read_b64 v[8:9], v8 offset:8
; %bb.42:
	s_or_saveexec_b32 s1, s1
	v_mov_b32_e32 v11, v7
	v_mov_b32_e32 v10, v6
	s_xor_b32 exec_lo, exec_lo, s1
	s_cbranch_execz .LBB164_44
; %bb.43:
	s_waitcnt lgkmcnt(0)
	v_lshl_add_u32 v8, v12, 3, v33
	ds_read_b64 v[10:11], v8 offset:8
	v_mov_b32_e32 v9, v5
	v_mov_b32_e32 v8, v4
.LBB164_44:
	s_or_b32 exec_lo, exec_lo, s1
	v_add_nc_u32_e32 v14, 1, v13
	v_add_nc_u32_e32 v15, 1, v12
	s_waitcnt lgkmcnt(0)
	v_cmp_lt_i64_e64 s1, v[10:11], v[8:9]
	v_cndmask_b32_e64 v17, v14, v13, s0
	v_cndmask_b32_e64 v16, v12, v15, s0
                                        ; implicit-def: $vgpr12_vgpr13
	v_cmp_ge_i32_e64 s2, v17, v37
	v_cmp_lt_i32_e64 s3, v16, v38
	s_or_b32 s1, s2, s1
	s_and_b32 s1, s3, s1
	s_xor_b32 s2, s1, -1
	s_and_saveexec_b32 s3, s2
	s_xor_b32 s2, exec_lo, s3
; %bb.45:
	v_lshl_add_u32 v12, v17, 3, v33
	ds_read_b64 v[12:13], v12 offset:8
; %bb.46:
	s_or_saveexec_b32 s2, s2
	v_mov_b32_e32 v15, v11
	v_mov_b32_e32 v14, v10
	s_xor_b32 exec_lo, exec_lo, s2
	s_cbranch_execz .LBB164_48
; %bb.47:
	s_waitcnt lgkmcnt(0)
	v_lshl_add_u32 v12, v16, 3, v33
	ds_read_b64 v[14:15], v12 offset:8
	v_mov_b32_e32 v13, v9
	v_mov_b32_e32 v12, v8
.LBB164_48:
	s_or_b32 exec_lo, exec_lo, s2
	v_add_nc_u32_e32 v18, 1, v17
	v_add_nc_u32_e32 v19, 1, v16
	s_waitcnt lgkmcnt(0)
	v_cmp_lt_i64_e64 s2, v[14:15], v[12:13]
	v_cndmask_b32_e64 v21, v18, v17, s1
	v_cndmask_b32_e64 v20, v16, v19, s1
                                        ; implicit-def: $vgpr16_vgpr17
	v_cmp_ge_i32_e64 s3, v21, v37
	v_cmp_lt_i32_e64 s4, v20, v38
	s_or_b32 s2, s3, s2
	s_and_b32 s2, s4, s2
	s_xor_b32 s3, s2, -1
	s_and_saveexec_b32 s4, s3
	s_xor_b32 s3, exec_lo, s4
; %bb.49:
	v_lshl_add_u32 v16, v21, 3, v33
	ds_read_b64 v[16:17], v16 offset:8
; %bb.50:
	s_or_saveexec_b32 s3, s3
	v_mov_b32_e32 v19, v15
	v_mov_b32_e32 v18, v14
	s_xor_b32 exec_lo, exec_lo, s3
	s_cbranch_execz .LBB164_52
; %bb.51:
	s_waitcnt lgkmcnt(0)
	v_lshl_add_u32 v16, v20, 3, v33
	ds_read_b64 v[18:19], v16 offset:8
	v_mov_b32_e32 v17, v13
	v_mov_b32_e32 v16, v12
.LBB164_52:
	s_or_b32 exec_lo, exec_lo, s3
	v_add_nc_u32_e32 v22, 1, v21
	v_add_nc_u32_e32 v23, 1, v20
	s_waitcnt lgkmcnt(0)
	v_cmp_lt_i64_e64 s3, v[18:19], v[16:17]
	v_cndmask_b32_e64 v25, v22, v21, s2
	v_cndmask_b32_e64 v24, v20, v23, s2
                                        ; implicit-def: $vgpr20_vgpr21
	v_cmp_ge_i32_e64 s4, v25, v37
	v_cmp_lt_i32_e64 s5, v24, v38
	s_or_b32 s3, s4, s3
	s_and_b32 s3, s5, s3
	s_xor_b32 s4, s3, -1
	s_and_saveexec_b32 s5, s4
	s_xor_b32 s4, exec_lo, s5
; %bb.53:
	v_lshl_add_u32 v20, v25, 3, v33
	ds_read_b64 v[20:21], v20 offset:8
; %bb.54:
	s_or_saveexec_b32 s4, s4
	v_mov_b32_e32 v23, v19
	v_mov_b32_e32 v22, v18
	s_xor_b32 exec_lo, exec_lo, s4
	s_cbranch_execz .LBB164_56
; %bb.55:
	s_waitcnt lgkmcnt(0)
	v_lshl_add_u32 v20, v24, 3, v33
	ds_read_b64 v[22:23], v20 offset:8
	v_mov_b32_e32 v21, v17
	v_mov_b32_e32 v20, v16
.LBB164_56:
	s_or_b32 exec_lo, exec_lo, s4
	v_add_nc_u32_e32 v26, 1, v25
	v_add_nc_u32_e32 v27, 1, v24
	s_waitcnt lgkmcnt(0)
	v_cmp_lt_i64_e64 s4, v[22:23], v[20:21]
                                        ; implicit-def: $vgpr28_vgpr29
	v_cndmask_b32_e64 v25, v26, v25, s3
	v_cndmask_b32_e64 v24, v24, v27, s3
	v_cmp_ge_i32_e64 s5, v25, v37
	v_cmp_lt_i32_e64 s6, v24, v38
	s_or_b32 s4, s5, s4
	s_and_b32 s4, s6, s4
	s_xor_b32 s5, s4, -1
	s_and_saveexec_b32 s6, s5
	s_xor_b32 s5, exec_lo, s6
; %bb.57:
	v_lshl_add_u32 v26, v25, 3, v33
	ds_read_b64 v[28:29], v26 offset:8
; %bb.58:
	s_or_saveexec_b32 s5, s5
	v_mov_b32_e32 v31, v23
	v_mov_b32_e32 v30, v22
	s_xor_b32 exec_lo, exec_lo, s5
	s_cbranch_execz .LBB164_60
; %bb.59:
	v_lshl_add_u32 v26, v24, 3, v33
	s_waitcnt lgkmcnt(0)
	v_mov_b32_e32 v29, v21
	v_mov_b32_e32 v28, v20
	ds_read_b64 v[30:31], v26 offset:8
.LBB164_60:
	s_or_b32 exec_lo, exec_lo, s5
	v_add_nc_u32_e32 v26, 1, v25
	v_add_nc_u32_e32 v27, 1, v24
	s_waitcnt lgkmcnt(0)
	v_cmp_lt_i64_e64 s5, v[30:31], v[28:29]
	v_cndmask_b32_e64 v39, v26, v25, s4
	v_cndmask_b32_e64 v40, v24, v27, s4
                                        ; implicit-def: $vgpr24_vgpr25
	v_cmp_ge_i32_e64 s6, v39, v37
	v_cmp_lt_i32_e64 s7, v40, v38
	s_or_b32 s5, s6, s5
	s_and_b32 s5, s7, s5
	s_xor_b32 s6, s5, -1
	s_and_saveexec_b32 s7, s6
	s_xor_b32 s6, exec_lo, s7
; %bb.61:
	v_lshl_add_u32 v24, v39, 3, v33
	ds_read_b64 v[24:25], v24 offset:8
; %bb.62:
	s_or_saveexec_b32 s6, s6
	v_mov_b32_e32 v26, v30
	v_mov_b32_e32 v27, v31
	s_xor_b32 exec_lo, exec_lo, s6
	s_cbranch_execz .LBB164_64
; %bb.63:
	s_waitcnt lgkmcnt(0)
	v_lshl_add_u32 v24, v40, 3, v33
	ds_read_b64 v[26:27], v24 offset:8
	v_mov_b32_e32 v24, v28
	v_mov_b32_e32 v25, v29
.LBB164_64:
	s_or_b32 exec_lo, exec_lo, s6
	v_add_nc_u32_e32 v42, 1, v39
	v_add_nc_u32_e32 v41, 1, v40
	v_cndmask_b32_e64 v29, v29, v31, s5
	v_cndmask_b32_e64 v10, v8, v10, s1
	v_and_b32_e32 v8, 64, v36
	v_cndmask_b32_e64 v31, v42, v39, s5
	v_cndmask_b32_e64 v28, v28, v30, s5
	;; [unrolled: 1-line block ×5, first 2 shown]
	v_cmp_ge_i32_e64 s1, v31, v37
	v_or_b32_e32 v37, 32, v8
	v_cndmask_b32_e64 v6, v4, v6, s0
	s_waitcnt lgkmcnt(0)
	v_cmp_lt_i64_e64 s0, v[26:27], v[24:25]
	v_cndmask_b32_e64 v13, v13, v15, s2
	v_cndmask_b32_e64 v12, v12, v14, s2
	v_cmp_lt_i32_e64 s2, v30, v38
	v_cndmask_b32_e32 v2, v0, v2, vcc_lo
	v_and_b32_e32 v4, 56, v36
	v_sub_nc_u32_e32 v0, v37, v8
	s_or_b32 s0, s1, s0
	v_cndmask_b32_e32 v3, v1, v3, vcc_lo
	s_and_b32 vcc_lo, s2, s0
	v_cndmask_b32_e64 v21, v21, v23, s4
	v_cndmask_b32_e64 v20, v20, v22, s4
	v_cndmask_b32_e64 v17, v17, v19, s3
	v_cndmask_b32_e64 v16, v16, v18, s3
	v_sub_nc_u32_e64 v9, v4, 32 clamp
	v_min_i32_e32 v1, v4, v0
	v_lshl_add_u32 v0, v8, 3, v33
	v_cndmask_b32_e32 v15, v25, v27, vcc_lo
	v_cndmask_b32_e32 v14, v24, v26, vcc_lo
	s_mov_b32 s0, exec_lo
	; wave barrier
	ds_write2_b64 v35, v[2:3], v[6:7] offset1:1
	ds_write2_b64 v35, v[10:11], v[12:13] offset0:2 offset1:3
	ds_write2_b64 v35, v[16:17], v[20:21] offset0:4 offset1:5
	;; [unrolled: 1-line block ×3, first 2 shown]
	; wave barrier
	v_cmpx_lt_i32_e64 v9, v1
	s_cbranch_execz .LBB164_68
; %bb.65:
	v_lshl_add_u32 v2, v4, 3, v0
	s_mov_b32 s1, 0
	.p2align	6
.LBB164_66:                             ; =>This Inner Loop Header: Depth=1
	v_sub_nc_u32_e32 v3, v1, v9
	v_lshrrev_b32_e32 v3, 1, v3
	v_add_nc_u32_e32 v3, v3, v9
	v_not_b32_e32 v5, v3
	v_lshl_add_u32 v6, v3, 3, v0
	v_lshl_add_u32 v7, v5, 3, v2
	ds_read_b64 v[5:6], v6
	ds_read_b64 v[10:11], v7 offset:256
	s_waitcnt lgkmcnt(0)
	v_cmp_lt_i64_e32 vcc_lo, v[10:11], v[5:6]
	v_add_nc_u32_e32 v5, 1, v3
	v_cndmask_b32_e32 v1, v1, v3, vcc_lo
	v_cndmask_b32_e32 v9, v5, v9, vcc_lo
	v_cmp_ge_i32_e32 vcc_lo, v9, v1
	s_or_b32 s1, vcc_lo, s1
	s_andn2_b32 exec_lo, exec_lo, s1
	s_cbranch_execnz .LBB164_66
; %bb.67:
	s_or_b32 exec_lo, exec_lo, s1
.LBB164_68:
	s_or_b32 exec_lo, exec_lo, s0
	v_add_nc_u32_e32 v1, v8, v4
	v_lshl_add_u32 v6, v9, 3, v0
	v_add_nc_u32_e32 v4, v37, v4
	v_add_nc_u32_e32 v36, 64, v8
	v_cmp_lt_i32_e64 s0, 31, v9
	v_sub_nc_u32_e32 v1, v1, v9
	v_sub_nc_u32_e32 v10, v4, v9
                                        ; implicit-def: $vgpr4_vgpr5
	v_lshl_add_u32 v11, v1, 3, v33
	ds_read_b64 v[0:1], v6
	ds_read_b64 v[2:3], v11 offset:256
	v_cmp_gt_i32_e64 s1, v36, v10
	s_waitcnt lgkmcnt(0)
	v_cmp_lt_i64_e32 vcc_lo, v[2:3], v[0:1]
	s_or_b32 s0, s0, vcc_lo
	s_and_b32 vcc_lo, s1, s0
	s_xor_b32 s0, vcc_lo, -1
	s_and_saveexec_b32 s1, s0
	s_xor_b32 s0, exec_lo, s1
; %bb.69:
	ds_read_b64 v[4:5], v6 offset:8
                                        ; implicit-def: $vgpr11
; %bb.70:
	s_or_saveexec_b32 s0, s0
	v_mov_b32_e32 v7, v3
	v_mov_b32_e32 v6, v2
	s_xor_b32 exec_lo, exec_lo, s0
	s_cbranch_execz .LBB164_72
; %bb.71:
	ds_read_b64 v[6:7], v11 offset:264
	s_waitcnt lgkmcnt(1)
	v_mov_b32_e32 v5, v1
	v_mov_b32_e32 v4, v0
.LBB164_72:
	s_or_b32 exec_lo, exec_lo, s0
	v_add_nc_u32_e32 v8, v9, v8
	v_add_nc_u32_e32 v11, 1, v10
	s_waitcnt lgkmcnt(0)
	v_cmp_lt_i64_e64 s0, v[6:7], v[4:5]
	v_add_nc_u32_e32 v9, 1, v8
	v_cndmask_b32_e32 v12, v10, v11, vcc_lo
	v_cndmask_b32_e32 v13, v9, v8, vcc_lo
	v_cmp_lt_i32_e64 s2, v12, v36
                                        ; implicit-def: $vgpr8_vgpr9
	v_cmp_ge_i32_e64 s1, v13, v37
	s_or_b32 s0, s1, s0
	s_and_b32 s0, s2, s0
	s_xor_b32 s1, s0, -1
	s_and_saveexec_b32 s2, s1
	s_xor_b32 s1, exec_lo, s2
; %bb.73:
	v_lshl_add_u32 v8, v13, 3, v33
	ds_read_b64 v[8:9], v8 offset:8
; %bb.74:
	s_or_saveexec_b32 s1, s1
	v_mov_b32_e32 v11, v7
	v_mov_b32_e32 v10, v6
	s_xor_b32 exec_lo, exec_lo, s1
	s_cbranch_execz .LBB164_76
; %bb.75:
	s_waitcnt lgkmcnt(0)
	v_lshl_add_u32 v8, v12, 3, v33
	ds_read_b64 v[10:11], v8 offset:8
	v_mov_b32_e32 v9, v5
	v_mov_b32_e32 v8, v4
.LBB164_76:
	s_or_b32 exec_lo, exec_lo, s1
	v_add_nc_u32_e32 v14, 1, v13
	v_add_nc_u32_e32 v15, 1, v12
	s_waitcnt lgkmcnt(0)
	v_cmp_lt_i64_e64 s1, v[10:11], v[8:9]
	v_cndmask_b32_e64 v17, v14, v13, s0
	v_cndmask_b32_e64 v16, v12, v15, s0
                                        ; implicit-def: $vgpr12_vgpr13
	v_cmp_ge_i32_e64 s2, v17, v37
	v_cmp_lt_i32_e64 s3, v16, v36
	s_or_b32 s1, s2, s1
	s_and_b32 s1, s3, s1
	s_xor_b32 s2, s1, -1
	s_and_saveexec_b32 s3, s2
	s_xor_b32 s2, exec_lo, s3
; %bb.77:
	v_lshl_add_u32 v12, v17, 3, v33
	ds_read_b64 v[12:13], v12 offset:8
; %bb.78:
	s_or_saveexec_b32 s2, s2
	v_mov_b32_e32 v15, v11
	v_mov_b32_e32 v14, v10
	s_xor_b32 exec_lo, exec_lo, s2
	s_cbranch_execz .LBB164_80
; %bb.79:
	s_waitcnt lgkmcnt(0)
	v_lshl_add_u32 v12, v16, 3, v33
	ds_read_b64 v[14:15], v12 offset:8
	v_mov_b32_e32 v13, v9
	v_mov_b32_e32 v12, v8
.LBB164_80:
	s_or_b32 exec_lo, exec_lo, s2
	v_add_nc_u32_e32 v18, 1, v17
	v_add_nc_u32_e32 v19, 1, v16
	s_waitcnt lgkmcnt(0)
	v_cmp_lt_i64_e64 s2, v[14:15], v[12:13]
	v_cndmask_b32_e64 v21, v18, v17, s1
	v_cndmask_b32_e64 v20, v16, v19, s1
                                        ; implicit-def: $vgpr16_vgpr17
	v_cmp_ge_i32_e64 s3, v21, v37
	v_cmp_lt_i32_e64 s4, v20, v36
	s_or_b32 s2, s3, s2
	s_and_b32 s2, s4, s2
	s_xor_b32 s3, s2, -1
	s_and_saveexec_b32 s4, s3
	s_xor_b32 s3, exec_lo, s4
; %bb.81:
	v_lshl_add_u32 v16, v21, 3, v33
	ds_read_b64 v[16:17], v16 offset:8
; %bb.82:
	s_or_saveexec_b32 s3, s3
	v_mov_b32_e32 v19, v15
	v_mov_b32_e32 v18, v14
	s_xor_b32 exec_lo, exec_lo, s3
	s_cbranch_execz .LBB164_84
; %bb.83:
	s_waitcnt lgkmcnt(0)
	v_lshl_add_u32 v16, v20, 3, v33
	ds_read_b64 v[18:19], v16 offset:8
	v_mov_b32_e32 v17, v13
	v_mov_b32_e32 v16, v12
.LBB164_84:
	s_or_b32 exec_lo, exec_lo, s3
	v_add_nc_u32_e32 v22, 1, v21
	v_add_nc_u32_e32 v23, 1, v20
	s_waitcnt lgkmcnt(0)
	v_cmp_lt_i64_e64 s3, v[18:19], v[16:17]
	v_cndmask_b32_e64 v25, v22, v21, s2
	v_cndmask_b32_e64 v24, v20, v23, s2
                                        ; implicit-def: $vgpr20_vgpr21
	v_cmp_ge_i32_e64 s4, v25, v37
	v_cmp_lt_i32_e64 s5, v24, v36
	s_or_b32 s3, s4, s3
	s_and_b32 s3, s5, s3
	s_xor_b32 s4, s3, -1
	s_and_saveexec_b32 s5, s4
	s_xor_b32 s4, exec_lo, s5
; %bb.85:
	v_lshl_add_u32 v20, v25, 3, v33
	ds_read_b64 v[20:21], v20 offset:8
; %bb.86:
	s_or_saveexec_b32 s4, s4
	v_mov_b32_e32 v23, v19
	v_mov_b32_e32 v22, v18
	s_xor_b32 exec_lo, exec_lo, s4
	s_cbranch_execz .LBB164_88
; %bb.87:
	s_waitcnt lgkmcnt(0)
	v_lshl_add_u32 v20, v24, 3, v33
	ds_read_b64 v[22:23], v20 offset:8
	v_mov_b32_e32 v21, v17
	v_mov_b32_e32 v20, v16
.LBB164_88:
	s_or_b32 exec_lo, exec_lo, s4
	v_add_nc_u32_e32 v26, 1, v25
	v_add_nc_u32_e32 v27, 1, v24
	s_waitcnt lgkmcnt(0)
	v_cmp_lt_i64_e64 s4, v[22:23], v[20:21]
	v_cndmask_b32_e64 v29, v26, v25, s3
	v_cndmask_b32_e64 v28, v24, v27, s3
                                        ; implicit-def: $vgpr24_vgpr25
	v_cmp_ge_i32_e64 s5, v29, v37
	v_cmp_lt_i32_e64 s6, v28, v36
	s_or_b32 s4, s5, s4
	s_and_b32 s4, s6, s4
	s_xor_b32 s5, s4, -1
	s_and_saveexec_b32 s6, s5
	s_xor_b32 s5, exec_lo, s6
; %bb.89:
	v_lshl_add_u32 v24, v29, 3, v33
	ds_read_b64 v[24:25], v24 offset:8
; %bb.90:
	s_or_saveexec_b32 s5, s5
	v_mov_b32_e32 v27, v23
	v_mov_b32_e32 v26, v22
	s_xor_b32 exec_lo, exec_lo, s5
	s_cbranch_execz .LBB164_92
; %bb.91:
	s_waitcnt lgkmcnt(0)
	v_lshl_add_u32 v24, v28, 3, v33
	ds_read_b64 v[26:27], v24 offset:8
	v_mov_b32_e32 v25, v21
	v_mov_b32_e32 v24, v20
.LBB164_92:
	s_or_b32 exec_lo, exec_lo, s5
	v_add_nc_u32_e32 v30, 1, v29
	v_add_nc_u32_e32 v31, 1, v28
	s_waitcnt lgkmcnt(0)
	v_cmp_lt_i64_e64 s5, v[26:27], v[24:25]
	v_cndmask_b32_e64 v38, v30, v29, s4
	v_cndmask_b32_e64 v39, v28, v31, s4
                                        ; implicit-def: $vgpr28_vgpr29
	v_cmp_ge_i32_e64 s6, v38, v37
	v_cmp_lt_i32_e64 s7, v39, v36
	s_or_b32 s5, s6, s5
	s_and_b32 s5, s7, s5
	s_xor_b32 s6, s5, -1
	s_and_saveexec_b32 s7, s6
	s_xor_b32 s6, exec_lo, s7
; %bb.93:
	v_lshl_add_u32 v28, v38, 3, v33
	ds_read_b64 v[28:29], v28 offset:8
; %bb.94:
	s_or_saveexec_b32 s6, s6
	v_mov_b32_e32 v31, v27
	v_mov_b32_e32 v30, v26
	s_xor_b32 exec_lo, exec_lo, s6
	s_cbranch_execz .LBB164_96
; %bb.95:
	s_waitcnt lgkmcnt(0)
	v_lshl_add_u32 v28, v39, 3, v33
	ds_read_b64 v[30:31], v28 offset:8
	v_mov_b32_e32 v29, v25
	v_mov_b32_e32 v28, v24
.LBB164_96:
	s_or_b32 exec_lo, exec_lo, s6
	v_add_nc_u32_e32 v41, 1, v38
	v_add_nc_u32_e32 v40, 1, v39
	v_cndmask_b32_e64 v25, v25, v27, s5
	v_cndmask_b32_e64 v24, v24, v26, s5
	;; [unrolled: 1-line block ×6, first 2 shown]
	s_waitcnt lgkmcnt(0)
	v_cmp_lt_i64_e64 s1, v[30:31], v[28:29]
	v_cndmask_b32_e64 v13, v13, v15, s2
	v_cndmask_b32_e64 v12, v12, v14, s2
	v_cmp_ge_i32_e64 s2, v27, v37
	v_cndmask_b32_e64 v17, v17, v19, s3
	v_cndmask_b32_e64 v16, v16, v18, s3
	v_cmp_lt_i32_e64 s3, v26, v36
	v_cndmask_b32_e64 v5, v5, v7, s0
	v_cndmask_b32_e64 v4, v4, v6, s0
	s_or_b32 s0, s2, s1
	v_cndmask_b32_e32 v3, v1, v3, vcc_lo
	v_cndmask_b32_e32 v2, v0, v2, vcc_lo
	v_sub_nc_u32_e64 v0, v34, 64 clamp
	v_min_u32_e32 v1, 64, v34
	s_and_b32 vcc_lo, s3, s0
	v_cndmask_b32_e64 v21, v21, v23, s4
	v_cndmask_b32_e64 v20, v20, v22, s4
	v_cndmask_b32_e32 v7, v29, v31, vcc_lo
	v_cndmask_b32_e32 v6, v28, v30, vcc_lo
	s_mov_b32 s0, exec_lo
	; wave barrier
	ds_write2_b64 v35, v[2:3], v[4:5] offset1:1
	ds_write2_b64 v35, v[8:9], v[12:13] offset0:2 offset1:3
	ds_write2_b64 v35, v[16:17], v[20:21] offset0:4 offset1:5
	;; [unrolled: 1-line block ×3, first 2 shown]
	; wave barrier
	v_cmpx_lt_u32_e64 v0, v1
	s_cbranch_execz .LBB164_100
; %bb.97:
	s_mov_b32 s1, 0
	.p2align	6
.LBB164_98:                             ; =>This Inner Loop Header: Depth=1
	v_sub_nc_u32_e32 v2, v1, v0
	v_lshrrev_b32_e32 v2, 1, v2
	v_add_nc_u32_e32 v6, v2, v0
	v_not_b32_e32 v2, v6
	v_lshl_add_u32 v3, v6, 3, v33
	v_lshl_add_u32 v4, v2, 3, v35
	ds_read_b64 v[2:3], v3
	ds_read_b64 v[4:5], v4 offset:512
	s_waitcnt lgkmcnt(0)
	v_cmp_lt_i64_e32 vcc_lo, v[4:5], v[2:3]
	v_add_nc_u32_e32 v2, 1, v6
	v_cndmask_b32_e32 v1, v1, v6, vcc_lo
	v_cndmask_b32_e32 v0, v2, v0, vcc_lo
	v_cmp_ge_i32_e32 vcc_lo, v0, v1
	s_or_b32 s1, vcc_lo, s1
	s_andn2_b32 exec_lo, exec_lo, s1
	s_cbranch_execnz .LBB164_98
; %bb.99:
	s_or_b32 exec_lo, exec_lo, s1
.LBB164_100:
	s_or_b32 exec_lo, exec_lo, s0
	v_sub_nc_u32_e32 v1, v34, v0
	v_lshl_add_u32 v8, v0, 3, v33
	v_cmp_lt_i32_e64 s0, 63, v0
                                        ; implicit-def: $vgpr6_vgpr7
	v_lshl_add_u32 v10, v1, 3, v33
	v_add_nc_u32_e32 v1, 64, v1
	ds_read_b64 v[2:3], v8
	ds_read_b64 v[4:5], v10 offset:512
	v_cmp_gt_i32_e64 s1, 0x80, v1
	s_waitcnt lgkmcnt(0)
	v_cmp_lt_i64_e32 vcc_lo, v[4:5], v[2:3]
	s_or_b32 s0, s0, vcc_lo
	s_and_b32 vcc_lo, s1, s0
	s_xor_b32 s0, vcc_lo, -1
	s_and_saveexec_b32 s1, s0
	s_xor_b32 s0, exec_lo, s1
; %bb.101:
	ds_read_b64 v[6:7], v8 offset:8
                                        ; implicit-def: $vgpr10
; %bb.102:
	s_or_saveexec_b32 s0, s0
	v_mov_b32_e32 v9, v5
	v_mov_b32_e32 v8, v4
	s_xor_b32 exec_lo, exec_lo, s0
	s_cbranch_execz .LBB164_104
; %bb.103:
	ds_read_b64 v[8:9], v10 offset:520
	s_waitcnt lgkmcnt(1)
	v_mov_b32_e32 v7, v3
	v_mov_b32_e32 v6, v2
.LBB164_104:
	s_or_b32 exec_lo, exec_lo, s0
	v_add_nc_u32_e32 v10, 1, v0
	v_add_nc_u32_e32 v11, 1, v1
	s_waitcnt lgkmcnt(0)
	v_cmp_lt_i64_e64 s0, v[8:9], v[6:7]
	v_cndmask_b32_e32 v14, v10, v0, vcc_lo
	v_cndmask_b32_e32 v0, v1, v11, vcc_lo
                                        ; implicit-def: $vgpr10_vgpr11
	v_cmp_lt_i32_e64 s1, 63, v14
	v_cmp_gt_i32_e64 s2, 0x80, v0
	s_or_b32 s0, s1, s0
	s_and_b32 s0, s2, s0
	s_xor_b32 s1, s0, -1
	s_and_saveexec_b32 s2, s1
	s_xor_b32 s1, exec_lo, s2
; %bb.105:
	v_lshl_add_u32 v1, v14, 3, v33
	ds_read_b64 v[10:11], v1 offset:8
; %bb.106:
	s_or_saveexec_b32 s1, s1
	v_mov_b32_e32 v13, v9
	v_mov_b32_e32 v12, v8
	s_xor_b32 exec_lo, exec_lo, s1
	s_cbranch_execz .LBB164_108
; %bb.107:
	v_lshl_add_u32 v1, v0, 3, v33
	s_waitcnt lgkmcnt(0)
	v_mov_b32_e32 v11, v7
	v_mov_b32_e32 v10, v6
	ds_read_b64 v[12:13], v1 offset:8
.LBB164_108:
	s_or_b32 exec_lo, exec_lo, s1
	v_add_nc_u32_e32 v1, 1, v14
	v_add_nc_u32_e32 v15, 1, v0
	s_waitcnt lgkmcnt(0)
	v_cmp_lt_i64_e64 s1, v[12:13], v[10:11]
	v_cndmask_b32_e64 v1, v1, v14, s0
	v_cndmask_b32_e64 v0, v0, v15, s0
                                        ; implicit-def: $vgpr14_vgpr15
	v_cmp_lt_i32_e64 s2, 63, v1
	v_cmp_gt_i32_e64 s3, 0x80, v0
	s_or_b32 s1, s2, s1
	s_and_b32 s1, s3, s1
	s_xor_b32 s2, s1, -1
	s_and_saveexec_b32 s3, s2
	s_xor_b32 s2, exec_lo, s3
; %bb.109:
	v_lshl_add_u32 v14, v1, 3, v33
	ds_read_b64 v[14:15], v14 offset:8
; %bb.110:
	s_or_saveexec_b32 s2, s2
	v_mov_b32_e32 v17, v13
	v_mov_b32_e32 v16, v12
	s_xor_b32 exec_lo, exec_lo, s2
	s_cbranch_execz .LBB164_112
; %bb.111:
	s_waitcnt lgkmcnt(0)
	v_lshl_add_u32 v14, v0, 3, v33
	ds_read_b64 v[16:17], v14 offset:8
	v_mov_b32_e32 v15, v11
	v_mov_b32_e32 v14, v10
.LBB164_112:
	s_or_b32 exec_lo, exec_lo, s2
	v_add_nc_u32_e32 v18, 1, v1
	v_add_nc_u32_e32 v19, 1, v0
	s_waitcnt lgkmcnt(0)
	v_cmp_lt_i64_e64 s2, v[16:17], v[14:15]
	v_cndmask_b32_e64 v1, v18, v1, s1
	v_cndmask_b32_e64 v0, v0, v19, s1
                                        ; implicit-def: $vgpr18_vgpr19
	v_cmp_lt_i32_e64 s3, 63, v1
	v_cmp_gt_i32_e64 s4, 0x80, v0
	s_or_b32 s2, s3, s2
	s_and_b32 s2, s4, s2
	s_xor_b32 s3, s2, -1
	s_and_saveexec_b32 s4, s3
	s_xor_b32 s3, exec_lo, s4
; %bb.113:
	v_lshl_add_u32 v18, v1, 3, v33
	ds_read_b64 v[18:19], v18 offset:8
; %bb.114:
	s_or_saveexec_b32 s3, s3
	v_mov_b32_e32 v21, v17
	v_mov_b32_e32 v20, v16
	s_xor_b32 exec_lo, exec_lo, s3
	s_cbranch_execz .LBB164_116
; %bb.115:
	s_waitcnt lgkmcnt(0)
	v_lshl_add_u32 v18, v0, 3, v33
	ds_read_b64 v[20:21], v18 offset:8
	v_mov_b32_e32 v19, v15
	v_mov_b32_e32 v18, v14
.LBB164_116:
	s_or_b32 exec_lo, exec_lo, s3
	v_add_nc_u32_e32 v22, 1, v1
	v_add_nc_u32_e32 v23, 1, v0
	s_waitcnt lgkmcnt(0)
	v_cmp_lt_i64_e64 s3, v[20:21], v[18:19]
	v_cndmask_b32_e64 v1, v22, v1, s2
	v_cndmask_b32_e64 v0, v0, v23, s2
                                        ; implicit-def: $vgpr22_vgpr23
	v_cmp_lt_i32_e64 s4, 63, v1
	v_cmp_gt_i32_e64 s5, 0x80, v0
	s_or_b32 s3, s4, s3
	s_and_b32 s3, s5, s3
	s_xor_b32 s4, s3, -1
	s_and_saveexec_b32 s5, s4
	s_xor_b32 s4, exec_lo, s5
; %bb.117:
	v_lshl_add_u32 v22, v1, 3, v33
	ds_read_b64 v[22:23], v22 offset:8
; %bb.118:
	s_or_saveexec_b32 s4, s4
	v_mov_b32_e32 v25, v21
	v_mov_b32_e32 v24, v20
	s_xor_b32 exec_lo, exec_lo, s4
	s_cbranch_execz .LBB164_120
; %bb.119:
	s_waitcnt lgkmcnt(0)
	v_lshl_add_u32 v22, v0, 3, v33
	ds_read_b64 v[24:25], v22 offset:8
	v_mov_b32_e32 v23, v19
	v_mov_b32_e32 v22, v18
.LBB164_120:
	s_or_b32 exec_lo, exec_lo, s4
	v_add_nc_u32_e32 v26, 1, v1
	v_add_nc_u32_e32 v27, 1, v0
	s_waitcnt lgkmcnt(0)
	v_cmp_lt_i64_e64 s4, v[24:25], v[22:23]
                                        ; implicit-def: $vgpr28_vgpr29
	v_cndmask_b32_e64 v1, v26, v1, s3
	v_cndmask_b32_e64 v0, v0, v27, s3
	v_cmp_lt_i32_e64 s5, 63, v1
	v_cmp_gt_i32_e64 s6, 0x80, v0
	s_or_b32 s4, s5, s4
	s_and_b32 s4, s6, s4
	s_xor_b32 s5, s4, -1
	s_and_saveexec_b32 s6, s5
	s_xor_b32 s5, exec_lo, s6
; %bb.121:
	v_lshl_add_u32 v26, v1, 3, v33
	ds_read_b64 v[28:29], v26 offset:8
; %bb.122:
	s_or_saveexec_b32 s5, s5
	v_mov_b32_e32 v27, v25
	v_mov_b32_e32 v26, v24
	s_xor_b32 exec_lo, exec_lo, s5
	s_cbranch_execz .LBB164_124
; %bb.123:
	v_lshl_add_u32 v26, v0, 3, v33
	s_waitcnt lgkmcnt(0)
	v_mov_b32_e32 v29, v23
	v_mov_b32_e32 v28, v22
	ds_read_b64 v[26:27], v26 offset:8
.LBB164_124:
	s_or_b32 exec_lo, exec_lo, s5
	v_add_nc_u32_e32 v30, 1, v1
	v_add_nc_u32_e32 v31, 1, v0
	s_waitcnt lgkmcnt(0)
	v_cmp_ge_i64_e64 s5, v[26:27], v[28:29]
                                        ; implicit-def: $vgpr35
	v_cndmask_b32_e64 v36, v30, v1, s4
	v_cndmask_b32_e64 v34, v0, v31, s4
                                        ; implicit-def: $vgpr30_vgpr31
	v_cmp_gt_i32_e64 s6, 64, v36
	v_cmp_lt_i32_e64 s7, 0x7f, v34
	s_and_b32 s5, s6, s5
	s_or_b32 s5, s7, s5
	s_and_saveexec_b32 s6, s5
	s_xor_b32 s5, exec_lo, s6
; %bb.125:
	v_lshl_add_u32 v0, v36, 3, v33
	v_add_nc_u32_e32 v35, 1, v36
                                        ; implicit-def: $vgpr33
                                        ; implicit-def: $vgpr36
	ds_read_b64 v[30:31], v0 offset:8
; %bb.126:
	s_or_saveexec_b32 s5, s5
	v_mov_b32_e32 v0, v28
	v_mov_b32_e32 v1, v29
	s_xor_b32 exec_lo, exec_lo, s5
	s_cbranch_execz .LBB164_128
; %bb.127:
	v_lshl_add_u32 v0, v34, 3, v33
	s_waitcnt lgkmcnt(0)
	v_mov_b32_e32 v31, v29
	v_add_nc_u32_e32 v34, 1, v34
	v_mov_b32_e32 v35, v36
	v_mov_b32_e32 v30, v28
	ds_read_b64 v[37:38], v0 offset:8
	v_mov_b32_e32 v0, v26
	v_mov_b32_e32 v1, v27
	s_waitcnt lgkmcnt(0)
	v_mov_b32_e32 v26, v37
	v_mov_b32_e32 v27, v38
.LBB164_128:
	s_or_b32 exec_lo, exec_lo, s5
	v_cndmask_b32_e64 v13, v11, v13, s1
	v_cndmask_b32_e64 v12, v10, v12, s1
	s_waitcnt lgkmcnt(0)
	v_cmp_lt_i64_e64 s1, v[26:27], v[30:31]
	v_cndmask_b32_e64 v15, v15, v17, s2
	v_cndmask_b32_e64 v14, v14, v16, s2
	v_cmp_lt_i32_e64 s2, 63, v35
	v_cndmask_b32_e64 v21, v19, v21, s3
	v_cndmask_b32_e64 v20, v18, v20, s3
	v_cmp_gt_i32_e64 s3, 0x80, v34
	v_cndmask_b32_e64 v7, v7, v9, s0
	v_cndmask_b32_e64 v6, v6, v8, s0
	s_or_b32 s0, s2, s1
	v_cndmask_b32_e32 v5, v3, v5, vcc_lo
	v_cndmask_b32_e32 v4, v2, v4, vcc_lo
	v_lshlrev_b32_e32 v8, 3, v32
	s_and_b32 vcc_lo, s3, s0
	v_cndmask_b32_e64 v23, v23, v25, s4
	v_cndmask_b32_e64 v22, v22, v24, s4
	s_add_u32 s0, s10, s12
	v_cndmask_b32_e32 v3, v31, v27, vcc_lo
	v_cndmask_b32_e32 v2, v30, v26, vcc_lo
	s_addc_u32 s1, s11, s13
	global_store_dwordx4 v8, v[4:7], s[0:1]
	global_store_dwordx4 v8, v[12:15], s[0:1] offset:16
	global_store_dwordx4 v8, v[20:23], s[0:1] offset:32
	;; [unrolled: 1-line block ×3, first 2 shown]
	s_endpgm
	.section	.rodata,"a",@progbits
	.p2align	6, 0x0
	.amdhsa_kernel _Z9sort_keysILj256ELj16ELj8ExN10test_utils4lessEEvPKT2_PS2_T3_
		.amdhsa_group_segment_fixed_size 16512
		.amdhsa_private_segment_fixed_size 0
		.amdhsa_kernarg_size 20
		.amdhsa_user_sgpr_count 6
		.amdhsa_user_sgpr_private_segment_buffer 1
		.amdhsa_user_sgpr_dispatch_ptr 0
		.amdhsa_user_sgpr_queue_ptr 0
		.amdhsa_user_sgpr_kernarg_segment_ptr 1
		.amdhsa_user_sgpr_dispatch_id 0
		.amdhsa_user_sgpr_flat_scratch_init 0
		.amdhsa_user_sgpr_private_segment_size 0
		.amdhsa_wavefront_size32 1
		.amdhsa_uses_dynamic_stack 0
		.amdhsa_system_sgpr_private_segment_wavefront_offset 0
		.amdhsa_system_sgpr_workgroup_id_x 1
		.amdhsa_system_sgpr_workgroup_id_y 0
		.amdhsa_system_sgpr_workgroup_id_z 0
		.amdhsa_system_sgpr_workgroup_info 0
		.amdhsa_system_vgpr_workitem_id 0
		.amdhsa_next_free_vgpr 43
		.amdhsa_next_free_sgpr 14
		.amdhsa_reserve_vcc 1
		.amdhsa_reserve_flat_scratch 0
		.amdhsa_float_round_mode_32 0
		.amdhsa_float_round_mode_16_64 0
		.amdhsa_float_denorm_mode_32 3
		.amdhsa_float_denorm_mode_16_64 3
		.amdhsa_dx10_clamp 1
		.amdhsa_ieee_mode 1
		.amdhsa_fp16_overflow 0
		.amdhsa_workgroup_processor_mode 1
		.amdhsa_memory_ordered 1
		.amdhsa_forward_progress 1
		.amdhsa_shared_vgpr_count 0
		.amdhsa_exception_fp_ieee_invalid_op 0
		.amdhsa_exception_fp_denorm_src 0
		.amdhsa_exception_fp_ieee_div_zero 0
		.amdhsa_exception_fp_ieee_overflow 0
		.amdhsa_exception_fp_ieee_underflow 0
		.amdhsa_exception_fp_ieee_inexact 0
		.amdhsa_exception_int_div_zero 0
	.end_amdhsa_kernel
	.section	.text._Z9sort_keysILj256ELj16ELj8ExN10test_utils4lessEEvPKT2_PS2_T3_,"axG",@progbits,_Z9sort_keysILj256ELj16ELj8ExN10test_utils4lessEEvPKT2_PS2_T3_,comdat
.Lfunc_end164:
	.size	_Z9sort_keysILj256ELj16ELj8ExN10test_utils4lessEEvPKT2_PS2_T3_, .Lfunc_end164-_Z9sort_keysILj256ELj16ELj8ExN10test_utils4lessEEvPKT2_PS2_T3_
                                        ; -- End function
	.set _Z9sort_keysILj256ELj16ELj8ExN10test_utils4lessEEvPKT2_PS2_T3_.num_vgpr, 43
	.set _Z9sort_keysILj256ELj16ELj8ExN10test_utils4lessEEvPKT2_PS2_T3_.num_agpr, 0
	.set _Z9sort_keysILj256ELj16ELj8ExN10test_utils4lessEEvPKT2_PS2_T3_.numbered_sgpr, 14
	.set _Z9sort_keysILj256ELj16ELj8ExN10test_utils4lessEEvPKT2_PS2_T3_.num_named_barrier, 0
	.set _Z9sort_keysILj256ELj16ELj8ExN10test_utils4lessEEvPKT2_PS2_T3_.private_seg_size, 0
	.set _Z9sort_keysILj256ELj16ELj8ExN10test_utils4lessEEvPKT2_PS2_T3_.uses_vcc, 1
	.set _Z9sort_keysILj256ELj16ELj8ExN10test_utils4lessEEvPKT2_PS2_T3_.uses_flat_scratch, 0
	.set _Z9sort_keysILj256ELj16ELj8ExN10test_utils4lessEEvPKT2_PS2_T3_.has_dyn_sized_stack, 0
	.set _Z9sort_keysILj256ELj16ELj8ExN10test_utils4lessEEvPKT2_PS2_T3_.has_recursion, 0
	.set _Z9sort_keysILj256ELj16ELj8ExN10test_utils4lessEEvPKT2_PS2_T3_.has_indirect_call, 0
	.section	.AMDGPU.csdata,"",@progbits
; Kernel info:
; codeLenInByte = 6868
; TotalNumSgprs: 16
; NumVgprs: 43
; ScratchSize: 0
; MemoryBound: 0
; FloatMode: 240
; IeeeMode: 1
; LDSByteSize: 16512 bytes/workgroup (compile time only)
; SGPRBlocks: 0
; VGPRBlocks: 5
; NumSGPRsForWavesPerEU: 16
; NumVGPRsForWavesPerEU: 43
; Occupancy: 14
; WaveLimiterHint : 0
; COMPUTE_PGM_RSRC2:SCRATCH_EN: 0
; COMPUTE_PGM_RSRC2:USER_SGPR: 6
; COMPUTE_PGM_RSRC2:TRAP_HANDLER: 0
; COMPUTE_PGM_RSRC2:TGID_X_EN: 1
; COMPUTE_PGM_RSRC2:TGID_Y_EN: 0
; COMPUTE_PGM_RSRC2:TGID_Z_EN: 0
; COMPUTE_PGM_RSRC2:TIDIG_COMP_CNT: 0
	.section	.text._Z10sort_pairsILj256ELj16ELj8ExN10test_utils4lessEEvPKT2_PS2_T3_,"axG",@progbits,_Z10sort_pairsILj256ELj16ELj8ExN10test_utils4lessEEvPKT2_PS2_T3_,comdat
	.protected	_Z10sort_pairsILj256ELj16ELj8ExN10test_utils4lessEEvPKT2_PS2_T3_ ; -- Begin function _Z10sort_pairsILj256ELj16ELj8ExN10test_utils4lessEEvPKT2_PS2_T3_
	.globl	_Z10sort_pairsILj256ELj16ELj8ExN10test_utils4lessEEvPKT2_PS2_T3_
	.p2align	8
	.type	_Z10sort_pairsILj256ELj16ELj8ExN10test_utils4lessEEvPKT2_PS2_T3_,@function
_Z10sort_pairsILj256ELj16ELj8ExN10test_utils4lessEEvPKT2_PS2_T3_: ; @_Z10sort_pairsILj256ELj16ELj8ExN10test_utils4lessEEvPKT2_PS2_T3_
; %bb.0:
	s_load_dwordx4 s[8:11], s[4:5], 0x0
	s_mov_b32 s1, 0
	s_lshl_b32 s0, s6, 11
	v_lshlrev_b32_e32 v9, 6, v0
	s_lshl_b64 s[12:13], s[0:1], 3
	s_waitcnt lgkmcnt(0)
	s_add_u32 s0, s8, s12
	s_addc_u32 s1, s9, s13
	s_clause 0x3
	global_load_dwordx4 v[1:4], v9, s[0:1]
	global_load_dwordx4 v[13:16], v9, s[0:1] offset:16
	global_load_dwordx4 v[5:8], v9, s[0:1] offset:48
	;; [unrolled: 1-line block ×3, first 2 shown]
	s_mov_b32 s0, exec_lo
	s_waitcnt vmcnt(3)
	v_add_co_u32 v23, vcc_lo, v3, 1
	v_add_co_ci_u32_e64 v24, null, 0, v4, vcc_lo
	v_add_co_u32 v17, vcc_lo, v1, 1
	v_mov_b32_e32 v20, v4
	v_mov_b32_e32 v21, v23
	v_add_co_ci_u32_e64 v18, null, 0, v2, vcc_lo
	v_mov_b32_e32 v19, v3
	v_mov_b32_e32 v22, v24
	v_cmpx_lt_i64_e64 v[3:4], v[1:2]
	s_cbranch_execz .LBB165_2
; %bb.1:
	v_mov_b32_e32 v20, v2
	v_mov_b32_e32 v22, v18
	;; [unrolled: 1-line block ×8, first 2 shown]
.LBB165_2:
	s_or_b32 exec_lo, exec_lo, s0
	s_waitcnt vmcnt(2)
	v_add_co_u32 v25, vcc_lo, v15, 1
	v_add_co_ci_u32_e64 v26, null, 0, v16, vcc_lo
	v_add_co_u32 v31, vcc_lo, v13, 1
	v_mov_b32_e32 v3, v15
	v_mov_b32_e32 v23, v25
	v_add_co_ci_u32_e64 v32, null, 0, v14, vcc_lo
	v_mov_b32_e32 v4, v16
	v_mov_b32_e32 v24, v26
	s_mov_b32 s0, exec_lo
	v_cmpx_lt_i64_e64 v[15:16], v[13:14]
	s_cbranch_execz .LBB165_4
; %bb.3:
	v_mov_b32_e32 v3, v13
	v_mov_b32_e32 v23, v31
	v_mov_b32_e32 v4, v14
	v_mov_b32_e32 v13, v15
	v_mov_b32_e32 v24, v32
	v_mov_b32_e32 v32, v26
	v_mov_b32_e32 v14, v16
	v_mov_b32_e32 v31, v25
.LBB165_4:
	s_or_b32 exec_lo, exec_lo, s0
	s_waitcnt vmcnt(0)
	v_add_co_u32 v27, vcc_lo, v11, 1
	v_add_co_ci_u32_e64 v28, null, 0, v12, vcc_lo
	v_add_co_u32 v35, vcc_lo, v9, 1
	v_mov_b32_e32 v16, v12
	v_mov_b32_e32 v25, v27
	v_add_co_ci_u32_e64 v36, null, 0, v10, vcc_lo
	v_mov_b32_e32 v15, v11
	v_mov_b32_e32 v26, v28
	s_mov_b32 s0, exec_lo
	v_cmpx_lt_i64_e64 v[11:12], v[9:10]
	s_cbranch_execz .LBB165_6
; %bb.5:
	v_mov_b32_e32 v16, v10
	v_mov_b32_e32 v25, v35
	;; [unrolled: 1-line block ×8, first 2 shown]
.LBB165_6:
	s_or_b32 exec_lo, exec_lo, s0
	v_add_co_u32 v29, vcc_lo, v7, 1
	v_add_co_ci_u32_e64 v30, null, 0, v8, vcc_lo
	v_add_co_u32 v37, vcc_lo, v5, 1
	v_mov_b32_e32 v12, v8
	v_mov_b32_e32 v27, v29
	v_add_co_ci_u32_e64 v38, null, 0, v6, vcc_lo
	v_mov_b32_e32 v11, v7
	v_mov_b32_e32 v28, v30
	s_mov_b32 s0, exec_lo
	v_cmpx_lt_i64_e64 v[7:8], v[5:6]
	s_cbranch_execz .LBB165_8
; %bb.7:
	v_mov_b32_e32 v12, v6
	v_mov_b32_e32 v27, v37
	;; [unrolled: 1-line block ×8, first 2 shown]
.LBB165_8:
	s_or_b32 exec_lo, exec_lo, s0
	v_mov_b32_e32 v7, v13
	v_mov_b32_e32 v29, v31
	;; [unrolled: 1-line block ×4, first 2 shown]
	s_mov_b32 s0, exec_lo
	v_cmpx_lt_i64_e64 v[13:14], v[19:20]
	s_xor_b32 s0, exec_lo, s0
	s_cbranch_execz .LBB165_10
; %bb.9:
	v_mov_b32_e32 v7, v19
	v_mov_b32_e32 v30, v22
	v_mov_b32_e32 v8, v20
	v_mov_b32_e32 v20, v14
	v_mov_b32_e32 v29, v21
	v_mov_b32_e32 v21, v31
	v_mov_b32_e32 v19, v13
	v_mov_b32_e32 v22, v32
.LBB165_10:
	s_or_b32 exec_lo, exec_lo, s0
	v_mov_b32_e32 v14, v10
	v_mov_b32_e32 v33, v35
	v_mov_b32_e32 v13, v9
	v_mov_b32_e32 v34, v36
	s_mov_b32 s0, exec_lo
	v_cmpx_lt_i64_e64 v[9:10], v[3:4]
	s_cbranch_execz .LBB165_12
; %bb.11:
	v_mov_b32_e32 v14, v4
	v_mov_b32_e32 v34, v24
	v_mov_b32_e32 v13, v3
	v_mov_b32_e32 v3, v9
	v_mov_b32_e32 v33, v23
	v_mov_b32_e32 v23, v35
	v_mov_b32_e32 v4, v10
	v_mov_b32_e32 v24, v36
.LBB165_12:
	s_or_b32 exec_lo, exec_lo, s0
	v_mov_b32_e32 v10, v6
	v_mov_b32_e32 v35, v37
	v_mov_b32_e32 v9, v5
	v_mov_b32_e32 v36, v38
	s_mov_b32 s0, exec_lo
	v_cmpx_lt_i64_e64 v[5:6], v[15:16]
	;; [unrolled: 18-line block ×23, first 2 shown]
	s_cbranch_execz .LBB165_56
; %bb.55:
	v_mov_b32_e32 v32, v24
	v_mov_b32_e32 v16, v8
	;; [unrolled: 1-line block ×8, first 2 shown]
.LBB165_56:
	s_or_b32 exec_lo, exec_lo, s0
	v_mbcnt_lo_u32_b32 v29, -1, 0
	v_lshrrev_b32_e32 v35, 4, v0
	v_lshlrev_b32_e32 v49, 3, v0
	v_mov_b32_e32 v0, 0
	v_lshlrev_b32_e32 v53, 3, v29
	; wave barrier
	s_mov_b32 s0, exec_lo
	v_and_b32_e32 v29, 0x70, v53
	v_and_b32_e32 v52, 0x78, v53
	;; [unrolled: 1-line block ×3, first 2 shown]
	v_or_b32_e32 v54, 8, v29
	v_lshlrev_b32_e32 v36, 3, v52
	v_lshlrev_b32_e32 v38, 3, v29
	v_sub_nc_u32_e32 v37, v54, v29
	v_mad_u32_u24 v50, 0x408, v35, v36
	ds_write2_b64 v50, v[1:2], v[19:20] offset1:1
	ds_write2_b64 v50, v[33:34], v[21:22] offset0:2 offset1:3
	v_min_i32_e32 v36, v30, v37
	v_mad_u32_u24 v1, 0x408, v35, v38
	ds_write2_b64 v50, v[27:28], v[23:24] offset0:4 offset1:5
	ds_write2_b64 v50, v[31:32], v[25:26] offset0:6 offset1:7
	; wave barrier
	v_cmpx_lt_i32_e32 0, v36
	s_cbranch_execz .LBB165_60
; %bb.57:
	v_lshl_add_u32 v2, v30, 3, v1
	v_mov_b32_e32 v0, 0
	s_mov_b32 s1, 0
	.p2align	6
.LBB165_58:                             ; =>This Inner Loop Header: Depth=1
	v_sub_nc_u32_e32 v19, v36, v0
	v_lshrrev_b32_e32 v19, 1, v19
	v_add_nc_u32_e32 v23, v19, v0
	v_not_b32_e32 v19, v23
	v_lshl_add_u32 v20, v23, 3, v1
	v_lshl_add_u32 v21, v19, 3, v2
	ds_read_b64 v[19:20], v20
	ds_read_b64 v[21:22], v21 offset:64
	s_waitcnt lgkmcnt(0)
	v_cmp_lt_i64_e32 vcc_lo, v[21:22], v[19:20]
	v_add_nc_u32_e32 v19, 1, v23
	v_cndmask_b32_e32 v36, v36, v23, vcc_lo
	v_cndmask_b32_e32 v0, v19, v0, vcc_lo
	v_cmp_ge_i32_e32 vcc_lo, v0, v36
	s_or_b32 s1, vcc_lo, s1
	s_andn2_b32 exec_lo, exec_lo, s1
	s_cbranch_execnz .LBB165_58
; %bb.59:
	s_or_b32 exec_lo, exec_lo, s1
.LBB165_60:
	s_or_b32 exec_lo, exec_lo, s0
	v_add_nc_u32_e32 v2, v29, v30
	v_mul_u32_u24_e32 v51, 0x408, v35
	v_lshl_add_u32 v25, v0, 3, v1
	v_add_nc_u32_e32 v55, 16, v29
	v_cmp_lt_i32_e64 s0, 7, v0
	v_sub_nc_u32_e32 v2, v2, v0
                                        ; implicit-def: $vgpr23_vgpr24
	v_lshl_add_u32 v1, v2, 3, v51
	v_add_nc_u32_e32 v2, v54, v30
	ds_read_b64 v[19:20], v25
	ds_read_b64 v[21:22], v1 offset:64
	v_sub_nc_u32_e32 v2, v2, v0
	v_cmp_gt_i32_e64 s1, v55, v2
	s_waitcnt lgkmcnt(0)
	v_cmp_lt_i64_e32 vcc_lo, v[21:22], v[19:20]
	s_or_b32 s0, s0, vcc_lo
	s_and_b32 vcc_lo, s1, s0
	s_xor_b32 s0, vcc_lo, -1
	s_and_saveexec_b32 s1, s0
	s_xor_b32 s0, exec_lo, s1
; %bb.61:
	ds_read_b64 v[23:24], v25 offset:8
                                        ; implicit-def: $vgpr1
; %bb.62:
	s_or_saveexec_b32 s0, s0
	v_mov_b32_e32 v26, v22
	v_mov_b32_e32 v25, v21
	s_xor_b32 exec_lo, exec_lo, s0
	s_cbranch_execz .LBB165_64
; %bb.63:
	ds_read_b64 v[25:26], v1 offset:72
	s_waitcnt lgkmcnt(1)
	v_mov_b32_e32 v24, v20
	v_mov_b32_e32 v23, v19
.LBB165_64:
	s_or_b32 exec_lo, exec_lo, s0
	v_add_nc_u32_e32 v56, v0, v29
	v_add_nc_u32_e32 v1, 1, v2
	s_waitcnt lgkmcnt(0)
	v_cmp_lt_i64_e64 s0, v[25:26], v[23:24]
	v_add_nc_u32_e32 v0, 1, v56
	v_cndmask_b32_e32 v58, v2, v1, vcc_lo
	v_cndmask_b32_e32 v57, v0, v56, vcc_lo
	v_cmp_lt_i32_e64 s2, v58, v55
                                        ; implicit-def: $vgpr0_vgpr1
	v_cmp_ge_i32_e64 s1, v57, v54
	s_or_b32 s0, s1, s0
	s_and_b32 s0, s2, s0
	s_xor_b32 s1, s0, -1
	s_and_saveexec_b32 s2, s1
	s_xor_b32 s1, exec_lo, s2
; %bb.65:
	v_lshl_add_u32 v0, v57, 3, v51
	ds_read_b64 v[0:1], v0 offset:8
; %bb.66:
	s_or_saveexec_b32 s1, s1
	v_mov_b32_e32 v28, v26
	v_mov_b32_e32 v27, v25
	s_xor_b32 exec_lo, exec_lo, s1
	s_cbranch_execz .LBB165_68
; %bb.67:
	s_waitcnt lgkmcnt(0)
	v_lshl_add_u32 v0, v58, 3, v51
	ds_read_b64 v[27:28], v0 offset:8
	v_mov_b32_e32 v0, v23
	v_mov_b32_e32 v1, v24
.LBB165_68:
	s_or_b32 exec_lo, exec_lo, s1
	v_add_nc_u32_e32 v29, 1, v57
	v_add_nc_u32_e32 v30, 1, v58
	s_waitcnt lgkmcnt(0)
	v_cmp_lt_i64_e64 s1, v[27:28], v[0:1]
	v_cndmask_b32_e64 v59, v29, v57, s0
	v_cndmask_b32_e64 v60, v58, v30, s0
                                        ; implicit-def: $vgpr29_vgpr30
	v_cmp_ge_i32_e64 s2, v59, v54
	v_cmp_lt_i32_e64 s3, v60, v55
	s_or_b32 s1, s2, s1
	s_and_b32 s1, s3, s1
	s_xor_b32 s2, s1, -1
	s_and_saveexec_b32 s3, s2
	s_xor_b32 s2, exec_lo, s3
; %bb.69:
	v_lshl_add_u32 v29, v59, 3, v51
	ds_read_b64 v[29:30], v29 offset:8
; %bb.70:
	s_or_saveexec_b32 s2, s2
	v_mov_b32_e32 v32, v28
	v_mov_b32_e32 v31, v27
	s_xor_b32 exec_lo, exec_lo, s2
	s_cbranch_execz .LBB165_72
; %bb.71:
	s_waitcnt lgkmcnt(0)
	v_lshl_add_u32 v29, v60, 3, v51
	ds_read_b64 v[31:32], v29 offset:8
	v_mov_b32_e32 v30, v1
	v_mov_b32_e32 v29, v0
.LBB165_72:
	s_or_b32 exec_lo, exec_lo, s2
	v_add_nc_u32_e32 v33, 1, v59
	v_add_nc_u32_e32 v34, 1, v60
	s_waitcnt lgkmcnt(0)
	v_cmp_lt_i64_e64 s2, v[31:32], v[29:30]
	v_cndmask_b32_e64 v61, v33, v59, s1
	v_cndmask_b32_e64 v62, v60, v34, s1
                                        ; implicit-def: $vgpr33_vgpr34
	v_cmp_ge_i32_e64 s3, v61, v54
	v_cmp_lt_i32_e64 s4, v62, v55
	s_or_b32 s2, s3, s2
	s_and_b32 s2, s4, s2
	s_xor_b32 s3, s2, -1
	s_and_saveexec_b32 s4, s3
	s_xor_b32 s3, exec_lo, s4
; %bb.73:
	v_lshl_add_u32 v33, v61, 3, v51
	ds_read_b64 v[33:34], v33 offset:8
; %bb.74:
	s_or_saveexec_b32 s3, s3
	v_mov_b32_e32 v36, v32
	v_mov_b32_e32 v35, v31
	s_xor_b32 exec_lo, exec_lo, s3
	s_cbranch_execz .LBB165_76
; %bb.75:
	s_waitcnt lgkmcnt(0)
	v_lshl_add_u32 v33, v62, 3, v51
	ds_read_b64 v[35:36], v33 offset:8
	v_mov_b32_e32 v34, v30
	v_mov_b32_e32 v33, v29
.LBB165_76:
	s_or_b32 exec_lo, exec_lo, s3
	v_add_nc_u32_e32 v37, 1, v61
	v_add_nc_u32_e32 v38, 1, v62
	s_waitcnt lgkmcnt(0)
	v_cmp_lt_i64_e64 s3, v[35:36], v[33:34]
                                        ; implicit-def: $vgpr41_vgpr42
	v_cndmask_b32_e64 v63, v37, v61, s2
	v_cndmask_b32_e64 v64, v62, v38, s2
	v_cmp_ge_i32_e64 s4, v63, v54
	v_cmp_lt_i32_e64 s5, v64, v55
	s_or_b32 s3, s4, s3
	s_and_b32 s3, s5, s3
	s_xor_b32 s4, s3, -1
	s_and_saveexec_b32 s5, s4
	s_xor_b32 s4, exec_lo, s5
; %bb.77:
	v_lshl_add_u32 v37, v63, 3, v51
	ds_read_b64 v[41:42], v37 offset:8
; %bb.78:
	s_or_saveexec_b32 s4, s4
	v_mov_b32_e32 v44, v36
	v_mov_b32_e32 v43, v35
	s_xor_b32 exec_lo, exec_lo, s4
	s_cbranch_execz .LBB165_80
; %bb.79:
	v_lshl_add_u32 v37, v64, 3, v51
	s_waitcnt lgkmcnt(0)
	v_mov_b32_e32 v42, v34
	v_mov_b32_e32 v41, v33
	ds_read_b64 v[43:44], v37 offset:8
.LBB165_80:
	s_or_b32 exec_lo, exec_lo, s4
	v_add_nc_u32_e32 v37, 1, v63
	v_add_nc_u32_e32 v38, 1, v64
	s_waitcnt lgkmcnt(0)
	v_cmp_lt_i64_e64 s4, v[43:44], v[41:42]
                                        ; implicit-def: $vgpr45_vgpr46
	v_cndmask_b32_e64 v65, v37, v63, s3
	v_cndmask_b32_e64 v66, v64, v38, s3
	v_cmp_ge_i32_e64 s5, v65, v54
	v_cmp_lt_i32_e64 s6, v66, v55
	s_or_b32 s4, s5, s4
	s_and_b32 s4, s6, s4
	s_xor_b32 s5, s4, -1
	s_and_saveexec_b32 s6, s5
	s_xor_b32 s5, exec_lo, s6
; %bb.81:
	v_lshl_add_u32 v37, v65, 3, v51
	ds_read_b64 v[45:46], v37 offset:8
; %bb.82:
	s_or_saveexec_b32 s5, s5
	v_mov_b32_e32 v48, v44
	v_mov_b32_e32 v47, v43
	s_xor_b32 exec_lo, exec_lo, s5
	s_cbranch_execz .LBB165_84
; %bb.83:
	v_lshl_add_u32 v37, v66, 3, v51
	s_waitcnt lgkmcnt(0)
	v_mov_b32_e32 v46, v42
	v_mov_b32_e32 v45, v41
	ds_read_b64 v[47:48], v37 offset:8
.LBB165_84:
	s_or_b32 exec_lo, exec_lo, s5
	v_add_nc_u32_e32 v37, 1, v65
	v_add_nc_u32_e32 v38, 1, v66
	s_waitcnt lgkmcnt(0)
	v_cmp_lt_i64_e64 s5, v[47:48], v[45:46]
	v_cndmask_b32_e64 v67, v37, v65, s4
	v_cndmask_b32_e64 v68, v66, v38, s4
                                        ; implicit-def: $vgpr37_vgpr38
	v_cmp_ge_i32_e64 s6, v67, v54
	v_cmp_lt_i32_e64 s7, v68, v55
	s_or_b32 s5, s6, s5
	s_and_b32 s5, s7, s5
	s_xor_b32 s6, s5, -1
	s_and_saveexec_b32 s7, s6
	s_xor_b32 s6, exec_lo, s7
; %bb.85:
	v_lshl_add_u32 v37, v67, 3, v51
	ds_read_b64 v[37:38], v37 offset:8
; %bb.86:
	s_or_saveexec_b32 s6, s6
	v_mov_b32_e32 v39, v47
	v_mov_b32_e32 v40, v48
	s_xor_b32 exec_lo, exec_lo, s6
	s_cbranch_execz .LBB165_88
; %bb.87:
	s_waitcnt lgkmcnt(0)
	v_lshl_add_u32 v37, v68, 3, v51
	ds_read_b64 v[39:40], v37 offset:8
	v_mov_b32_e32 v37, v45
	v_mov_b32_e32 v38, v46
.LBB165_88:
	s_or_b32 exec_lo, exec_lo, s6
	v_add_nc_u32_e32 v70, 1, v67
	v_add_nc_u32_e32 v69, 1, v68
	v_cndmask_b32_e64 v46, v46, v48, s5
	v_cndmask_b32_e64 v45, v45, v47, s5
	;; [unrolled: 1-line block ×8, first 2 shown]
	s_waitcnt lgkmcnt(0)
	v_cmp_lt_i64_e64 s2, v[39:40], v[37:38]
	v_cndmask_b32_e64 v34, v34, v36, s3
	v_cndmask_b32_e64 v33, v33, v35, s3
	;; [unrolled: 1-line block ×3, first 2 shown]
	v_cmp_ge_i32_e64 s3, v48, v54
	v_cndmask_b32_e64 v41, v41, v43, s4
	v_cndmask_b32_e64 v43, v65, v66, s4
	v_cmp_lt_i32_e64 s4, v47, v55
	v_cndmask_b32_e64 v32, v1, v28, s1
	v_cndmask_b32_e64 v31, v0, v27, s1
	;; [unrolled: 1-line block ×3, first 2 shown]
	s_or_b32 s1, s3, s2
	v_cndmask_b32_e32 v2, v56, v2, vcc_lo
	v_cndmask_b32_e64 v1, v57, v58, s0
	s_and_b32 s1, s4, s1
	v_cndmask_b32_e64 v67, v67, v68, s5
	v_cndmask_b32_e64 v27, v48, v47, s1
	; wave barrier
	ds_write2_b64 v50, v[17:18], v[3:4] offset1:1
	ds_write2_b64 v50, v[11:12], v[5:6] offset0:2 offset1:3
	ds_write2_b64 v50, v[13:14], v[7:8] offset0:4 offset1:5
	ds_write2_b64 v50, v[15:16], v[9:10] offset0:6 offset1:7
	v_lshl_add_u32 v2, v2, 3, v51
	v_lshl_add_u32 v8, v35, 3, v51
	;; [unrolled: 1-line block ×8, first 2 shown]
	; wave barrier
	ds_read_b64 v[4:5], v2
	ds_read_b64 v[6:7], v1
	;; [unrolled: 1-line block ×8, first 2 shown]
	v_and_b32_e32 v27, 0x60, v53
	v_cndmask_b32_e32 v22, v20, v22, vcc_lo
	v_and_b32_e32 v20, 24, v53
	v_cndmask_b32_e64 v26, v24, v26, s0
	v_cndmask_b32_e64 v25, v23, v25, s0
	v_or_b32_e32 v48, 16, v27
	v_cndmask_b32_e32 v21, v19, v21, vcc_lo
	v_sub_nc_u32_e64 v24, v20, 16 clamp
	v_cndmask_b32_e64 v36, v38, v40, s1
	v_cndmask_b32_e64 v35, v37, v39, s1
	v_sub_nc_u32_e32 v16, v48, v27
	s_mov_b32 s0, exec_lo
	; wave barrier
	ds_write2_b64 v50, v[21:22], v[25:26] offset1:1
	ds_write2_b64 v50, v[31:32], v[29:30] offset0:2 offset1:3
	v_min_i32_e32 v17, v20, v16
	v_lshl_add_u32 v16, v27, 3, v51
	ds_write2_b64 v50, v[33:34], v[41:42] offset0:4 offset1:5
	ds_write2_b64 v50, v[45:46], v[35:36] offset0:6 offset1:7
	; wave barrier
	v_cmpx_lt_i32_e64 v24, v17
	s_cbranch_execz .LBB165_92
; %bb.89:
	v_lshl_add_u32 v18, v20, 3, v16
	s_mov_b32 s1, 0
	.p2align	6
.LBB165_90:                             ; =>This Inner Loop Header: Depth=1
	v_sub_nc_u32_e32 v19, v17, v24
	v_lshrrev_b32_e32 v19, 1, v19
	v_add_nc_u32_e32 v19, v19, v24
	v_not_b32_e32 v21, v19
	v_lshl_add_u32 v22, v19, 3, v16
	v_lshl_add_u32 v23, v21, 3, v18
	ds_read_b64 v[21:22], v22
	ds_read_b64 v[25:26], v23 offset:128
	s_waitcnt lgkmcnt(0)
	v_cmp_lt_i64_e32 vcc_lo, v[25:26], v[21:22]
	v_add_nc_u32_e32 v21, 1, v19
	v_cndmask_b32_e32 v17, v17, v19, vcc_lo
	v_cndmask_b32_e32 v24, v21, v24, vcc_lo
	v_cmp_ge_i32_e32 vcc_lo, v24, v17
	s_or_b32 s1, vcc_lo, s1
	s_andn2_b32 exec_lo, exec_lo, s1
	s_cbranch_execnz .LBB165_90
; %bb.91:
	s_or_b32 exec_lo, exec_lo, s1
.LBB165_92:
	s_or_b32 exec_lo, exec_lo, s0
	v_add_nc_u32_e32 v17, v27, v20
	v_lshl_add_u32 v22, v24, 3, v16
	v_add_nc_u32_e32 v20, v48, v20
	v_add_nc_u32_e32 v55, 32, v27
	v_cmp_lt_i32_e64 s0, 15, v24
	v_sub_nc_u32_e32 v17, v17, v24
	v_sub_nc_u32_e32 v54, v20, v24
                                        ; implicit-def: $vgpr20_vgpr21
	v_lshl_add_u32 v25, v17, 3, v51
	ds_read_b64 v[16:17], v22
	ds_read_b64 v[18:19], v25 offset:128
	v_cmp_gt_i32_e64 s1, v55, v54
	s_waitcnt lgkmcnt(0)
	v_cmp_lt_i64_e32 vcc_lo, v[18:19], v[16:17]
	s_or_b32 s0, s0, vcc_lo
	s_and_b32 vcc_lo, s1, s0
	s_xor_b32 s0, vcc_lo, -1
	s_and_saveexec_b32 s1, s0
	s_xor_b32 s0, exec_lo, s1
; %bb.93:
	ds_read_b64 v[20:21], v22 offset:8
                                        ; implicit-def: $vgpr25
; %bb.94:
	s_or_saveexec_b32 s0, s0
	v_mov_b32_e32 v23, v19
	v_mov_b32_e32 v22, v18
	s_xor_b32 exec_lo, exec_lo, s0
	s_cbranch_execz .LBB165_96
; %bb.95:
	ds_read_b64 v[22:23], v25 offset:136
	s_waitcnt lgkmcnt(1)
	v_mov_b32_e32 v21, v17
	v_mov_b32_e32 v20, v16
.LBB165_96:
	s_or_b32 exec_lo, exec_lo, s0
	v_add_nc_u32_e32 v56, v24, v27
	v_add_nc_u32_e32 v25, 1, v54
	s_waitcnt lgkmcnt(0)
	v_cmp_lt_i64_e64 s0, v[22:23], v[20:21]
	v_add_nc_u32_e32 v24, 1, v56
	v_cndmask_b32_e32 v58, v54, v25, vcc_lo
	v_cndmask_b32_e32 v57, v24, v56, vcc_lo
	v_cmp_lt_i32_e64 s2, v58, v55
                                        ; implicit-def: $vgpr24_vgpr25
	v_cmp_ge_i32_e64 s1, v57, v48
	s_or_b32 s0, s1, s0
	s_and_b32 s0, s2, s0
	s_xor_b32 s1, s0, -1
	s_and_saveexec_b32 s2, s1
	s_xor_b32 s1, exec_lo, s2
; %bb.97:
	v_lshl_add_u32 v24, v57, 3, v51
	ds_read_b64 v[24:25], v24 offset:8
; %bb.98:
	s_or_saveexec_b32 s1, s1
	v_mov_b32_e32 v27, v23
	v_mov_b32_e32 v26, v22
	s_xor_b32 exec_lo, exec_lo, s1
	s_cbranch_execz .LBB165_100
; %bb.99:
	s_waitcnt lgkmcnt(0)
	v_lshl_add_u32 v24, v58, 3, v51
	ds_read_b64 v[26:27], v24 offset:8
	v_mov_b32_e32 v25, v21
	v_mov_b32_e32 v24, v20
.LBB165_100:
	s_or_b32 exec_lo, exec_lo, s1
	v_add_nc_u32_e32 v28, 1, v57
	v_add_nc_u32_e32 v29, 1, v58
	s_waitcnt lgkmcnt(0)
	v_cmp_lt_i64_e64 s1, v[26:27], v[24:25]
	v_cndmask_b32_e64 v59, v28, v57, s0
	v_cndmask_b32_e64 v60, v58, v29, s0
                                        ; implicit-def: $vgpr28_vgpr29
	v_cmp_ge_i32_e64 s2, v59, v48
	v_cmp_lt_i32_e64 s3, v60, v55
	s_or_b32 s1, s2, s1
	s_and_b32 s1, s3, s1
	s_xor_b32 s2, s1, -1
	s_and_saveexec_b32 s3, s2
	s_xor_b32 s2, exec_lo, s3
; %bb.101:
	v_lshl_add_u32 v28, v59, 3, v51
	ds_read_b64 v[28:29], v28 offset:8
; %bb.102:
	s_or_saveexec_b32 s2, s2
	v_mov_b32_e32 v31, v27
	v_mov_b32_e32 v30, v26
	s_xor_b32 exec_lo, exec_lo, s2
	s_cbranch_execz .LBB165_104
; %bb.103:
	s_waitcnt lgkmcnt(0)
	v_lshl_add_u32 v28, v60, 3, v51
	ds_read_b64 v[30:31], v28 offset:8
	v_mov_b32_e32 v29, v25
	v_mov_b32_e32 v28, v24
.LBB165_104:
	s_or_b32 exec_lo, exec_lo, s2
	v_add_nc_u32_e32 v32, 1, v59
	v_add_nc_u32_e32 v33, 1, v60
	s_waitcnt lgkmcnt(0)
	v_cmp_lt_i64_e64 s2, v[30:31], v[28:29]
	v_cndmask_b32_e64 v61, v32, v59, s1
	v_cndmask_b32_e64 v62, v60, v33, s1
                                        ; implicit-def: $vgpr32_vgpr33
	v_cmp_ge_i32_e64 s3, v61, v48
	v_cmp_lt_i32_e64 s4, v62, v55
	s_or_b32 s2, s3, s2
	s_and_b32 s2, s4, s2
	s_xor_b32 s3, s2, -1
	s_and_saveexec_b32 s4, s3
	s_xor_b32 s3, exec_lo, s4
; %bb.105:
	v_lshl_add_u32 v32, v61, 3, v51
	ds_read_b64 v[32:33], v32 offset:8
; %bb.106:
	s_or_saveexec_b32 s3, s3
	v_mov_b32_e32 v35, v31
	v_mov_b32_e32 v34, v30
	s_xor_b32 exec_lo, exec_lo, s3
	s_cbranch_execz .LBB165_108
; %bb.107:
	s_waitcnt lgkmcnt(0)
	v_lshl_add_u32 v32, v62, 3, v51
	ds_read_b64 v[34:35], v32 offset:8
	v_mov_b32_e32 v33, v29
	v_mov_b32_e32 v32, v28
.LBB165_108:
	s_or_b32 exec_lo, exec_lo, s3
	v_add_nc_u32_e32 v36, 1, v61
	v_add_nc_u32_e32 v37, 1, v62
	s_waitcnt lgkmcnt(0)
	v_cmp_lt_i64_e64 s3, v[34:35], v[32:33]
                                        ; implicit-def: $vgpr40_vgpr41
	v_cndmask_b32_e64 v63, v36, v61, s2
	v_cndmask_b32_e64 v64, v62, v37, s2
	v_cmp_ge_i32_e64 s4, v63, v48
	v_cmp_lt_i32_e64 s5, v64, v55
	s_or_b32 s3, s4, s3
	s_and_b32 s3, s5, s3
	s_xor_b32 s4, s3, -1
	s_and_saveexec_b32 s5, s4
	s_xor_b32 s4, exec_lo, s5
; %bb.109:
	v_lshl_add_u32 v36, v63, 3, v51
	ds_read_b64 v[40:41], v36 offset:8
; %bb.110:
	s_or_saveexec_b32 s4, s4
	v_mov_b32_e32 v43, v35
	v_mov_b32_e32 v42, v34
	s_xor_b32 exec_lo, exec_lo, s4
	s_cbranch_execz .LBB165_112
; %bb.111:
	v_lshl_add_u32 v36, v64, 3, v51
	s_waitcnt lgkmcnt(0)
	v_mov_b32_e32 v41, v33
	v_mov_b32_e32 v40, v32
	ds_read_b64 v[42:43], v36 offset:8
.LBB165_112:
	s_or_b32 exec_lo, exec_lo, s4
	v_add_nc_u32_e32 v36, 1, v63
	v_add_nc_u32_e32 v37, 1, v64
	s_waitcnt lgkmcnt(0)
	v_cmp_lt_i64_e64 s4, v[42:43], v[40:41]
                                        ; implicit-def: $vgpr44_vgpr45
	v_cndmask_b32_e64 v65, v36, v63, s3
	v_cndmask_b32_e64 v66, v64, v37, s3
	v_cmp_ge_i32_e64 s5, v65, v48
	v_cmp_lt_i32_e64 s6, v66, v55
	s_or_b32 s4, s5, s4
	s_and_b32 s4, s6, s4
	s_xor_b32 s5, s4, -1
	s_and_saveexec_b32 s6, s5
	s_xor_b32 s5, exec_lo, s6
; %bb.113:
	v_lshl_add_u32 v36, v65, 3, v51
	ds_read_b64 v[44:45], v36 offset:8
; %bb.114:
	s_or_saveexec_b32 s5, s5
	v_mov_b32_e32 v47, v43
	v_mov_b32_e32 v46, v42
	s_xor_b32 exec_lo, exec_lo, s5
	s_cbranch_execz .LBB165_116
; %bb.115:
	v_lshl_add_u32 v36, v66, 3, v51
	s_waitcnt lgkmcnt(0)
	v_mov_b32_e32 v45, v41
	v_mov_b32_e32 v44, v40
	ds_read_b64 v[46:47], v36 offset:8
.LBB165_116:
	s_or_b32 exec_lo, exec_lo, s5
	v_add_nc_u32_e32 v36, 1, v65
	v_add_nc_u32_e32 v37, 1, v66
	s_waitcnt lgkmcnt(0)
	v_cmp_lt_i64_e64 s5, v[46:47], v[44:45]
	v_cndmask_b32_e64 v67, v36, v65, s4
	v_cndmask_b32_e64 v68, v66, v37, s4
                                        ; implicit-def: $vgpr36_vgpr37
	v_cmp_ge_i32_e64 s6, v67, v48
	v_cmp_lt_i32_e64 s7, v68, v55
	s_or_b32 s5, s6, s5
	s_and_b32 s5, s7, s5
	s_xor_b32 s6, s5, -1
	s_and_saveexec_b32 s7, s6
	s_xor_b32 s6, exec_lo, s7
; %bb.117:
	v_lshl_add_u32 v36, v67, 3, v51
	ds_read_b64 v[36:37], v36 offset:8
; %bb.118:
	s_or_saveexec_b32 s6, s6
	v_mov_b32_e32 v38, v46
	v_mov_b32_e32 v39, v47
	s_xor_b32 exec_lo, exec_lo, s6
	s_cbranch_execz .LBB165_120
; %bb.119:
	s_waitcnt lgkmcnt(0)
	v_lshl_add_u32 v36, v68, 3, v51
	ds_read_b64 v[38:39], v36 offset:8
	v_mov_b32_e32 v36, v44
	v_mov_b32_e32 v37, v45
.LBB165_120:
	s_or_b32 exec_lo, exec_lo, s6
	v_add_nc_u32_e32 v70, 1, v67
	v_add_nc_u32_e32 v69, 1, v68
	v_cndmask_b32_e64 v45, v45, v47, s5
	v_cndmask_b32_e64 v44, v44, v46, s5
	;; [unrolled: 1-line block ×7, first 2 shown]
	s_waitcnt lgkmcnt(0)
	v_cmp_lt_i64_e64 s2, v[38:39], v[36:37]
	v_cndmask_b32_e64 v33, v33, v35, s3
	v_cndmask_b32_e64 v32, v32, v34, s3
	;; [unrolled: 1-line block ×3, first 2 shown]
	v_cmp_ge_i32_e64 s3, v47, v48
	v_cndmask_b32_e64 v41, v41, v43, s4
	v_cndmask_b32_e64 v40, v40, v42, s4
	;; [unrolled: 1-line block ×3, first 2 shown]
	v_cmp_lt_i32_e64 s4, v46, v55
	v_cndmask_b32_e64 v27, v25, v27, s1
	v_cndmask_b32_e64 v26, v24, v26, s1
	v_cndmask_b32_e64 v24, v59, v60, s1
	s_or_b32 s1, s3, s2
	v_cndmask_b32_e32 v35, v56, v54, vcc_lo
	v_cndmask_b32_e64 v25, v57, v58, s0
	s_and_b32 s1, s4, s1
	v_cndmask_b32_e64 v67, v67, v68, s5
	v_cndmask_b32_e64 v31, v37, v39, s1
	;; [unrolled: 1-line block ×3, first 2 shown]
	; wave barrier
	ds_write2_b64 v50, v[4:5], v[6:7] offset1:1
	ds_write2_b64 v50, v[0:1], v[2:3] offset0:2 offset1:3
	ds_write2_b64 v50, v[12:13], v[14:15] offset0:4 offset1:5
	;; [unrolled: 1-line block ×3, first 2 shown]
	v_lshl_add_u32 v0, v35, 3, v51
	v_lshl_add_u32 v8, v34, 3, v51
	;; [unrolled: 1-line block ×8, first 2 shown]
	; wave barrier
	ds_read_b64 v[4:5], v0
	ds_read_b64 v[6:7], v1
	;; [unrolled: 1-line block ×8, first 2 shown]
	v_and_b32_e32 v24, 64, v53
	v_cndmask_b32_e64 v22, v20, v22, s0
	v_cndmask_b32_e32 v19, v17, v19, vcc_lo
	v_and_b32_e32 v20, 56, v53
	v_cndmask_b32_e64 v23, v21, v23, s0
	v_or_b32_e32 v48, 32, v24
	v_cndmask_b32_e32 v18, v16, v18, vcc_lo
	v_lshl_add_u32 v16, v24, 3, v51
	v_sub_nc_u32_e64 v25, v20, 32 clamp
	v_cndmask_b32_e64 v30, v36, v38, s1
	v_sub_nc_u32_e32 v17, v48, v24
	s_mov_b32 s0, exec_lo
	; wave barrier
	ds_write2_b64 v50, v[18:19], v[22:23] offset1:1
	ds_write2_b64 v50, v[26:27], v[28:29] offset0:2 offset1:3
	v_min_i32_e32 v17, v20, v17
	ds_write2_b64 v50, v[32:33], v[40:41] offset0:4 offset1:5
	ds_write2_b64 v50, v[44:45], v[30:31] offset0:6 offset1:7
	; wave barrier
	v_cmpx_lt_i32_e64 v25, v17
	s_cbranch_execz .LBB165_124
; %bb.121:
	v_lshl_add_u32 v18, v20, 3, v16
	s_mov_b32 s1, 0
	.p2align	6
.LBB165_122:                            ; =>This Inner Loop Header: Depth=1
	v_sub_nc_u32_e32 v19, v17, v25
	v_lshrrev_b32_e32 v19, 1, v19
	v_add_nc_u32_e32 v19, v19, v25
	v_not_b32_e32 v21, v19
	v_lshl_add_u32 v22, v19, 3, v16
	v_lshl_add_u32 v23, v21, 3, v18
	ds_read_b64 v[21:22], v22
	ds_read_b64 v[26:27], v23 offset:256
	s_waitcnt lgkmcnt(0)
	v_cmp_lt_i64_e32 vcc_lo, v[26:27], v[21:22]
	v_add_nc_u32_e32 v21, 1, v19
	v_cndmask_b32_e32 v17, v17, v19, vcc_lo
	v_cndmask_b32_e32 v25, v21, v25, vcc_lo
	v_cmp_ge_i32_e32 vcc_lo, v25, v17
	s_or_b32 s1, vcc_lo, s1
	s_andn2_b32 exec_lo, exec_lo, s1
	s_cbranch_execnz .LBB165_122
; %bb.123:
	s_or_b32 exec_lo, exec_lo, s1
.LBB165_124:
	s_or_b32 exec_lo, exec_lo, s0
	v_add_nc_u32_e32 v17, v24, v20
	v_lshl_add_u32 v22, v25, 3, v16
	v_add_nc_u32_e32 v20, v48, v20
	v_add_nc_u32_e32 v54, 64, v24
	v_cmp_lt_i32_e64 s0, 31, v25
	v_sub_nc_u32_e32 v17, v17, v25
	v_sub_nc_u32_e32 v53, v20, v25
                                        ; implicit-def: $vgpr20_vgpr21
	v_lshl_add_u32 v26, v17, 3, v51
	ds_read_b64 v[16:17], v22
	ds_read_b64 v[18:19], v26 offset:256
	v_cmp_gt_i32_e64 s1, v54, v53
	s_waitcnt lgkmcnt(0)
	v_cmp_lt_i64_e32 vcc_lo, v[18:19], v[16:17]
	s_or_b32 s0, s0, vcc_lo
	s_and_b32 vcc_lo, s1, s0
	s_xor_b32 s0, vcc_lo, -1
	s_and_saveexec_b32 s1, s0
	s_xor_b32 s0, exec_lo, s1
; %bb.125:
	ds_read_b64 v[20:21], v22 offset:8
                                        ; implicit-def: $vgpr26
; %bb.126:
	s_or_saveexec_b32 s0, s0
	v_mov_b32_e32 v23, v19
	v_mov_b32_e32 v22, v18
	s_xor_b32 exec_lo, exec_lo, s0
	s_cbranch_execz .LBB165_128
; %bb.127:
	ds_read_b64 v[22:23], v26 offset:264
	s_waitcnt lgkmcnt(1)
	v_mov_b32_e32 v21, v17
	v_mov_b32_e32 v20, v16
.LBB165_128:
	s_or_b32 exec_lo, exec_lo, s0
	v_add_nc_u32_e32 v55, v25, v24
	v_add_nc_u32_e32 v25, 1, v53
	s_waitcnt lgkmcnt(0)
	v_cmp_lt_i64_e64 s0, v[22:23], v[20:21]
	v_add_nc_u32_e32 v24, 1, v55
	v_cndmask_b32_e32 v57, v53, v25, vcc_lo
	v_cndmask_b32_e32 v56, v24, v55, vcc_lo
	v_cmp_lt_i32_e64 s2, v57, v54
                                        ; implicit-def: $vgpr24_vgpr25
	v_cmp_ge_i32_e64 s1, v56, v48
	s_or_b32 s0, s1, s0
	s_and_b32 s0, s2, s0
	s_xor_b32 s1, s0, -1
	s_and_saveexec_b32 s2, s1
	s_xor_b32 s1, exec_lo, s2
; %bb.129:
	v_lshl_add_u32 v24, v56, 3, v51
	ds_read_b64 v[24:25], v24 offset:8
; %bb.130:
	s_or_saveexec_b32 s1, s1
	v_mov_b32_e32 v27, v23
	v_mov_b32_e32 v26, v22
	s_xor_b32 exec_lo, exec_lo, s1
	s_cbranch_execz .LBB165_132
; %bb.131:
	s_waitcnt lgkmcnt(0)
	v_lshl_add_u32 v24, v57, 3, v51
	ds_read_b64 v[26:27], v24 offset:8
	v_mov_b32_e32 v25, v21
	v_mov_b32_e32 v24, v20
.LBB165_132:
	s_or_b32 exec_lo, exec_lo, s1
	v_add_nc_u32_e32 v28, 1, v56
	v_add_nc_u32_e32 v29, 1, v57
	s_waitcnt lgkmcnt(0)
	v_cmp_lt_i64_e64 s1, v[26:27], v[24:25]
	v_cndmask_b32_e64 v58, v28, v56, s0
	v_cndmask_b32_e64 v59, v57, v29, s0
                                        ; implicit-def: $vgpr28_vgpr29
	v_cmp_ge_i32_e64 s2, v58, v48
	v_cmp_lt_i32_e64 s3, v59, v54
	s_or_b32 s1, s2, s1
	s_and_b32 s1, s3, s1
	s_xor_b32 s2, s1, -1
	s_and_saveexec_b32 s3, s2
	s_xor_b32 s2, exec_lo, s3
; %bb.133:
	v_lshl_add_u32 v28, v58, 3, v51
	ds_read_b64 v[28:29], v28 offset:8
; %bb.134:
	s_or_saveexec_b32 s2, s2
	v_mov_b32_e32 v31, v27
	v_mov_b32_e32 v30, v26
	s_xor_b32 exec_lo, exec_lo, s2
	s_cbranch_execz .LBB165_136
; %bb.135:
	s_waitcnt lgkmcnt(0)
	v_lshl_add_u32 v28, v59, 3, v51
	ds_read_b64 v[30:31], v28 offset:8
	v_mov_b32_e32 v29, v25
	v_mov_b32_e32 v28, v24
.LBB165_136:
	s_or_b32 exec_lo, exec_lo, s2
	v_add_nc_u32_e32 v32, 1, v58
	v_add_nc_u32_e32 v33, 1, v59
	s_waitcnt lgkmcnt(0)
	v_cmp_lt_i64_e64 s2, v[30:31], v[28:29]
	v_cndmask_b32_e64 v60, v32, v58, s1
	v_cndmask_b32_e64 v61, v59, v33, s1
                                        ; implicit-def: $vgpr32_vgpr33
	v_cmp_ge_i32_e64 s3, v60, v48
	v_cmp_lt_i32_e64 s4, v61, v54
	s_or_b32 s2, s3, s2
	s_and_b32 s2, s4, s2
	s_xor_b32 s3, s2, -1
	s_and_saveexec_b32 s4, s3
	s_xor_b32 s3, exec_lo, s4
; %bb.137:
	v_lshl_add_u32 v32, v60, 3, v51
	ds_read_b64 v[32:33], v32 offset:8
; %bb.138:
	s_or_saveexec_b32 s3, s3
	v_mov_b32_e32 v35, v31
	v_mov_b32_e32 v34, v30
	s_xor_b32 exec_lo, exec_lo, s3
	s_cbranch_execz .LBB165_140
; %bb.139:
	s_waitcnt lgkmcnt(0)
	v_lshl_add_u32 v32, v61, 3, v51
	ds_read_b64 v[34:35], v32 offset:8
	v_mov_b32_e32 v33, v29
	v_mov_b32_e32 v32, v28
.LBB165_140:
	s_or_b32 exec_lo, exec_lo, s3
	v_add_nc_u32_e32 v36, 1, v60
	v_add_nc_u32_e32 v37, 1, v61
	s_waitcnt lgkmcnt(0)
	v_cmp_lt_i64_e64 s3, v[34:35], v[32:33]
                                        ; implicit-def: $vgpr38_vgpr39
	v_cndmask_b32_e64 v62, v36, v60, s2
	v_cndmask_b32_e64 v63, v61, v37, s2
	v_cmp_ge_i32_e64 s4, v62, v48
	v_cmp_lt_i32_e64 s5, v63, v54
	s_or_b32 s3, s4, s3
	s_and_b32 s3, s5, s3
	s_xor_b32 s4, s3, -1
	s_and_saveexec_b32 s5, s4
	s_xor_b32 s4, exec_lo, s5
; %bb.141:
	v_lshl_add_u32 v36, v62, 3, v51
	ds_read_b64 v[38:39], v36 offset:8
; %bb.142:
	s_or_saveexec_b32 s4, s4
	v_mov_b32_e32 v43, v35
	v_mov_b32_e32 v42, v34
	s_xor_b32 exec_lo, exec_lo, s4
	s_cbranch_execz .LBB165_144
; %bb.143:
	v_lshl_add_u32 v36, v63, 3, v51
	s_waitcnt lgkmcnt(0)
	v_mov_b32_e32 v39, v33
	v_mov_b32_e32 v38, v32
	ds_read_b64 v[42:43], v36 offset:8
.LBB165_144:
	s_or_b32 exec_lo, exec_lo, s4
	v_add_nc_u32_e32 v36, 1, v62
	v_add_nc_u32_e32 v37, 1, v63
	s_waitcnt lgkmcnt(0)
	v_cmp_lt_i64_e64 s4, v[42:43], v[38:39]
                                        ; implicit-def: $vgpr44_vgpr45
	v_cndmask_b32_e64 v64, v36, v62, s3
	v_cndmask_b32_e64 v65, v63, v37, s3
	v_cmp_ge_i32_e64 s5, v64, v48
	v_cmp_lt_i32_e64 s6, v65, v54
	s_or_b32 s4, s5, s4
	s_and_b32 s4, s6, s4
	s_xor_b32 s5, s4, -1
	s_and_saveexec_b32 s6, s5
	s_xor_b32 s5, exec_lo, s6
; %bb.145:
	v_lshl_add_u32 v36, v64, 3, v51
	ds_read_b64 v[44:45], v36 offset:8
; %bb.146:
	s_or_saveexec_b32 s5, s5
	v_mov_b32_e32 v47, v43
	v_mov_b32_e32 v46, v42
	s_xor_b32 exec_lo, exec_lo, s5
	s_cbranch_execz .LBB165_148
; %bb.147:
	v_lshl_add_u32 v36, v65, 3, v51
	s_waitcnt lgkmcnt(0)
	v_mov_b32_e32 v45, v39
	v_mov_b32_e32 v44, v38
	ds_read_b64 v[46:47], v36 offset:8
.LBB165_148:
	s_or_b32 exec_lo, exec_lo, s5
	v_add_nc_u32_e32 v36, 1, v64
	v_add_nc_u32_e32 v37, 1, v65
	s_waitcnt lgkmcnt(0)
	v_cmp_lt_i64_e64 s5, v[46:47], v[44:45]
	v_cndmask_b32_e64 v66, v36, v64, s4
	v_cndmask_b32_e64 v67, v65, v37, s4
                                        ; implicit-def: $vgpr36_vgpr37
	v_cmp_ge_i32_e64 s6, v66, v48
	v_cmp_lt_i32_e64 s7, v67, v54
	s_or_b32 s5, s6, s5
	s_and_b32 s5, s7, s5
	s_xor_b32 s6, s5, -1
	s_and_saveexec_b32 s7, s6
	s_xor_b32 s6, exec_lo, s7
; %bb.149:
	v_lshl_add_u32 v36, v66, 3, v51
	ds_read_b64 v[36:37], v36 offset:8
; %bb.150:
	s_or_saveexec_b32 s6, s6
	v_mov_b32_e32 v40, v46
	v_mov_b32_e32 v41, v47
	s_xor_b32 exec_lo, exec_lo, s6
	s_cbranch_execz .LBB165_152
; %bb.151:
	s_waitcnt lgkmcnt(0)
	v_lshl_add_u32 v36, v67, 3, v51
	ds_read_b64 v[40:41], v36 offset:8
	v_mov_b32_e32 v36, v44
	v_mov_b32_e32 v37, v45
.LBB165_152:
	s_or_b32 exec_lo, exec_lo, s6
	v_add_nc_u32_e32 v69, 1, v66
	v_add_nc_u32_e32 v68, 1, v67
	v_cndmask_b32_e64 v45, v45, v47, s5
	v_cndmask_b32_e64 v44, v44, v46, s5
	;; [unrolled: 1-line block ×7, first 2 shown]
	s_waitcnt lgkmcnt(0)
	v_cmp_lt_i64_e64 s3, v[40:41], v[36:37]
	v_cndmask_b32_e64 v39, v39, v43, s4
	v_cndmask_b32_e64 v38, v38, v42, s4
	;; [unrolled: 1-line block ×3, first 2 shown]
	v_cmp_ge_i32_e64 s4, v47, v48
	v_cndmask_b32_e64 v66, v66, v67, s5
	v_cmp_lt_i32_e64 s5, v46, v54
	v_cndmask_b32_e32 v53, v55, v53, vcc_lo
	v_cndmask_b32_e64 v48, v56, v57, s0
	s_or_b32 s3, s4, s3
	v_cndmask_b32_e64 v43, v58, v59, s1
	v_cndmask_b32_e64 v35, v60, v61, s2
	s_and_b32 s3, s5, s3
	v_cndmask_b32_e64 v29, v29, v31, s2
	v_cndmask_b32_e64 v31, v37, v41, s3
	;; [unrolled: 1-line block ×3, first 2 shown]
	; wave barrier
	ds_write2_b64 v50, v[4:5], v[6:7] offset1:1
	ds_write2_b64 v50, v[0:1], v[2:3] offset0:2 offset1:3
	ds_write2_b64 v50, v[12:13], v[14:15] offset0:4 offset1:5
	;; [unrolled: 1-line block ×3, first 2 shown]
	v_lshl_add_u32 v0, v53, 3, v51
	v_lshl_add_u32 v1, v48, 3, v51
	;; [unrolled: 1-line block ×6, first 2 shown]
	; wave barrier
	v_lshl_add_u32 v34, v66, 3, v51
	v_lshl_add_u32 v35, v37, 3, v51
	ds_read_b64 v[12:13], v0
	ds_read_b64 v[14:15], v1
	ds_read_b64 v[8:9], v2
	ds_read_b64 v[10:11], v3
	ds_read_b64 v[4:5], v4
	ds_read_b64 v[6:7], v6
	ds_read_b64 v[0:1], v34
	ds_read_b64 v[2:3], v35
	v_cndmask_b32_e64 v21, v21, v23, s0
	v_cndmask_b32_e64 v20, v20, v22, s0
	v_cndmask_b32_e32 v19, v17, v19, vcc_lo
	v_cndmask_b32_e32 v18, v16, v18, vcc_lo
	v_sub_nc_u32_e64 v48, v52, 64 clamp
	v_min_u32_e32 v16, 64, v52
	v_cndmask_b32_e64 v28, v28, v30, s2
	v_cndmask_b32_e64 v25, v25, v27, s1
	;; [unrolled: 1-line block ×4, first 2 shown]
	s_mov_b32 s0, exec_lo
	; wave barrier
	ds_write2_b64 v50, v[18:19], v[20:21] offset1:1
	ds_write2_b64 v50, v[24:25], v[28:29] offset0:2 offset1:3
	ds_write2_b64 v50, v[32:33], v[38:39] offset0:4 offset1:5
	;; [unrolled: 1-line block ×3, first 2 shown]
	; wave barrier
	v_cmpx_lt_u32_e64 v48, v16
	s_cbranch_execz .LBB165_156
; %bb.153:
	s_mov_b32 s1, 0
	.p2align	6
.LBB165_154:                            ; =>This Inner Loop Header: Depth=1
	v_sub_nc_u32_e32 v17, v16, v48
	v_lshrrev_b32_e32 v17, 1, v17
	v_add_nc_u32_e32 v21, v17, v48
	v_not_b32_e32 v17, v21
	v_lshl_add_u32 v18, v21, 3, v51
	v_lshl_add_u32 v19, v17, 3, v50
	ds_read_b64 v[17:18], v18
	ds_read_b64 v[19:20], v19 offset:512
	s_waitcnt lgkmcnt(0)
	v_cmp_lt_i64_e32 vcc_lo, v[19:20], v[17:18]
	v_add_nc_u32_e32 v17, 1, v21
	v_cndmask_b32_e32 v16, v16, v21, vcc_lo
	v_cndmask_b32_e32 v48, v17, v48, vcc_lo
	v_cmp_ge_i32_e32 vcc_lo, v48, v16
	s_or_b32 s1, vcc_lo, s1
	s_andn2_b32 exec_lo, exec_lo, s1
	s_cbranch_execnz .LBB165_154
; %bb.155:
	s_or_b32 exec_lo, exec_lo, s1
.LBB165_156:
	s_or_b32 exec_lo, exec_lo, s0
	v_sub_nc_u32_e32 v20, v52, v48
	v_lshl_add_u32 v22, v48, 3, v51
	v_cmp_lt_i32_e64 s0, 63, v48
	v_lshl_add_u32 v24, v20, 3, v51
	v_add_nc_u32_e32 v52, 64, v20
                                        ; implicit-def: $vgpr20_vgpr21
	ds_read_b64 v[16:17], v22
	ds_read_b64 v[18:19], v24 offset:512
	v_cmp_gt_i32_e64 s1, 0x80, v52
	s_waitcnt lgkmcnt(0)
	v_cmp_lt_i64_e32 vcc_lo, v[18:19], v[16:17]
	s_or_b32 s0, s0, vcc_lo
	s_and_b32 vcc_lo, s1, s0
	s_xor_b32 s0, vcc_lo, -1
	s_and_saveexec_b32 s1, s0
	s_xor_b32 s0, exec_lo, s1
; %bb.157:
	ds_read_b64 v[20:21], v22 offset:8
                                        ; implicit-def: $vgpr24
; %bb.158:
	s_or_saveexec_b32 s0, s0
	v_mov_b32_e32 v23, v19
	v_mov_b32_e32 v22, v18
	s_xor_b32 exec_lo, exec_lo, s0
	s_cbranch_execz .LBB165_160
; %bb.159:
	ds_read_b64 v[22:23], v24 offset:520
	s_waitcnt lgkmcnt(1)
	v_mov_b32_e32 v21, v17
	v_mov_b32_e32 v20, v16
.LBB165_160:
	s_or_b32 exec_lo, exec_lo, s0
	v_add_nc_u32_e32 v24, 1, v48
	v_add_nc_u32_e32 v25, 1, v52
	s_waitcnt lgkmcnt(0)
	v_cmp_lt_i64_e64 s0, v[22:23], v[20:21]
	v_cndmask_b32_e32 v53, v24, v48, vcc_lo
	v_cndmask_b32_e32 v54, v52, v25, vcc_lo
                                        ; implicit-def: $vgpr24_vgpr25
	v_cmp_lt_i32_e64 s1, 63, v53
	v_cmp_gt_i32_e64 s2, 0x80, v54
	s_or_b32 s0, s1, s0
	s_and_b32 s0, s2, s0
	s_xor_b32 s1, s0, -1
	s_and_saveexec_b32 s2, s1
	s_xor_b32 s1, exec_lo, s2
; %bb.161:
	v_lshl_add_u32 v24, v53, 3, v51
	ds_read_b64 v[24:25], v24 offset:8
; %bb.162:
	s_or_saveexec_b32 s1, s1
	v_mov_b32_e32 v27, v23
	v_mov_b32_e32 v26, v22
	s_xor_b32 exec_lo, exec_lo, s1
	s_cbranch_execz .LBB165_164
; %bb.163:
	s_waitcnt lgkmcnt(0)
	v_lshl_add_u32 v24, v54, 3, v51
	ds_read_b64 v[26:27], v24 offset:8
	v_mov_b32_e32 v25, v21
	v_mov_b32_e32 v24, v20
.LBB165_164:
	s_or_b32 exec_lo, exec_lo, s1
	v_add_nc_u32_e32 v28, 1, v53
	v_add_nc_u32_e32 v29, 1, v54
	s_waitcnt lgkmcnt(0)
	v_cmp_lt_i64_e64 s1, v[26:27], v[24:25]
	v_cndmask_b32_e64 v55, v28, v53, s0
	v_cndmask_b32_e64 v56, v54, v29, s0
                                        ; implicit-def: $vgpr28_vgpr29
	v_cmp_lt_i32_e64 s2, 63, v55
	v_cmp_gt_i32_e64 s3, 0x80, v56
	s_or_b32 s1, s2, s1
	s_and_b32 s1, s3, s1
	s_xor_b32 s2, s1, -1
	s_and_saveexec_b32 s3, s2
	s_xor_b32 s2, exec_lo, s3
; %bb.165:
	v_lshl_add_u32 v28, v55, 3, v51
	ds_read_b64 v[28:29], v28 offset:8
; %bb.166:
	s_or_saveexec_b32 s2, s2
	v_mov_b32_e32 v31, v27
	v_mov_b32_e32 v30, v26
	s_xor_b32 exec_lo, exec_lo, s2
	s_cbranch_execz .LBB165_168
; %bb.167:
	s_waitcnt lgkmcnt(0)
	v_lshl_add_u32 v28, v56, 3, v51
	ds_read_b64 v[30:31], v28 offset:8
	v_mov_b32_e32 v29, v25
	v_mov_b32_e32 v28, v24
.LBB165_168:
	s_or_b32 exec_lo, exec_lo, s2
	v_add_nc_u32_e32 v32, 1, v55
	v_add_nc_u32_e32 v33, 1, v56
	s_waitcnt lgkmcnt(0)
	v_cmp_lt_i64_e64 s2, v[30:31], v[28:29]
	v_cndmask_b32_e64 v57, v32, v55, s1
	v_cndmask_b32_e64 v58, v56, v33, s1
                                        ; implicit-def: $vgpr32_vgpr33
	v_cmp_lt_i32_e64 s3, 63, v57
	v_cmp_gt_i32_e64 s4, 0x80, v58
	s_or_b32 s2, s3, s2
	s_and_b32 s2, s4, s2
	s_xor_b32 s3, s2, -1
	s_and_saveexec_b32 s4, s3
	s_xor_b32 s3, exec_lo, s4
; %bb.169:
	v_lshl_add_u32 v32, v57, 3, v51
	ds_read_b64 v[32:33], v32 offset:8
; %bb.170:
	s_or_saveexec_b32 s3, s3
	v_mov_b32_e32 v35, v31
	v_mov_b32_e32 v34, v30
	s_xor_b32 exec_lo, exec_lo, s3
	s_cbranch_execz .LBB165_172
; %bb.171:
	s_waitcnt lgkmcnt(0)
	v_lshl_add_u32 v32, v58, 3, v51
	ds_read_b64 v[34:35], v32 offset:8
	v_mov_b32_e32 v33, v29
	v_mov_b32_e32 v32, v28
.LBB165_172:
	s_or_b32 exec_lo, exec_lo, s3
	v_add_nc_u32_e32 v36, 1, v57
	v_add_nc_u32_e32 v37, 1, v58
	s_waitcnt lgkmcnt(0)
	v_cmp_lt_i64_e64 s3, v[34:35], v[32:33]
                                        ; implicit-def: $vgpr38_vgpr39
	v_cndmask_b32_e64 v59, v36, v57, s2
	v_cndmask_b32_e64 v60, v58, v37, s2
	v_cmp_lt_i32_e64 s4, 63, v59
	v_cmp_gt_i32_e64 s5, 0x80, v60
	s_or_b32 s3, s4, s3
	s_and_b32 s3, s5, s3
	s_xor_b32 s4, s3, -1
	s_and_saveexec_b32 s5, s4
	s_xor_b32 s4, exec_lo, s5
; %bb.173:
	v_lshl_add_u32 v36, v59, 3, v51
	ds_read_b64 v[38:39], v36 offset:8
; %bb.174:
	s_or_saveexec_b32 s4, s4
	v_mov_b32_e32 v43, v35
	v_mov_b32_e32 v42, v34
	s_xor_b32 exec_lo, exec_lo, s4
	s_cbranch_execz .LBB165_176
; %bb.175:
	v_lshl_add_u32 v36, v60, 3, v51
	s_waitcnt lgkmcnt(0)
	v_mov_b32_e32 v39, v33
	v_mov_b32_e32 v38, v32
	ds_read_b64 v[42:43], v36 offset:8
.LBB165_176:
	s_or_b32 exec_lo, exec_lo, s4
	v_add_nc_u32_e32 v36, 1, v59
	v_add_nc_u32_e32 v37, 1, v60
	s_waitcnt lgkmcnt(0)
	v_cmp_lt_i64_e64 s4, v[42:43], v[38:39]
                                        ; implicit-def: $vgpr46_vgpr47
	v_cndmask_b32_e64 v62, v36, v59, s3
	v_cndmask_b32_e64 v63, v60, v37, s3
	v_cmp_lt_i32_e64 s5, 63, v62
	v_cmp_gt_i32_e64 s6, 0x80, v63
	s_or_b32 s4, s5, s4
	s_and_b32 s4, s6, s4
	s_xor_b32 s5, s4, -1
	s_and_saveexec_b32 s6, s5
	s_xor_b32 s5, exec_lo, s6
; %bb.177:
	v_lshl_add_u32 v36, v62, 3, v51
	ds_read_b64 v[46:47], v36 offset:8
; %bb.178:
	s_or_saveexec_b32 s5, s5
	v_mov_b32_e32 v36, v42
	v_mov_b32_e32 v37, v43
	s_xor_b32 exec_lo, exec_lo, s5
	s_cbranch_execz .LBB165_180
; %bb.179:
	v_lshl_add_u32 v36, v63, 3, v51
	s_waitcnt lgkmcnt(0)
	v_mov_b32_e32 v47, v39
	v_mov_b32_e32 v46, v38
	ds_read_b64 v[36:37], v36 offset:8
.LBB165_180:
	s_or_b32 exec_lo, exec_lo, s5
	v_add_nc_u32_e32 v40, 1, v62
	v_add_nc_u32_e32 v41, 1, v63
	s_waitcnt lgkmcnt(0)
	v_cmp_ge_i64_e64 s5, v[36:37], v[46:47]
                                        ; implicit-def: $vgpr44_vgpr45
                                        ; implicit-def: $vgpr64
	v_cndmask_b32_e64 v66, v40, v62, s4
	v_cndmask_b32_e64 v61, v63, v41, s4
	v_cmp_gt_i32_e64 s6, 64, v66
	v_cmp_lt_i32_e64 s7, 0x7f, v61
	s_and_b32 s5, s6, s5
	s_or_b32 s5, s7, s5
	s_and_saveexec_b32 s6, s5
	s_xor_b32 s5, exec_lo, s6
; %bb.181:
	v_lshl_add_u32 v40, v66, 3, v51
	v_add_nc_u32_e32 v64, 1, v66
	ds_read_b64 v[44:45], v40 offset:8
; %bb.182:
	s_or_saveexec_b32 s5, s5
	v_mov_b32_e32 v40, v46
	v_mov_b32_e32 v41, v47
	;; [unrolled: 1-line block ×3, first 2 shown]
	s_xor_b32 exec_lo, exec_lo, s5
	s_cbranch_execz .LBB165_184
; %bb.183:
	v_lshl_add_u32 v40, v61, 3, v51
	s_waitcnt lgkmcnt(0)
	v_add_nc_u32_e32 v44, 1, v61
	v_mov_b32_e32 v65, v61
	v_mov_b32_e32 v64, v66
	ds_read_b64 v[67:68], v40 offset:8
	v_mov_b32_e32 v41, v37
	v_mov_b32_e32 v40, v36
	;; [unrolled: 1-line block ×5, first 2 shown]
	s_waitcnt lgkmcnt(0)
	v_mov_b32_e32 v36, v67
	v_mov_b32_e32 v37, v68
.LBB165_184:
	s_or_b32 exec_lo, exec_lo, s5
	v_cndmask_b32_e64 v25, v25, v27, s1
	v_cndmask_b32_e64 v24, v24, v26, s1
	;; [unrolled: 1-line block ×3, first 2 shown]
	v_cndmask_b32_e32 v27, v48, v52, vcc_lo
	v_cndmask_b32_e64 v21, v21, v23, s0
	v_cndmask_b32_e64 v23, v55, v56, s1
	s_waitcnt lgkmcnt(0)
	v_cmp_lt_i64_e64 s1, v[36:37], v[44:45]
	v_cndmask_b32_e64 v20, v20, v22, s0
	v_cmp_lt_i32_e64 s0, 63, v64
	; wave barrier
	ds_write2_b64 v50, v[12:13], v[14:15] offset1:1
	ds_write2_b64 v50, v[8:9], v[10:11] offset0:2 offset1:3
	ds_write2_b64 v50, v[4:5], v[6:7] offset0:4 offset1:5
	v_lshl_add_u32 v4, v27, 3, v51
	ds_write2_b64 v50, v[0:1], v[2:3] offset0:6 offset1:7
	v_lshl_add_u32 v2, v26, 3, v51
	v_cndmask_b32_e64 v22, v57, v58, s2
	v_cndmask_b32_e32 v17, v17, v19, vcc_lo
	v_cndmask_b32_e32 v16, v16, v18, vcc_lo
	v_cmp_gt_i32_e32 vcc_lo, 0x80, v61
	; wave barrier
	ds_read_b64 v[0:1], v4
	ds_read_b64 v[2:3], v2
	s_or_b32 s0, s0, s1
	v_lshl_add_u32 v4, v23, 3, v51
	v_cndmask_b32_e64 v19, v59, v60, s3
	v_lshl_add_u32 v6, v22, 3, v51
	v_cndmask_b32_e64 v18, v62, v63, s4
	s_and_b32 vcc_lo, vcc_lo, s0
	ds_read_b64 v[4:5], v4
	ds_read_b64 v[6:7], v6
	v_cndmask_b32_e32 v8, v64, v61, vcc_lo
	v_lshl_add_u32 v9, v19, 3, v51
	v_lshl_add_u32 v10, v18, 3, v51
	;; [unrolled: 1-line block ×3, first 2 shown]
	v_cndmask_b32_e32 v22, v45, v37, vcc_lo
	v_lshl_add_u32 v14, v8, 3, v51
	ds_read_b64 v[8:9], v9
	ds_read_b64 v[10:11], v10
	;; [unrolled: 1-line block ×4, first 2 shown]
	v_cndmask_b32_e32 v18, v44, v36, vcc_lo
	v_cndmask_b32_e64 v28, v28, v30, s2
	s_waitcnt lgkmcnt(7)
	v_add_co_u32 v0, vcc_lo, v0, v16
	v_add_co_ci_u32_e64 v1, null, v1, v17, vcc_lo
	s_waitcnt lgkmcnt(6)
	v_add_co_u32 v2, vcc_lo, v2, v20
	v_cndmask_b32_e64 v32, v32, v34, s3
	v_cndmask_b32_e64 v29, v29, v31, s2
	v_add_co_ci_u32_e64 v3, null, v3, v21, vcc_lo
	s_waitcnt lgkmcnt(5)
	v_add_co_u32 v4, vcc_lo, v4, v24
	v_cndmask_b32_e64 v38, v38, v42, s4
	v_cndmask_b32_e64 v33, v33, v35, s3
	v_add_co_ci_u32_e64 v5, null, v5, v25, vcc_lo
	s_waitcnt lgkmcnt(4)
	v_add_co_u32 v6, vcc_lo, v6, v28
	v_cndmask_b32_e64 v39, v39, v43, s4
	v_add_co_ci_u32_e64 v7, null, v7, v29, vcc_lo
	s_waitcnt lgkmcnt(3)
	v_add_co_u32 v8, vcc_lo, v8, v32
	v_add_co_ci_u32_e64 v9, null, v9, v33, vcc_lo
	s_waitcnt lgkmcnt(2)
	v_add_co_u32 v10, vcc_lo, v10, v38
	;; [unrolled: 3-line block ×3, first 2 shown]
	v_lshlrev_b32_e32 v16, 3, v49
	v_add_co_ci_u32_e64 v13, null, v13, v41, vcc_lo
	s_waitcnt lgkmcnt(0)
	v_add_co_u32 v14, vcc_lo, v14, v18
	s_add_u32 s0, s10, s12
	v_add_co_ci_u32_e64 v15, null, v15, v22, vcc_lo
	s_addc_u32 s1, s11, s13
	global_store_dwordx4 v16, v[0:3], s[0:1]
	global_store_dwordx4 v16, v[4:7], s[0:1] offset:16
	global_store_dwordx4 v16, v[8:11], s[0:1] offset:32
	;; [unrolled: 1-line block ×3, first 2 shown]
	s_endpgm
	.section	.rodata,"a",@progbits
	.p2align	6, 0x0
	.amdhsa_kernel _Z10sort_pairsILj256ELj16ELj8ExN10test_utils4lessEEvPKT2_PS2_T3_
		.amdhsa_group_segment_fixed_size 16512
		.amdhsa_private_segment_fixed_size 0
		.amdhsa_kernarg_size 20
		.amdhsa_user_sgpr_count 6
		.amdhsa_user_sgpr_private_segment_buffer 1
		.amdhsa_user_sgpr_dispatch_ptr 0
		.amdhsa_user_sgpr_queue_ptr 0
		.amdhsa_user_sgpr_kernarg_segment_ptr 1
		.amdhsa_user_sgpr_dispatch_id 0
		.amdhsa_user_sgpr_flat_scratch_init 0
		.amdhsa_user_sgpr_private_segment_size 0
		.amdhsa_wavefront_size32 1
		.amdhsa_uses_dynamic_stack 0
		.amdhsa_system_sgpr_private_segment_wavefront_offset 0
		.amdhsa_system_sgpr_workgroup_id_x 1
		.amdhsa_system_sgpr_workgroup_id_y 0
		.amdhsa_system_sgpr_workgroup_id_z 0
		.amdhsa_system_sgpr_workgroup_info 0
		.amdhsa_system_vgpr_workitem_id 0
		.amdhsa_next_free_vgpr 71
		.amdhsa_next_free_sgpr 14
		.amdhsa_reserve_vcc 1
		.amdhsa_reserve_flat_scratch 0
		.amdhsa_float_round_mode_32 0
		.amdhsa_float_round_mode_16_64 0
		.amdhsa_float_denorm_mode_32 3
		.amdhsa_float_denorm_mode_16_64 3
		.amdhsa_dx10_clamp 1
		.amdhsa_ieee_mode 1
		.amdhsa_fp16_overflow 0
		.amdhsa_workgroup_processor_mode 1
		.amdhsa_memory_ordered 1
		.amdhsa_forward_progress 1
		.amdhsa_shared_vgpr_count 0
		.amdhsa_exception_fp_ieee_invalid_op 0
		.amdhsa_exception_fp_denorm_src 0
		.amdhsa_exception_fp_ieee_div_zero 0
		.amdhsa_exception_fp_ieee_overflow 0
		.amdhsa_exception_fp_ieee_underflow 0
		.amdhsa_exception_fp_ieee_inexact 0
		.amdhsa_exception_int_div_zero 0
	.end_amdhsa_kernel
	.section	.text._Z10sort_pairsILj256ELj16ELj8ExN10test_utils4lessEEvPKT2_PS2_T3_,"axG",@progbits,_Z10sort_pairsILj256ELj16ELj8ExN10test_utils4lessEEvPKT2_PS2_T3_,comdat
.Lfunc_end165:
	.size	_Z10sort_pairsILj256ELj16ELj8ExN10test_utils4lessEEvPKT2_PS2_T3_, .Lfunc_end165-_Z10sort_pairsILj256ELj16ELj8ExN10test_utils4lessEEvPKT2_PS2_T3_
                                        ; -- End function
	.set _Z10sort_pairsILj256ELj16ELj8ExN10test_utils4lessEEvPKT2_PS2_T3_.num_vgpr, 71
	.set _Z10sort_pairsILj256ELj16ELj8ExN10test_utils4lessEEvPKT2_PS2_T3_.num_agpr, 0
	.set _Z10sort_pairsILj256ELj16ELj8ExN10test_utils4lessEEvPKT2_PS2_T3_.numbered_sgpr, 14
	.set _Z10sort_pairsILj256ELj16ELj8ExN10test_utils4lessEEvPKT2_PS2_T3_.num_named_barrier, 0
	.set _Z10sort_pairsILj256ELj16ELj8ExN10test_utils4lessEEvPKT2_PS2_T3_.private_seg_size, 0
	.set _Z10sort_pairsILj256ELj16ELj8ExN10test_utils4lessEEvPKT2_PS2_T3_.uses_vcc, 1
	.set _Z10sort_pairsILj256ELj16ELj8ExN10test_utils4lessEEvPKT2_PS2_T3_.uses_flat_scratch, 0
	.set _Z10sort_pairsILj256ELj16ELj8ExN10test_utils4lessEEvPKT2_PS2_T3_.has_dyn_sized_stack, 0
	.set _Z10sort_pairsILj256ELj16ELj8ExN10test_utils4lessEEvPKT2_PS2_T3_.has_recursion, 0
	.set _Z10sort_pairsILj256ELj16ELj8ExN10test_utils4lessEEvPKT2_PS2_T3_.has_indirect_call, 0
	.section	.AMDGPU.csdata,"",@progbits
; Kernel info:
; codeLenInByte = 8780
; TotalNumSgprs: 16
; NumVgprs: 71
; ScratchSize: 0
; MemoryBound: 1
; FloatMode: 240
; IeeeMode: 1
; LDSByteSize: 16512 bytes/workgroup (compile time only)
; SGPRBlocks: 0
; VGPRBlocks: 8
; NumSGPRsForWavesPerEU: 16
; NumVGPRsForWavesPerEU: 71
; Occupancy: 12
; WaveLimiterHint : 0
; COMPUTE_PGM_RSRC2:SCRATCH_EN: 0
; COMPUTE_PGM_RSRC2:USER_SGPR: 6
; COMPUTE_PGM_RSRC2:TRAP_HANDLER: 0
; COMPUTE_PGM_RSRC2:TGID_X_EN: 1
; COMPUTE_PGM_RSRC2:TGID_Y_EN: 0
; COMPUTE_PGM_RSRC2:TGID_Z_EN: 0
; COMPUTE_PGM_RSRC2:TIDIG_COMP_CNT: 0
	.section	.text._Z19sort_keys_segmentedILj256ELj16ELj8ExN10test_utils4lessEEvPKT2_PS2_PKjT3_,"axG",@progbits,_Z19sort_keys_segmentedILj256ELj16ELj8ExN10test_utils4lessEEvPKT2_PS2_PKjT3_,comdat
	.protected	_Z19sort_keys_segmentedILj256ELj16ELj8ExN10test_utils4lessEEvPKT2_PS2_PKjT3_ ; -- Begin function _Z19sort_keys_segmentedILj256ELj16ELj8ExN10test_utils4lessEEvPKT2_PS2_PKjT3_
	.globl	_Z19sort_keys_segmentedILj256ELj16ELj8ExN10test_utils4lessEEvPKT2_PS2_PKjT3_
	.p2align	8
	.type	_Z19sort_keys_segmentedILj256ELj16ELj8ExN10test_utils4lessEEvPKT2_PS2_PKjT3_,@function
_Z19sort_keys_segmentedILj256ELj16ELj8ExN10test_utils4lessEEvPKT2_PS2_PKjT3_: ; @_Z19sort_keys_segmentedILj256ELj16ELj8ExN10test_utils4lessEEvPKT2_PS2_PKjT3_
; %bb.0:
	s_clause 0x1
	s_load_dwordx2 s[0:1], s[4:5], 0x10
	s_load_dwordx4 s[16:19], s[4:5], 0x0
	v_lshrrev_b32_e32 v24, 4, v0
	v_mov_b32_e32 v1, 0
	v_lshl_or_b32 v0, s6, 4, v24
	v_lshlrev_b64 v[2:3], 2, v[0:1]
	v_lshlrev_b32_e32 v0, 7, v0
	v_lshlrev_b64 v[0:1], 3, v[0:1]
	s_waitcnt lgkmcnt(0)
	v_add_co_u32 v2, vcc_lo, s0, v2
	v_add_co_ci_u32_e64 v3, null, s1, v3, vcc_lo
	global_load_dword v35, v[2:3], off
	v_mbcnt_lo_u32_b32 v2, -1, 0
	v_lshlrev_b32_e32 v38, 3, v2
	v_add_co_u32 v2, vcc_lo, s16, v0
	v_add_co_ci_u32_e64 v3, null, s17, v1, vcc_lo
	v_and_b32_e32 v36, 0x78, v38
	v_lshlrev_b32_e32 v34, 3, v36
	v_add_co_u32 v4, vcc_lo, v2, v34
	v_add_co_ci_u32_e64 v5, null, 0, v3, vcc_lo
                                        ; implicit-def: $vgpr2_vgpr3
	s_waitcnt vmcnt(0)
	v_cmp_lt_u32_e32 vcc_lo, v36, v35
	s_and_saveexec_b32 s0, vcc_lo
	s_cbranch_execz .LBB166_2
; %bb.1:
	global_load_dwordx2 v[2:3], v[4:5], off
.LBB166_2:
	s_or_b32 exec_lo, exec_lo, s0
	v_or_b32_e32 v10, 1, v36
                                        ; implicit-def: $vgpr6_vgpr7
	v_cmp_lt_u32_e64 s0, v10, v35
	s_and_saveexec_b32 s1, s0
	s_cbranch_execz .LBB166_4
; %bb.3:
	global_load_dwordx2 v[6:7], v[4:5], off offset:8
.LBB166_4:
	s_or_b32 exec_lo, exec_lo, s1
	v_or_b32_e32 v11, 2, v36
                                        ; implicit-def: $vgpr8_vgpr9
	v_cmp_lt_u32_e64 s1, v11, v35
	s_and_saveexec_b32 s2, s1
	s_cbranch_execz .LBB166_6
; %bb.5:
	global_load_dwordx2 v[8:9], v[4:5], off offset:16
.LBB166_6:
	s_or_b32 exec_lo, exec_lo, s2
	v_or_b32_e32 v14, 3, v36
                                        ; implicit-def: $vgpr12_vgpr13
	v_cmp_lt_u32_e64 s2, v14, v35
	s_and_saveexec_b32 s3, s2
	s_cbranch_execz .LBB166_8
; %bb.7:
	global_load_dwordx2 v[12:13], v[4:5], off offset:24
.LBB166_8:
	s_or_b32 exec_lo, exec_lo, s3
	v_or_b32_e32 v15, 4, v36
                                        ; implicit-def: $vgpr16_vgpr17
	v_cmp_lt_u32_e64 s3, v15, v35
	s_and_saveexec_b32 s4, s3
	s_cbranch_execz .LBB166_10
; %bb.9:
	global_load_dwordx2 v[16:17], v[4:5], off offset:32
.LBB166_10:
	s_or_b32 exec_lo, exec_lo, s4
	v_or_b32_e32 v25, 5, v36
                                        ; implicit-def: $vgpr18_vgpr19
	v_cmp_lt_u32_e64 s4, v25, v35
	s_and_saveexec_b32 s5, s4
	s_cbranch_execz .LBB166_12
; %bb.11:
	global_load_dwordx2 v[18:19], v[4:5], off offset:40
.LBB166_12:
	s_or_b32 exec_lo, exec_lo, s5
	v_or_b32_e32 v26, 6, v36
                                        ; implicit-def: $vgpr20_vgpr21
	v_cmp_lt_u32_e64 s5, v26, v35
	s_and_saveexec_b32 s6, s5
	s_cbranch_execz .LBB166_14
; %bb.13:
	global_load_dwordx2 v[20:21], v[4:5], off offset:48
.LBB166_14:
	s_or_b32 exec_lo, exec_lo, s6
	v_or_b32_e32 v27, 7, v36
                                        ; implicit-def: $vgpr22_vgpr23
	v_cmp_lt_u32_e64 s6, v27, v35
	s_and_saveexec_b32 s7, s6
	s_cbranch_execz .LBB166_16
; %bb.15:
	global_load_dwordx2 v[22:23], v[4:5], off offset:56
.LBB166_16:
	s_or_b32 exec_lo, exec_lo, s7
	v_cmp_lt_i32_e64 s7, v10, v35
	v_cmp_lt_i32_e64 s8, v11, v35
	;; [unrolled: 1-line block ×3, first 2 shown]
	s_mov_b32 s10, exec_lo
	s_waitcnt vmcnt(0)
	v_cndmask_b32_e64 v11, 0x7fffffff, v7, s7
	v_cndmask_b32_e64 v10, -1, v6, s7
	v_cmp_lt_i32_e64 s7, v15, v35
	v_cndmask_b32_e64 v7, 0x7fffffff, v9, s8
	v_cndmask_b32_e64 v6, -1, v8, s8
	v_cndmask_b32_e64 v15, 0x7fffffff, v13, s9
	v_cndmask_b32_e64 v14, -1, v12, s9
	v_cndmask_b32_e64 v9, 0x7fffffff, v17, s7
	v_cmp_lt_i32_e64 s8, v25, v35
	v_cndmask_b32_e64 v8, -1, v16, s7
	v_cmp_lt_i32_e64 s7, v26, v35
	v_cmp_lt_i32_e64 s9, v27, v35
	v_cndmask_b32_e64 v17, 0x7fffffff, v19, s8
	v_cndmask_b32_e64 v16, -1, v18, s8
	v_cndmask_b32_e64 v13, 0x7fffffff, v21, s7
	v_cndmask_b32_e64 v12, -1, v20, s7
	;; [unrolled: 2-line block ×3, first 2 shown]
	v_cmpx_lt_i32_e64 v36, v35
	s_cbranch_execz .LBB166_18
; %bb.17:
	v_cmp_gt_i64_e64 s7, v[10:11], v[2:3]
	v_cmp_lt_i64_e64 s8, v[10:11], v[2:3]
	v_cmp_gt_i64_e64 s9, v[14:15], v[6:7]
	v_cndmask_b32_e64 v19, v3, v11, s7
	v_cndmask_b32_e64 v18, v2, v10, s7
	v_cmp_lt_i64_e64 s7, v[14:15], v[6:7]
	v_cndmask_b32_e64 v3, v3, v11, s8
	v_cndmask_b32_e64 v2, v2, v10, s8
	v_cmp_gt_i64_e64 s8, v[16:17], v[8:9]
	v_cndmask_b32_e64 v11, v7, v15, s9
	v_cndmask_b32_e64 v10, v6, v14, s9
	;; [unrolled: 1-line block ×3, first 2 shown]
	v_cmp_lt_i64_e64 s9, v[16:17], v[8:9]
	v_cndmask_b32_e64 v6, v6, v14, s7
	v_cmp_gt_i64_e64 s7, v[4:5], v[12:13]
	v_cndmask_b32_e64 v15, v9, v17, s8
	v_cndmask_b32_e64 v14, v8, v16, s8
	v_cmp_lt_i64_e64 s8, v[4:5], v[12:13]
	v_cndmask_b32_e64 v9, v9, v17, s9
	v_cndmask_b32_e64 v8, v8, v16, s9
	;; [unrolled: 1-line block ×4, first 2 shown]
	v_cmp_gt_i64_e64 s7, v[6:7], v[18:19]
	v_cndmask_b32_e64 v5, v13, v5, s8
	v_cmp_lt_i64_e64 s9, v[6:7], v[18:19]
	v_cndmask_b32_e64 v4, v12, v4, s8
	v_cmp_gt_i64_e64 s8, v[8:9], v[10:11]
	v_cndmask_b32_e64 v13, v19, v7, s7
	v_cndmask_b32_e64 v12, v18, v6, s7
	v_cmp_lt_i64_e64 s7, v[8:9], v[10:11]
	v_cndmask_b32_e64 v20, v18, v6, s9
	v_cndmask_b32_e64 v21, v19, v7, s9
	;; [unrolled: 1-line block ×4, first 2 shown]
	v_cmp_gt_i64_e64 s8, v[4:5], v[14:15]
	v_cndmask_b32_e64 v9, v11, v9, s7
	v_cmp_lt_i64_e64 s9, v[4:5], v[14:15]
	v_cndmask_b32_e64 v8, v10, v8, s7
	v_cmp_lt_i64_e64 s7, v[6:7], v[2:3]
	v_cndmask_b32_e64 v22, v14, v4, s8
	v_cndmask_b32_e64 v23, v15, v5, s8
	v_cmp_gt_i64_e64 s8, v[8:9], v[12:13]
	v_cndmask_b32_e64 v5, v15, v5, s9
	v_cndmask_b32_e64 v4, v14, v4, s9
	;; [unrolled: 1-line block ×6, first 2 shown]
	v_cmp_lt_i64_e64 s7, v[8:9], v[12:13]
	v_cndmask_b32_e64 v11, v13, v9, s8
	v_cndmask_b32_e64 v10, v12, v8, s8
	v_cmp_gt_i64_e64 s8, v[4:5], v[18:19]
	v_cmp_lt_i64_e64 s9, v[4:5], v[18:19]
	v_cndmask_b32_e64 v9, v13, v9, s7
	v_cndmask_b32_e64 v8, v12, v8, s7
	v_cmp_gt_i64_e64 s7, v[14:15], v[16:17]
	v_cndmask_b32_e64 v13, v19, v5, s8
	v_cndmask_b32_e64 v12, v18, v4, s8
	;; [unrolled: 1-line block ×3, first 2 shown]
	v_cmp_gt_i64_e64 s8, v[8:9], v[6:7]
	v_cndmask_b32_e64 v4, v18, v4, s9
	v_cndmask_b32_e64 v15, v17, v23, s7
	;; [unrolled: 1-line block ×5, first 2 shown]
	v_cmp_lt_i64_e64 s7, v[8:9], v[6:7]
	v_cndmask_b32_e64 v19, v7, v9, s8
	v_cmp_gt_i64_e64 s9, v[4:5], v[10:11]
	v_cndmask_b32_e64 v18, v6, v8, s8
	v_cmp_lt_i64_e64 s8, v[4:5], v[10:11]
	v_cndmask_b32_e64 v7, v7, v9, s7
	v_cndmask_b32_e64 v6, v6, v8, s7
	v_cmp_gt_i64_e64 s7, v[16:17], v[12:13]
	v_cndmask_b32_e64 v9, v11, v5, s9
	v_cndmask_b32_e64 v8, v10, v4, s9
	v_cndmask_b32_e64 v5, v11, v5, s8
	v_cndmask_b32_e64 v4, v10, v4, s8
	v_cmp_lt_i64_e64 s8, v[16:17], v[12:13]
	v_cndmask_b32_e64 v11, v13, v17, s7
	v_cmp_gt_i64_e64 s9, v[6:7], v[2:3]
	v_cndmask_b32_e64 v10, v12, v16, s7
	v_cmp_lt_i64_e64 s7, v[6:7], v[2:3]
	v_cndmask_b32_e64 v13, v13, v17, s8
	v_cndmask_b32_e64 v12, v12, v16, s8
	v_cmp_gt_i64_e64 s8, v[4:5], v[18:19]
	v_cndmask_b32_e64 v17, v3, v7, s9
	v_cndmask_b32_e64 v16, v2, v6, s9
	v_cndmask_b32_e64 v7, v3, v7, s7
	v_cndmask_b32_e64 v6, v2, v6, s7
	;; [unrolled: 12-line block ×4, first 2 shown]
	v_cmp_lt_i64_e64 s7, v[8:9], v[2:3]
	v_cndmask_b32_e64 v21, v3, v9, s8
	v_cndmask_b32_e64 v20, v2, v8, s8
	v_cmp_lt_i64_e64 s8, v[10:11], v[18:19]
	v_cmp_gt_i64_e64 s9, v[10:11], v[18:19]
	v_cndmask_b32_e64 v9, v3, v9, s7
	v_cndmask_b32_e64 v8, v2, v8, s7
	v_cmp_lt_i64_e64 s7, v[4:5], v[6:7]
	v_cndmask_b32_e64 v5, v19, v11, s8
	v_cndmask_b32_e64 v4, v18, v10, s8
	v_cmp_lt_i64_e64 s8, v[16:17], v[6:7]
	v_cndmask_b32_e64 v25, v18, v10, s9
	v_cndmask_b32_e64 v26, v19, v11, s9
	;; [unrolled: 1-line block ×3, first 2 shown]
	v_cmp_gt_i64_e64 s9, v[16:17], v[6:7]
	v_cndmask_b32_e64 v11, v17, v7, s7
	v_cmp_gt_i64_e64 s7, v[8:9], v[14:15]
	v_cndmask_b32_e64 v3, v7, v17, s8
	v_cndmask_b32_e64 v2, v6, v16, s8
	v_cmp_lt_i64_e64 s8, v[8:9], v[14:15]
	v_cndmask_b32_e64 v7, v7, v17, s9
	v_cndmask_b32_e64 v6, v6, v16, s9
	;; [unrolled: 1-line block ×4, first 2 shown]
	v_cmp_gt_i64_e64 s7, v[4:5], v[20:21]
	v_cndmask_b32_e64 v9, v15, v9, s8
	v_cmp_lt_i64_e64 s9, v[4:5], v[20:21]
	v_cndmask_b32_e64 v8, v14, v8, s8
	v_cmp_gt_i64_e64 s8, v[18:19], v[12:13]
	v_cndmask_b32_e64 v23, v21, v5, s7
	v_cndmask_b32_e64 v22, v20, v4, s7
	v_cmp_gt_i64_e64 s7, v[8:9], v[6:7]
	v_cndmask_b32_e64 v15, v21, v5, s9
	v_cndmask_b32_e64 v14, v20, v4, s9
	v_cmp_lt_i64_e64 s9, v[8:9], v[6:7]
	v_cndmask_b32_e64 v19, v26, v13, s8
	v_cndmask_b32_e64 v18, v25, v12, s8
	;; [unrolled: 1-line block ×4, first 2 shown]
	v_cmp_gt_i64_e64 s7, v[14:15], v[16:17]
	v_cndmask_b32_e64 v5, v13, v26, s8
	v_cndmask_b32_e64 v4, v12, v25, s8
	;; [unrolled: 1-line block ×4, first 2 shown]
	v_cmp_lt_i64_e64 s8, v[14:15], v[16:17]
	v_cndmask_b32_e64 v9, v17, v15, s7
	v_cmp_gt_i64_e64 s9, v[18:19], v[22:23]
	v_cndmask_b32_e64 v8, v16, v14, s7
	v_cmp_lt_i64_e64 s7, v[18:19], v[22:23]
	v_cndmask_b32_e64 v15, v17, v15, s8
	v_cndmask_b32_e64 v14, v16, v14, s8
	v_cndmask_b32_e64 v13, v23, v19, s9
	v_cndmask_b32_e64 v12, v22, v18, s9
	v_cndmask_b32_e64 v17, v23, v19, s7
	v_cndmask_b32_e64 v16, v22, v18, s7
.LBB166_18:
	s_or_b32 exec_lo, exec_lo, s10
	v_and_b32_e32 v18, 0x70, v38
	v_and_b32_e32 v20, 8, v38
	v_mad_u32_u24 v39, 0x408, v24, v34
	v_mul_u32_u24_e32 v37, 0x408, v24
	v_min_i32_e32 v18, v35, v18
	; wave barrier
	ds_write2_b64 v39, v[2:3], v[10:11] offset1:1
	ds_write2_b64 v39, v[6:7], v[14:15] offset0:2 offset1:3
	ds_write2_b64 v39, v[8:9], v[16:17] offset0:4 offset1:5
	s_mov_b32 s9, 0
	s_mov_b32 s8, exec_lo
	v_add_nc_u32_e32 v19, 8, v18
	v_lshlrev_b32_e32 v23, 3, v18
	ds_write2_b64 v39, v[12:13], v[4:5] offset0:6 offset1:7
	; wave barrier
	v_min_i32_e32 v43, v35, v19
	v_mad_u32_u24 v2, 0x408, v24, v23
	v_add_nc_u32_e32 v19, 8, v43
	v_sub_nc_u32_e32 v22, v43, v18
	v_min_i32_e32 v42, v35, v19
	v_min_i32_e32 v19, v35, v20
	v_sub_nc_u32_e32 v20, v42, v43
	v_sub_nc_u32_e32 v21, v19, v20
	v_cmp_ge_i32_e64 s7, v19, v20
	v_cndmask_b32_e64 v20, 0, v21, s7
	v_min_i32_e32 v21, v19, v22
	v_cmpx_lt_i32_e64 v20, v21
	s_cbranch_execz .LBB166_22
; %bb.19:
	v_lshlrev_b32_e32 v3, 3, v43
	v_lshlrev_b32_e32 v4, 3, v19
	v_add3_u32 v3, v37, v3, v4
	.p2align	6
.LBB166_20:                             ; =>This Inner Loop Header: Depth=1
	v_sub_nc_u32_e32 v4, v21, v20
	v_lshrrev_b32_e32 v4, 1, v4
	v_add_nc_u32_e32 v8, v4, v20
	v_not_b32_e32 v4, v8
	v_lshl_add_u32 v5, v8, 3, v2
	v_lshl_add_u32 v6, v4, 3, v3
	ds_read_b64 v[4:5], v5
	ds_read_b64 v[6:7], v6
	s_waitcnt lgkmcnt(0)
	v_cmp_lt_i64_e64 s7, v[6:7], v[4:5]
	v_add_nc_u32_e32 v4, 1, v8
	v_cndmask_b32_e64 v21, v21, v8, s7
	v_cndmask_b32_e64 v20, v4, v20, s7
	v_cmp_ge_i32_e64 s7, v20, v21
	s_or_b32 s9, s7, s9
	s_andn2_b32 exec_lo, exec_lo, s9
	s_cbranch_execnz .LBB166_20
; %bb.21:
	s_or_b32 exec_lo, exec_lo, s9
.LBB166_22:
	s_or_b32 exec_lo, exec_lo, s8
	v_add_nc_u32_e32 v3, v43, v19
	v_lshl_add_u32 v8, v20, 3, v2
	v_add_nc_u32_e32 v11, v20, v18
                                        ; implicit-def: $vgpr6_vgpr7
	v_sub_nc_u32_e32 v10, v3, v20
	v_cmp_le_i32_e64 s8, v43, v11
	v_lshl_add_u32 v12, v10, 3, v37
	v_cmp_gt_i32_e64 s9, v42, v10
	ds_read_b64 v[2:3], v8
	ds_read_b64 v[4:5], v12
	s_waitcnt lgkmcnt(0)
	v_cmp_lt_i64_e64 s7, v[4:5], v[2:3]
	s_or_b32 s7, s8, s7
	s_and_b32 s7, s9, s7
	s_xor_b32 s8, s7, -1
	s_and_saveexec_b32 s9, s8
	s_xor_b32 s8, exec_lo, s9
; %bb.23:
	ds_read_b64 v[6:7], v8 offset:8
                                        ; implicit-def: $vgpr12
; %bb.24:
	s_or_saveexec_b32 s8, s8
	v_mov_b32_e32 v9, v5
	v_mov_b32_e32 v8, v4
	s_xor_b32 exec_lo, exec_lo, s8
	s_cbranch_execz .LBB166_26
; %bb.25:
	ds_read_b64 v[8:9], v12 offset:8
	s_waitcnt lgkmcnt(1)
	v_mov_b32_e32 v7, v3
	v_mov_b32_e32 v6, v2
.LBB166_26:
	s_or_b32 exec_lo, exec_lo, s8
	v_add_nc_u32_e32 v12, 1, v11
	v_add_nc_u32_e32 v13, 1, v10
	s_waitcnt lgkmcnt(0)
	v_cmp_lt_i64_e64 s8, v[8:9], v[6:7]
	v_cndmask_b32_e64 v15, v12, v11, s7
	v_cndmask_b32_e64 v14, v10, v13, s7
                                        ; implicit-def: $vgpr10_vgpr11
	v_cmp_ge_i32_e64 s9, v15, v43
	v_cmp_lt_i32_e64 s10, v14, v42
	s_or_b32 s8, s9, s8
	s_and_b32 s8, s10, s8
	s_xor_b32 s9, s8, -1
	s_and_saveexec_b32 s10, s9
	s_xor_b32 s9, exec_lo, s10
; %bb.27:
	v_lshl_add_u32 v10, v15, 3, v37
	ds_read_b64 v[10:11], v10 offset:8
; %bb.28:
	s_or_saveexec_b32 s9, s9
	v_mov_b32_e32 v13, v9
	v_mov_b32_e32 v12, v8
	s_xor_b32 exec_lo, exec_lo, s9
	s_cbranch_execz .LBB166_30
; %bb.29:
	s_waitcnt lgkmcnt(0)
	v_lshl_add_u32 v10, v14, 3, v37
	ds_read_b64 v[12:13], v10 offset:8
	v_mov_b32_e32 v11, v7
	v_mov_b32_e32 v10, v6
.LBB166_30:
	s_or_b32 exec_lo, exec_lo, s9
	v_add_nc_u32_e32 v16, 1, v15
	v_add_nc_u32_e32 v17, 1, v14
	s_waitcnt lgkmcnt(0)
	v_cmp_lt_i64_e64 s9, v[12:13], v[10:11]
	v_cndmask_b32_e64 v19, v16, v15, s8
	v_cndmask_b32_e64 v18, v14, v17, s8
                                        ; implicit-def: $vgpr14_vgpr15
	v_cmp_ge_i32_e64 s10, v19, v43
	v_cmp_lt_i32_e64 s11, v18, v42
	s_or_b32 s9, s10, s9
	s_and_b32 s9, s11, s9
	s_xor_b32 s10, s9, -1
	s_and_saveexec_b32 s11, s10
	s_xor_b32 s10, exec_lo, s11
; %bb.31:
	v_lshl_add_u32 v14, v19, 3, v37
	ds_read_b64 v[14:15], v14 offset:8
; %bb.32:
	s_or_saveexec_b32 s10, s10
	v_mov_b32_e32 v17, v13
	v_mov_b32_e32 v16, v12
	s_xor_b32 exec_lo, exec_lo, s10
	s_cbranch_execz .LBB166_34
; %bb.33:
	s_waitcnt lgkmcnt(0)
	v_lshl_add_u32 v14, v18, 3, v37
	ds_read_b64 v[16:17], v14 offset:8
	v_mov_b32_e32 v15, v11
	v_mov_b32_e32 v14, v10
.LBB166_34:
	s_or_b32 exec_lo, exec_lo, s10
	v_add_nc_u32_e32 v20, 1, v19
	v_add_nc_u32_e32 v21, 1, v18
	s_waitcnt lgkmcnt(0)
	v_cmp_lt_i64_e64 s10, v[16:17], v[14:15]
	v_cndmask_b32_e64 v23, v20, v19, s9
	v_cndmask_b32_e64 v22, v18, v21, s9
                                        ; implicit-def: $vgpr18_vgpr19
	v_cmp_ge_i32_e64 s11, v23, v43
	v_cmp_lt_i32_e64 s12, v22, v42
	s_or_b32 s10, s11, s10
	s_and_b32 s10, s12, s10
	s_xor_b32 s11, s10, -1
	s_and_saveexec_b32 s12, s11
	s_xor_b32 s11, exec_lo, s12
; %bb.35:
	v_lshl_add_u32 v18, v23, 3, v37
	ds_read_b64 v[18:19], v18 offset:8
; %bb.36:
	s_or_saveexec_b32 s11, s11
	v_mov_b32_e32 v21, v17
	v_mov_b32_e32 v20, v16
	s_xor_b32 exec_lo, exec_lo, s11
	s_cbranch_execz .LBB166_38
; %bb.37:
	s_waitcnt lgkmcnt(0)
	v_lshl_add_u32 v18, v22, 3, v37
	ds_read_b64 v[20:21], v18 offset:8
	v_mov_b32_e32 v19, v15
	v_mov_b32_e32 v18, v14
.LBB166_38:
	s_or_b32 exec_lo, exec_lo, s11
	v_add_nc_u32_e32 v24, 1, v23
	v_add_nc_u32_e32 v25, 1, v22
	s_waitcnt lgkmcnt(0)
	v_cmp_lt_i64_e64 s11, v[20:21], v[18:19]
	v_cndmask_b32_e64 v27, v24, v23, s10
	v_cndmask_b32_e64 v26, v22, v25, s10
                                        ; implicit-def: $vgpr22_vgpr23
	v_cmp_ge_i32_e64 s12, v27, v43
	v_cmp_lt_i32_e64 s13, v26, v42
	s_or_b32 s11, s12, s11
	s_and_b32 s11, s13, s11
	s_xor_b32 s12, s11, -1
	s_and_saveexec_b32 s13, s12
	s_xor_b32 s12, exec_lo, s13
; %bb.39:
	v_lshl_add_u32 v22, v27, 3, v37
	ds_read_b64 v[22:23], v22 offset:8
; %bb.40:
	s_or_saveexec_b32 s12, s12
	v_mov_b32_e32 v25, v21
	v_mov_b32_e32 v24, v20
	s_xor_b32 exec_lo, exec_lo, s12
	s_cbranch_execz .LBB166_42
; %bb.41:
	s_waitcnt lgkmcnt(0)
	v_lshl_add_u32 v22, v26, 3, v37
	ds_read_b64 v[24:25], v22 offset:8
	v_mov_b32_e32 v23, v19
	v_mov_b32_e32 v22, v18
.LBB166_42:
	s_or_b32 exec_lo, exec_lo, s12
	v_add_nc_u32_e32 v28, 1, v27
	v_add_nc_u32_e32 v30, 1, v26
	s_waitcnt lgkmcnt(0)
	v_cmp_lt_i64_e64 s12, v[24:25], v[22:23]
	v_cndmask_b32_e64 v29, v28, v27, s11
	v_cndmask_b32_e64 v28, v26, v30, s11
                                        ; implicit-def: $vgpr26_vgpr27
	v_cmp_ge_i32_e64 s13, v29, v43
	v_cmp_lt_i32_e64 s14, v28, v42
	s_or_b32 s12, s13, s12
	s_and_b32 s12, s14, s12
	s_xor_b32 s13, s12, -1
	s_and_saveexec_b32 s14, s13
	s_xor_b32 s13, exec_lo, s14
; %bb.43:
	v_lshl_add_u32 v26, v29, 3, v37
	ds_read_b64 v[26:27], v26 offset:8
; %bb.44:
	s_or_saveexec_b32 s13, s13
	v_mov_b32_e32 v31, v25
	v_mov_b32_e32 v30, v24
	s_xor_b32 exec_lo, exec_lo, s13
	s_cbranch_execz .LBB166_46
; %bb.45:
	s_waitcnt lgkmcnt(0)
	v_lshl_add_u32 v26, v28, 3, v37
	ds_read_b64 v[30:31], v26 offset:8
	v_mov_b32_e32 v27, v23
	v_mov_b32_e32 v26, v22
.LBB166_46:
	s_or_b32 exec_lo, exec_lo, s13
	v_add_nc_u32_e32 v32, 1, v29
	v_add_nc_u32_e32 v33, 1, v28
	s_waitcnt lgkmcnt(0)
	v_cmp_lt_i64_e64 s13, v[30:31], v[26:27]
	v_cndmask_b32_e64 v41, v32, v29, s12
	v_cndmask_b32_e64 v44, v28, v33, s12
                                        ; implicit-def: $vgpr28_vgpr29
	v_cmp_ge_i32_e64 s14, v41, v43
	v_cmp_lt_i32_e64 s15, v44, v42
	s_or_b32 s13, s14, s13
	s_and_b32 s13, s15, s13
	s_xor_b32 s14, s13, -1
	s_and_saveexec_b32 s15, s14
	s_xor_b32 s14, exec_lo, s15
; %bb.47:
	v_lshl_add_u32 v28, v41, 3, v37
	ds_read_b64 v[28:29], v28 offset:8
; %bb.48:
	s_or_saveexec_b32 s14, s14
	v_mov_b32_e32 v33, v31
	v_mov_b32_e32 v32, v30
	s_xor_b32 exec_lo, exec_lo, s14
	s_cbranch_execz .LBB166_50
; %bb.49:
	s_waitcnt lgkmcnt(0)
	v_lshl_add_u32 v28, v44, 3, v37
	ds_read_b64 v[32:33], v28 offset:8
	v_mov_b32_e32 v29, v27
	v_mov_b32_e32 v28, v26
.LBB166_50:
	s_or_b32 exec_lo, exec_lo, s14
	v_and_b32_e32 v40, 0x60, v38
	v_cndmask_b32_e64 v30, v26, v30, s13
	v_cndmask_b32_e64 v19, v19, v21, s11
	v_add_nc_u32_e32 v45, 1, v41
	v_cndmask_b32_e64 v31, v27, v31, s13
	v_min_i32_e32 v26, v35, v40
	v_add_nc_u32_e32 v27, 1, v44
	v_cndmask_b32_e64 v11, v11, v13, s9
	v_cndmask_b32_e64 v13, v3, v5, s7
	;; [unrolled: 1-line block ×3, first 2 shown]
	v_add_nc_u32_e32 v21, 16, v26
	v_cndmask_b32_e64 v12, v2, v4, s7
	v_cndmask_b32_e64 v2, v45, v41, s13
	s_waitcnt lgkmcnt(0)
	v_cmp_lt_i64_e64 s7, v[32:33], v[28:29]
	v_and_b32_e32 v4, 24, v38
	v_min_i32_e32 v40, v35, v21
	v_cndmask_b32_e64 v9, v7, v9, s8
	v_cndmask_b32_e64 v8, v6, v8, s8
	v_cmp_ge_i32_e64 s8, v2, v43
	v_min_i32_e32 v2, v35, v4
	v_add_nc_u32_e32 v3, 16, v40
	v_cndmask_b32_e64 v15, v15, v17, s10
	v_cndmask_b32_e64 v14, v14, v16, s10
	s_or_b32 s7, s8, s7
	v_cndmask_b32_e64 v23, v23, v25, s12
	v_min_i32_e32 v41, v35, v3
	v_cndmask_b32_e64 v3, v44, v27, s13
	v_cndmask_b32_e64 v22, v22, v24, s12
	;; [unrolled: 1-line block ×3, first 2 shown]
	s_mov_b32 s8, exec_lo
	v_sub_nc_u32_e32 v4, v41, v40
	v_cmp_lt_i32_e64 s9, v3, v42
	v_sub_nc_u32_e32 v3, v40, v26
	; wave barrier
	v_sub_nc_u32_e32 v5, v2, v4
	s_and_b32 s7, s9, s7
	s_mov_b32 s9, 0
	v_cndmask_b32_e64 v17, v29, v33, s7
	v_cndmask_b32_e64 v16, v28, v32, s7
	v_cmp_ge_i32_e64 s7, v2, v4
	v_min_i32_e32 v4, v2, v3
	v_lshl_add_u32 v3, v26, 3, v37
	ds_write2_b64 v39, v[12:13], v[8:9] offset1:1
	ds_write2_b64 v39, v[10:11], v[14:15] offset0:2 offset1:3
	ds_write2_b64 v39, v[18:19], v[22:23] offset0:4 offset1:5
	ds_write2_b64 v39, v[30:31], v[16:17] offset0:6 offset1:7
	v_cndmask_b32_e64 v6, 0, v5, s7
	; wave barrier
	v_cmpx_lt_i32_e64 v6, v4
	s_cbranch_execz .LBB166_54
; %bb.51:
	v_lshlrev_b32_e32 v5, 3, v40
	v_lshlrev_b32_e32 v7, 3, v2
	v_add3_u32 v5, v37, v5, v7
	.p2align	6
.LBB166_52:                             ; =>This Inner Loop Header: Depth=1
	v_sub_nc_u32_e32 v7, v4, v6
	v_lshrrev_b32_e32 v7, 1, v7
	v_add_nc_u32_e32 v11, v7, v6
	v_not_b32_e32 v7, v11
	v_lshl_add_u32 v8, v11, 3, v3
	v_lshl_add_u32 v9, v7, 3, v5
	ds_read_b64 v[7:8], v8
	ds_read_b64 v[9:10], v9
	s_waitcnt lgkmcnt(0)
	v_cmp_lt_i64_e64 s7, v[9:10], v[7:8]
	v_add_nc_u32_e32 v7, 1, v11
	v_cndmask_b32_e64 v4, v4, v11, s7
	v_cndmask_b32_e64 v6, v7, v6, s7
	v_cmp_ge_i32_e64 s7, v6, v4
	s_or_b32 s9, s7, s9
	s_andn2_b32 exec_lo, exec_lo, s9
	s_cbranch_execnz .LBB166_52
; %bb.53:
	s_or_b32 exec_lo, exec_lo, s9
.LBB166_54:
	s_or_b32 exec_lo, exec_lo, s8
	v_add_nc_u32_e32 v2, v40, v2
	v_lshl_add_u32 v8, v6, 3, v3
	v_add_nc_u32_e32 v11, v6, v26
	v_sub_nc_u32_e32 v10, v2, v6
                                        ; implicit-def: $vgpr6_vgpr7
	v_cmp_le_i32_e64 s8, v40, v11
	v_lshl_add_u32 v12, v10, 3, v37
	v_cmp_gt_i32_e64 s9, v41, v10
	ds_read_b64 v[2:3], v8
	ds_read_b64 v[4:5], v12
	s_waitcnt lgkmcnt(0)
	v_cmp_lt_i64_e64 s7, v[4:5], v[2:3]
	s_or_b32 s7, s8, s7
	s_and_b32 s7, s9, s7
	s_xor_b32 s8, s7, -1
	s_and_saveexec_b32 s9, s8
	s_xor_b32 s8, exec_lo, s9
; %bb.55:
	ds_read_b64 v[6:7], v8 offset:8
                                        ; implicit-def: $vgpr12
; %bb.56:
	s_or_saveexec_b32 s8, s8
	v_mov_b32_e32 v9, v5
	v_mov_b32_e32 v8, v4
	s_xor_b32 exec_lo, exec_lo, s8
	s_cbranch_execz .LBB166_58
; %bb.57:
	ds_read_b64 v[8:9], v12 offset:8
	s_waitcnt lgkmcnt(1)
	v_mov_b32_e32 v7, v3
	v_mov_b32_e32 v6, v2
.LBB166_58:
	s_or_b32 exec_lo, exec_lo, s8
	v_add_nc_u32_e32 v12, 1, v11
	v_add_nc_u32_e32 v13, 1, v10
	s_waitcnt lgkmcnt(0)
	v_cmp_lt_i64_e64 s8, v[8:9], v[6:7]
	v_cndmask_b32_e64 v15, v12, v11, s7
	v_cndmask_b32_e64 v14, v10, v13, s7
                                        ; implicit-def: $vgpr10_vgpr11
	v_cmp_ge_i32_e64 s9, v15, v40
	v_cmp_lt_i32_e64 s10, v14, v41
	s_or_b32 s8, s9, s8
	s_and_b32 s8, s10, s8
	s_xor_b32 s9, s8, -1
	s_and_saveexec_b32 s10, s9
	s_xor_b32 s9, exec_lo, s10
; %bb.59:
	v_lshl_add_u32 v10, v15, 3, v37
	ds_read_b64 v[10:11], v10 offset:8
; %bb.60:
	s_or_saveexec_b32 s9, s9
	v_mov_b32_e32 v13, v9
	v_mov_b32_e32 v12, v8
	s_xor_b32 exec_lo, exec_lo, s9
	s_cbranch_execz .LBB166_62
; %bb.61:
	s_waitcnt lgkmcnt(0)
	v_lshl_add_u32 v10, v14, 3, v37
	ds_read_b64 v[12:13], v10 offset:8
	v_mov_b32_e32 v11, v7
	v_mov_b32_e32 v10, v6
.LBB166_62:
	s_or_b32 exec_lo, exec_lo, s9
	v_add_nc_u32_e32 v16, 1, v15
	v_add_nc_u32_e32 v17, 1, v14
	s_waitcnt lgkmcnt(0)
	v_cmp_lt_i64_e64 s9, v[12:13], v[10:11]
	v_cndmask_b32_e64 v19, v16, v15, s8
	v_cndmask_b32_e64 v18, v14, v17, s8
                                        ; implicit-def: $vgpr14_vgpr15
	v_cmp_ge_i32_e64 s10, v19, v40
	v_cmp_lt_i32_e64 s11, v18, v41
	s_or_b32 s9, s10, s9
	s_and_b32 s9, s11, s9
	s_xor_b32 s10, s9, -1
	s_and_saveexec_b32 s11, s10
	s_xor_b32 s10, exec_lo, s11
; %bb.63:
	v_lshl_add_u32 v14, v19, 3, v37
	ds_read_b64 v[14:15], v14 offset:8
; %bb.64:
	s_or_saveexec_b32 s10, s10
	v_mov_b32_e32 v17, v13
	v_mov_b32_e32 v16, v12
	s_xor_b32 exec_lo, exec_lo, s10
	s_cbranch_execz .LBB166_66
; %bb.65:
	s_waitcnt lgkmcnt(0)
	v_lshl_add_u32 v14, v18, 3, v37
	ds_read_b64 v[16:17], v14 offset:8
	v_mov_b32_e32 v15, v11
	v_mov_b32_e32 v14, v10
.LBB166_66:
	s_or_b32 exec_lo, exec_lo, s10
	v_add_nc_u32_e32 v20, 1, v19
	v_add_nc_u32_e32 v21, 1, v18
	s_waitcnt lgkmcnt(0)
	v_cmp_lt_i64_e64 s10, v[16:17], v[14:15]
	v_cndmask_b32_e64 v23, v20, v19, s9
	v_cndmask_b32_e64 v22, v18, v21, s9
                                        ; implicit-def: $vgpr18_vgpr19
	v_cmp_ge_i32_e64 s11, v23, v40
	v_cmp_lt_i32_e64 s12, v22, v41
	s_or_b32 s10, s11, s10
	s_and_b32 s10, s12, s10
	s_xor_b32 s11, s10, -1
	s_and_saveexec_b32 s12, s11
	s_xor_b32 s11, exec_lo, s12
; %bb.67:
	v_lshl_add_u32 v18, v23, 3, v37
	ds_read_b64 v[18:19], v18 offset:8
; %bb.68:
	s_or_saveexec_b32 s11, s11
	v_mov_b32_e32 v21, v17
	v_mov_b32_e32 v20, v16
	s_xor_b32 exec_lo, exec_lo, s11
	s_cbranch_execz .LBB166_70
; %bb.69:
	s_waitcnt lgkmcnt(0)
	v_lshl_add_u32 v18, v22, 3, v37
	ds_read_b64 v[20:21], v18 offset:8
	v_mov_b32_e32 v19, v15
	v_mov_b32_e32 v18, v14
.LBB166_70:
	s_or_b32 exec_lo, exec_lo, s11
	v_add_nc_u32_e32 v24, 1, v23
	v_add_nc_u32_e32 v25, 1, v22
	s_waitcnt lgkmcnt(0)
	v_cmp_lt_i64_e64 s11, v[20:21], v[18:19]
	v_cndmask_b32_e64 v27, v24, v23, s10
	v_cndmask_b32_e64 v26, v22, v25, s10
                                        ; implicit-def: $vgpr22_vgpr23
	v_cmp_ge_i32_e64 s12, v27, v40
	v_cmp_lt_i32_e64 s13, v26, v41
	s_or_b32 s11, s12, s11
	s_and_b32 s11, s13, s11
	s_xor_b32 s12, s11, -1
	s_and_saveexec_b32 s13, s12
	s_xor_b32 s12, exec_lo, s13
; %bb.71:
	v_lshl_add_u32 v22, v27, 3, v37
	ds_read_b64 v[22:23], v22 offset:8
; %bb.72:
	s_or_saveexec_b32 s12, s12
	v_mov_b32_e32 v25, v21
	v_mov_b32_e32 v24, v20
	s_xor_b32 exec_lo, exec_lo, s12
	s_cbranch_execz .LBB166_74
; %bb.73:
	s_waitcnt lgkmcnt(0)
	v_lshl_add_u32 v22, v26, 3, v37
	ds_read_b64 v[24:25], v22 offset:8
	v_mov_b32_e32 v23, v19
	v_mov_b32_e32 v22, v18
.LBB166_74:
	s_or_b32 exec_lo, exec_lo, s12
	v_add_nc_u32_e32 v28, 1, v27
	v_add_nc_u32_e32 v30, 1, v26
	s_waitcnt lgkmcnt(0)
	v_cmp_lt_i64_e64 s12, v[24:25], v[22:23]
	v_cndmask_b32_e64 v29, v28, v27, s11
	v_cndmask_b32_e64 v28, v26, v30, s11
                                        ; implicit-def: $vgpr26_vgpr27
	v_cmp_ge_i32_e64 s13, v29, v40
	v_cmp_lt_i32_e64 s14, v28, v41
	s_or_b32 s12, s13, s12
	s_and_b32 s12, s14, s12
	s_xor_b32 s13, s12, -1
	s_and_saveexec_b32 s14, s13
	s_xor_b32 s13, exec_lo, s14
; %bb.75:
	v_lshl_add_u32 v26, v29, 3, v37
	ds_read_b64 v[26:27], v26 offset:8
; %bb.76:
	s_or_saveexec_b32 s13, s13
	v_mov_b32_e32 v31, v25
	v_mov_b32_e32 v30, v24
	s_xor_b32 exec_lo, exec_lo, s13
	s_cbranch_execz .LBB166_78
; %bb.77:
	s_waitcnt lgkmcnt(0)
	v_lshl_add_u32 v26, v28, 3, v37
	ds_read_b64 v[30:31], v26 offset:8
	v_mov_b32_e32 v27, v23
	v_mov_b32_e32 v26, v22
.LBB166_78:
	s_or_b32 exec_lo, exec_lo, s13
	v_add_nc_u32_e32 v32, 1, v29
	v_add_nc_u32_e32 v33, 1, v28
	s_waitcnt lgkmcnt(0)
	v_cmp_lt_i64_e64 s13, v[30:31], v[26:27]
	v_cndmask_b32_e64 v43, v32, v29, s12
	v_cndmask_b32_e64 v44, v28, v33, s12
                                        ; implicit-def: $vgpr28_vgpr29
	v_cmp_ge_i32_e64 s14, v43, v40
	v_cmp_lt_i32_e64 s15, v44, v41
	s_or_b32 s13, s14, s13
	s_and_b32 s13, s15, s13
	s_xor_b32 s14, s13, -1
	s_and_saveexec_b32 s15, s14
	s_xor_b32 s14, exec_lo, s15
; %bb.79:
	v_lshl_add_u32 v28, v43, 3, v37
	ds_read_b64 v[28:29], v28 offset:8
; %bb.80:
	s_or_saveexec_b32 s14, s14
	v_mov_b32_e32 v33, v31
	v_mov_b32_e32 v32, v30
	s_xor_b32 exec_lo, exec_lo, s14
	s_cbranch_execz .LBB166_82
; %bb.81:
	s_waitcnt lgkmcnt(0)
	v_lshl_add_u32 v28, v44, 3, v37
	ds_read_b64 v[32:33], v28 offset:8
	v_mov_b32_e32 v29, v27
	v_mov_b32_e32 v28, v26
.LBB166_82:
	s_or_b32 exec_lo, exec_lo, s14
	v_and_b32_e32 v42, 64, v38
	v_cndmask_b32_e64 v30, v26, v30, s13
	v_cndmask_b32_e64 v19, v19, v21, s11
	v_add_nc_u32_e32 v45, 1, v43
	v_cndmask_b32_e64 v31, v27, v31, s13
	v_min_i32_e32 v26, v35, v42
	v_add_nc_u32_e32 v27, 1, v44
	v_cndmask_b32_e64 v11, v11, v13, s9
	v_cndmask_b32_e64 v13, v3, v5, s7
	v_cndmask_b32_e64 v10, v10, v12, s9
	v_add_nc_u32_e32 v21, 32, v26
	v_cndmask_b32_e64 v12, v2, v4, s7
	v_cndmask_b32_e64 v2, v45, v43, s13
	s_waitcnt lgkmcnt(0)
	v_cmp_lt_i64_e64 s7, v[32:33], v[28:29]
	v_and_b32_e32 v4, 56, v38
	v_min_i32_e32 v42, v35, v21
	v_cndmask_b32_e64 v9, v7, v9, s8
	v_cndmask_b32_e64 v8, v6, v8, s8
	v_cmp_ge_i32_e64 s8, v2, v40
	v_min_i32_e32 v2, v35, v4
	v_add_nc_u32_e32 v3, 32, v42
	v_cndmask_b32_e64 v15, v15, v17, s10
	v_cndmask_b32_e64 v14, v14, v16, s10
	s_or_b32 s7, s8, s7
	v_cndmask_b32_e64 v23, v23, v25, s12
	v_min_i32_e32 v43, v35, v3
	v_cndmask_b32_e64 v3, v44, v27, s13
	v_cndmask_b32_e64 v22, v22, v24, s12
	v_cndmask_b32_e64 v18, v18, v20, s11
	s_mov_b32 s8, exec_lo
	v_sub_nc_u32_e32 v4, v43, v42
	v_cmp_lt_i32_e64 s9, v3, v41
	v_sub_nc_u32_e32 v3, v42, v26
	; wave barrier
	v_sub_nc_u32_e32 v5, v2, v4
	s_and_b32 s7, s9, s7
	s_mov_b32 s9, 0
	v_cndmask_b32_e64 v17, v29, v33, s7
	v_cndmask_b32_e64 v16, v28, v32, s7
	v_cmp_ge_i32_e64 s7, v2, v4
	v_min_i32_e32 v4, v2, v3
	v_lshl_add_u32 v3, v26, 3, v37
	ds_write2_b64 v39, v[12:13], v[8:9] offset1:1
	ds_write2_b64 v39, v[10:11], v[14:15] offset0:2 offset1:3
	ds_write2_b64 v39, v[18:19], v[22:23] offset0:4 offset1:5
	ds_write2_b64 v39, v[30:31], v[16:17] offset0:6 offset1:7
	v_cndmask_b32_e64 v6, 0, v5, s7
	; wave barrier
	v_cmpx_lt_i32_e64 v6, v4
	s_cbranch_execz .LBB166_86
; %bb.83:
	v_lshlrev_b32_e32 v5, 3, v42
	v_lshlrev_b32_e32 v7, 3, v2
	v_add3_u32 v5, v37, v5, v7
	.p2align	6
.LBB166_84:                             ; =>This Inner Loop Header: Depth=1
	v_sub_nc_u32_e32 v7, v4, v6
	v_lshrrev_b32_e32 v7, 1, v7
	v_add_nc_u32_e32 v11, v7, v6
	v_not_b32_e32 v7, v11
	v_lshl_add_u32 v8, v11, 3, v3
	v_lshl_add_u32 v9, v7, 3, v5
	ds_read_b64 v[7:8], v8
	ds_read_b64 v[9:10], v9
	s_waitcnt lgkmcnt(0)
	v_cmp_lt_i64_e64 s7, v[9:10], v[7:8]
	v_add_nc_u32_e32 v7, 1, v11
	v_cndmask_b32_e64 v4, v4, v11, s7
	v_cndmask_b32_e64 v6, v7, v6, s7
	v_cmp_ge_i32_e64 s7, v6, v4
	s_or_b32 s9, s7, s9
	s_andn2_b32 exec_lo, exec_lo, s9
	s_cbranch_execnz .LBB166_84
; %bb.85:
	s_or_b32 exec_lo, exec_lo, s9
.LBB166_86:
	s_or_b32 exec_lo, exec_lo, s8
	v_add_nc_u32_e32 v2, v42, v2
	v_lshl_add_u32 v8, v6, 3, v3
	v_add_nc_u32_e32 v11, v6, v26
	v_sub_nc_u32_e32 v10, v2, v6
                                        ; implicit-def: $vgpr6_vgpr7
	v_cmp_le_i32_e64 s8, v42, v11
	v_lshl_add_u32 v12, v10, 3, v37
	v_cmp_gt_i32_e64 s9, v43, v10
	ds_read_b64 v[2:3], v8
	ds_read_b64 v[4:5], v12
	s_waitcnt lgkmcnt(0)
	v_cmp_lt_i64_e64 s7, v[4:5], v[2:3]
	s_or_b32 s7, s8, s7
	s_and_b32 s7, s9, s7
	s_xor_b32 s8, s7, -1
	s_and_saveexec_b32 s9, s8
	s_xor_b32 s8, exec_lo, s9
; %bb.87:
	ds_read_b64 v[6:7], v8 offset:8
                                        ; implicit-def: $vgpr12
; %bb.88:
	s_or_saveexec_b32 s8, s8
	v_mov_b32_e32 v9, v5
	v_mov_b32_e32 v8, v4
	s_xor_b32 exec_lo, exec_lo, s8
	s_cbranch_execz .LBB166_90
; %bb.89:
	ds_read_b64 v[8:9], v12 offset:8
	s_waitcnt lgkmcnt(1)
	v_mov_b32_e32 v7, v3
	v_mov_b32_e32 v6, v2
.LBB166_90:
	s_or_b32 exec_lo, exec_lo, s8
	v_add_nc_u32_e32 v12, 1, v11
	v_add_nc_u32_e32 v13, 1, v10
	s_waitcnt lgkmcnt(0)
	v_cmp_lt_i64_e64 s8, v[8:9], v[6:7]
	v_cndmask_b32_e64 v15, v12, v11, s7
	v_cndmask_b32_e64 v14, v10, v13, s7
                                        ; implicit-def: $vgpr10_vgpr11
	v_cmp_ge_i32_e64 s9, v15, v42
	v_cmp_lt_i32_e64 s10, v14, v43
	s_or_b32 s8, s9, s8
	s_and_b32 s8, s10, s8
	s_xor_b32 s9, s8, -1
	s_and_saveexec_b32 s10, s9
	s_xor_b32 s9, exec_lo, s10
; %bb.91:
	v_lshl_add_u32 v10, v15, 3, v37
	ds_read_b64 v[10:11], v10 offset:8
; %bb.92:
	s_or_saveexec_b32 s9, s9
	v_mov_b32_e32 v13, v9
	v_mov_b32_e32 v12, v8
	s_xor_b32 exec_lo, exec_lo, s9
	s_cbranch_execz .LBB166_94
; %bb.93:
	s_waitcnt lgkmcnt(0)
	v_lshl_add_u32 v10, v14, 3, v37
	ds_read_b64 v[12:13], v10 offset:8
	v_mov_b32_e32 v11, v7
	v_mov_b32_e32 v10, v6
.LBB166_94:
	s_or_b32 exec_lo, exec_lo, s9
	v_add_nc_u32_e32 v16, 1, v15
	v_add_nc_u32_e32 v17, 1, v14
	s_waitcnt lgkmcnt(0)
	v_cmp_lt_i64_e64 s9, v[12:13], v[10:11]
	v_cndmask_b32_e64 v19, v16, v15, s8
	v_cndmask_b32_e64 v18, v14, v17, s8
                                        ; implicit-def: $vgpr14_vgpr15
	v_cmp_ge_i32_e64 s10, v19, v42
	v_cmp_lt_i32_e64 s11, v18, v43
	s_or_b32 s9, s10, s9
	s_and_b32 s9, s11, s9
	s_xor_b32 s10, s9, -1
	s_and_saveexec_b32 s11, s10
	s_xor_b32 s10, exec_lo, s11
; %bb.95:
	v_lshl_add_u32 v14, v19, 3, v37
	ds_read_b64 v[14:15], v14 offset:8
; %bb.96:
	s_or_saveexec_b32 s10, s10
	v_mov_b32_e32 v17, v13
	v_mov_b32_e32 v16, v12
	s_xor_b32 exec_lo, exec_lo, s10
	s_cbranch_execz .LBB166_98
; %bb.97:
	s_waitcnt lgkmcnt(0)
	v_lshl_add_u32 v14, v18, 3, v37
	ds_read_b64 v[16:17], v14 offset:8
	v_mov_b32_e32 v15, v11
	v_mov_b32_e32 v14, v10
.LBB166_98:
	s_or_b32 exec_lo, exec_lo, s10
	v_add_nc_u32_e32 v20, 1, v19
	v_add_nc_u32_e32 v21, 1, v18
	s_waitcnt lgkmcnt(0)
	v_cmp_lt_i64_e64 s10, v[16:17], v[14:15]
	v_cndmask_b32_e64 v23, v20, v19, s9
	v_cndmask_b32_e64 v22, v18, v21, s9
                                        ; implicit-def: $vgpr18_vgpr19
	v_cmp_ge_i32_e64 s11, v23, v42
	v_cmp_lt_i32_e64 s12, v22, v43
	s_or_b32 s10, s11, s10
	s_and_b32 s10, s12, s10
	s_xor_b32 s11, s10, -1
	s_and_saveexec_b32 s12, s11
	s_xor_b32 s11, exec_lo, s12
; %bb.99:
	v_lshl_add_u32 v18, v23, 3, v37
	ds_read_b64 v[18:19], v18 offset:8
; %bb.100:
	s_or_saveexec_b32 s11, s11
	v_mov_b32_e32 v21, v17
	v_mov_b32_e32 v20, v16
	s_xor_b32 exec_lo, exec_lo, s11
	s_cbranch_execz .LBB166_102
; %bb.101:
	s_waitcnt lgkmcnt(0)
	v_lshl_add_u32 v18, v22, 3, v37
	ds_read_b64 v[20:21], v18 offset:8
	v_mov_b32_e32 v19, v15
	v_mov_b32_e32 v18, v14
.LBB166_102:
	s_or_b32 exec_lo, exec_lo, s11
	v_add_nc_u32_e32 v24, 1, v23
	v_add_nc_u32_e32 v25, 1, v22
	s_waitcnt lgkmcnt(0)
	v_cmp_lt_i64_e64 s11, v[20:21], v[18:19]
	v_cndmask_b32_e64 v27, v24, v23, s10
	v_cndmask_b32_e64 v26, v22, v25, s10
                                        ; implicit-def: $vgpr22_vgpr23
	v_cmp_ge_i32_e64 s12, v27, v42
	v_cmp_lt_i32_e64 s13, v26, v43
	s_or_b32 s11, s12, s11
	s_and_b32 s11, s13, s11
	s_xor_b32 s12, s11, -1
	s_and_saveexec_b32 s13, s12
	s_xor_b32 s12, exec_lo, s13
; %bb.103:
	v_lshl_add_u32 v22, v27, 3, v37
	ds_read_b64 v[22:23], v22 offset:8
; %bb.104:
	s_or_saveexec_b32 s12, s12
	v_mov_b32_e32 v25, v21
	v_mov_b32_e32 v24, v20
	s_xor_b32 exec_lo, exec_lo, s12
	s_cbranch_execz .LBB166_106
; %bb.105:
	s_waitcnt lgkmcnt(0)
	v_lshl_add_u32 v22, v26, 3, v37
	ds_read_b64 v[24:25], v22 offset:8
	v_mov_b32_e32 v23, v19
	v_mov_b32_e32 v22, v18
.LBB166_106:
	s_or_b32 exec_lo, exec_lo, s12
	v_add_nc_u32_e32 v28, 1, v27
	v_add_nc_u32_e32 v29, 1, v26
	s_waitcnt lgkmcnt(0)
	v_cmp_lt_i64_e64 s12, v[24:25], v[22:23]
	v_cndmask_b32_e64 v31, v28, v27, s11
	v_cndmask_b32_e64 v30, v26, v29, s11
                                        ; implicit-def: $vgpr26_vgpr27
	v_cmp_ge_i32_e64 s13, v31, v42
	v_cmp_lt_i32_e64 s14, v30, v43
	s_or_b32 s12, s13, s12
	s_and_b32 s12, s14, s12
	s_xor_b32 s13, s12, -1
	s_and_saveexec_b32 s14, s13
	s_xor_b32 s13, exec_lo, s14
; %bb.107:
	v_lshl_add_u32 v26, v31, 3, v37
	ds_read_b64 v[26:27], v26 offset:8
; %bb.108:
	s_or_saveexec_b32 s13, s13
	v_mov_b32_e32 v29, v25
	v_mov_b32_e32 v28, v24
	s_xor_b32 exec_lo, exec_lo, s13
	s_cbranch_execz .LBB166_110
; %bb.109:
	s_waitcnt lgkmcnt(0)
	v_lshl_add_u32 v26, v30, 3, v37
	ds_read_b64 v[28:29], v26 offset:8
	v_mov_b32_e32 v27, v23
	v_mov_b32_e32 v26, v22
.LBB166_110:
	s_or_b32 exec_lo, exec_lo, s13
	v_add_nc_u32_e32 v32, 1, v31
	v_add_nc_u32_e32 v33, 1, v30
	s_waitcnt lgkmcnt(0)
	v_cmp_lt_i64_e64 s13, v[28:29], v[26:27]
	v_cndmask_b32_e64 v38, v32, v31, s12
	v_cndmask_b32_e64 v40, v30, v33, s12
                                        ; implicit-def: $vgpr30_vgpr31
	v_cmp_ge_i32_e64 s14, v38, v42
	v_cmp_lt_i32_e64 s15, v40, v43
	s_or_b32 s13, s14, s13
	s_and_b32 s13, s15, s13
	s_xor_b32 s14, s13, -1
	s_and_saveexec_b32 s15, s14
	s_xor_b32 s14, exec_lo, s15
; %bb.111:
	v_lshl_add_u32 v30, v38, 3, v37
	ds_read_b64 v[30:31], v30 offset:8
; %bb.112:
	s_or_saveexec_b32 s14, s14
	v_mov_b32_e32 v33, v29
	v_mov_b32_e32 v32, v28
	s_xor_b32 exec_lo, exec_lo, s14
	s_cbranch_execz .LBB166_114
; %bb.113:
	s_waitcnt lgkmcnt(0)
	v_lshl_add_u32 v30, v40, 3, v37
	ds_read_b64 v[32:33], v30 offset:8
	v_mov_b32_e32 v31, v27
	v_mov_b32_e32 v30, v26
.LBB166_114:
	s_or_b32 exec_lo, exec_lo, s14
	v_add_nc_u32_e32 v45, 1, v38
	v_min_i32_e32 v41, 0, v35
	v_cndmask_b32_e64 v27, v27, v29, s13
	v_add_nc_u32_e32 v44, 1, v40
	v_cndmask_b32_e64 v10, v10, v12, s9
	v_cndmask_b32_e64 v29, v45, v38, s13
	v_add_nc_u32_e32 v38, 64, v41
	v_cndmask_b32_e64 v26, v26, v28, s13
	v_cndmask_b32_e64 v28, v40, v44, s13
	;; [unrolled: 1-line block ×3, first 2 shown]
	s_waitcnt lgkmcnt(0)
	v_cmp_lt_i64_e64 s9, v[32:33], v[30:31]
	v_min_i32_e32 v38, v35, v38
	v_cndmask_b32_e64 v15, v15, v17, s10
	v_cndmask_b32_e64 v14, v14, v16, s10
	v_cmp_ge_i32_e64 s10, v29, v42
	v_cndmask_b32_e64 v9, v7, v9, s8
	v_add_nc_u32_e32 v12, 64, v38
	v_cndmask_b32_e64 v8, v6, v8, s8
	v_cmp_lt_i32_e64 s8, v28, v43
	v_cndmask_b32_e64 v13, v3, v5, s7
	v_min_i32_e32 v3, v35, v36
	v_min_i32_e32 v40, v35, v12
	s_or_b32 s9, s10, s9
	v_cndmask_b32_e64 v12, v2, v4, s7
	s_and_b32 s7, s8, s9
	v_sub_nc_u32_e32 v4, v38, v41
	v_sub_nc_u32_e32 v5, v40, v38
	v_cndmask_b32_e64 v17, v31, v33, s7
	v_cndmask_b32_e64 v16, v30, v32, s7
	v_cndmask_b32_e64 v23, v23, v25, s12
	v_min_i32_e32 v4, v3, v4
	v_sub_nc_u32_e32 v2, v3, v5
	v_cmp_ge_i32_e64 s7, v3, v5
	v_cndmask_b32_e64 v22, v22, v24, s12
	v_cndmask_b32_e64 v19, v19, v21, s11
	;; [unrolled: 1-line block ×3, first 2 shown]
	s_mov_b32 s9, 0
	v_cndmask_b32_e64 v6, 0, v2, s7
	v_lshl_add_u32 v2, v41, 3, v37
	s_mov_b32 s8, exec_lo
	; wave barrier
	ds_write2_b64 v39, v[12:13], v[8:9] offset1:1
	ds_write2_b64 v39, v[10:11], v[14:15] offset0:2 offset1:3
	ds_write2_b64 v39, v[18:19], v[22:23] offset0:4 offset1:5
	;; [unrolled: 1-line block ×3, first 2 shown]
	; wave barrier
	v_cmpx_lt_i32_e64 v6, v4
	s_cbranch_execz .LBB166_118
; %bb.115:
	v_lshlrev_b32_e32 v5, 3, v38
	v_lshlrev_b32_e32 v7, 3, v3
	v_add3_u32 v5, v37, v5, v7
	.p2align	6
.LBB166_116:                            ; =>This Inner Loop Header: Depth=1
	v_sub_nc_u32_e32 v7, v4, v6
	v_lshrrev_b32_e32 v7, 1, v7
	v_add_nc_u32_e32 v11, v7, v6
	v_not_b32_e32 v7, v11
	v_lshl_add_u32 v8, v11, 3, v2
	v_lshl_add_u32 v9, v7, 3, v5
	ds_read_b64 v[7:8], v8
	ds_read_b64 v[9:10], v9
	s_waitcnt lgkmcnt(0)
	v_cmp_lt_i64_e64 s7, v[9:10], v[7:8]
	v_add_nc_u32_e32 v7, 1, v11
	v_cndmask_b32_e64 v4, v4, v11, s7
	v_cndmask_b32_e64 v6, v7, v6, s7
	v_cmp_ge_i32_e64 s7, v6, v4
	s_or_b32 s9, s7, s9
	s_andn2_b32 exec_lo, exec_lo, s9
	s_cbranch_execnz .LBB166_116
; %bb.117:
	s_or_b32 exec_lo, exec_lo, s9
.LBB166_118:
	s_or_b32 exec_lo, exec_lo, s8
	v_add_nc_u32_e32 v3, v38, v3
	v_lshl_add_u32 v8, v6, 3, v2
	v_add_nc_u32_e32 v11, v6, v41
	v_sub_nc_u32_e32 v10, v3, v6
                                        ; implicit-def: $vgpr6_vgpr7
	v_cmp_le_i32_e64 s8, v38, v11
	v_lshl_add_u32 v12, v10, 3, v37
	v_cmp_gt_i32_e64 s9, v40, v10
	ds_read_b64 v[2:3], v8
	ds_read_b64 v[4:5], v12
	s_waitcnt lgkmcnt(0)
	v_cmp_lt_i64_e64 s7, v[4:5], v[2:3]
	s_or_b32 s7, s8, s7
	s_and_b32 s7, s9, s7
	s_xor_b32 s8, s7, -1
	s_and_saveexec_b32 s9, s8
	s_xor_b32 s8, exec_lo, s9
; %bb.119:
	ds_read_b64 v[6:7], v8 offset:8
                                        ; implicit-def: $vgpr12
; %bb.120:
	s_or_saveexec_b32 s8, s8
	v_mov_b32_e32 v9, v5
	v_mov_b32_e32 v8, v4
	s_xor_b32 exec_lo, exec_lo, s8
	s_cbranch_execz .LBB166_122
; %bb.121:
	ds_read_b64 v[8:9], v12 offset:8
	s_waitcnt lgkmcnt(1)
	v_mov_b32_e32 v7, v3
	v_mov_b32_e32 v6, v2
.LBB166_122:
	s_or_b32 exec_lo, exec_lo, s8
	v_add_nc_u32_e32 v12, 1, v11
	v_add_nc_u32_e32 v13, 1, v10
	s_waitcnt lgkmcnt(0)
	v_cmp_lt_i64_e64 s8, v[8:9], v[6:7]
	v_cndmask_b32_e64 v15, v12, v11, s7
	v_cndmask_b32_e64 v14, v10, v13, s7
                                        ; implicit-def: $vgpr10_vgpr11
	v_cmp_ge_i32_e64 s9, v15, v38
	v_cmp_lt_i32_e64 s10, v14, v40
	s_or_b32 s8, s9, s8
	s_and_b32 s8, s10, s8
	s_xor_b32 s9, s8, -1
	s_and_saveexec_b32 s10, s9
	s_xor_b32 s9, exec_lo, s10
; %bb.123:
	v_lshl_add_u32 v10, v15, 3, v37
	ds_read_b64 v[10:11], v10 offset:8
; %bb.124:
	s_or_saveexec_b32 s9, s9
	v_mov_b32_e32 v13, v9
	v_mov_b32_e32 v12, v8
	s_xor_b32 exec_lo, exec_lo, s9
	s_cbranch_execz .LBB166_126
; %bb.125:
	s_waitcnt lgkmcnt(0)
	v_lshl_add_u32 v10, v14, 3, v37
	ds_read_b64 v[12:13], v10 offset:8
	v_mov_b32_e32 v11, v7
	v_mov_b32_e32 v10, v6
.LBB166_126:
	s_or_b32 exec_lo, exec_lo, s9
	v_add_nc_u32_e32 v16, 1, v15
	v_add_nc_u32_e32 v17, 1, v14
	s_waitcnt lgkmcnt(0)
	v_cmp_lt_i64_e64 s9, v[12:13], v[10:11]
	v_cndmask_b32_e64 v19, v16, v15, s8
	v_cndmask_b32_e64 v18, v14, v17, s8
                                        ; implicit-def: $vgpr14_vgpr15
	v_cmp_ge_i32_e64 s10, v19, v38
	v_cmp_lt_i32_e64 s11, v18, v40
	s_or_b32 s9, s10, s9
	s_and_b32 s9, s11, s9
	s_xor_b32 s10, s9, -1
	s_and_saveexec_b32 s11, s10
	s_xor_b32 s10, exec_lo, s11
; %bb.127:
	v_lshl_add_u32 v14, v19, 3, v37
	ds_read_b64 v[14:15], v14 offset:8
; %bb.128:
	s_or_saveexec_b32 s10, s10
	v_mov_b32_e32 v17, v13
	v_mov_b32_e32 v16, v12
	s_xor_b32 exec_lo, exec_lo, s10
	s_cbranch_execz .LBB166_130
; %bb.129:
	s_waitcnt lgkmcnt(0)
	v_lshl_add_u32 v14, v18, 3, v37
	ds_read_b64 v[16:17], v14 offset:8
	v_mov_b32_e32 v15, v11
	v_mov_b32_e32 v14, v10
.LBB166_130:
	s_or_b32 exec_lo, exec_lo, s10
	v_add_nc_u32_e32 v20, 1, v19
	v_add_nc_u32_e32 v21, 1, v18
	s_waitcnt lgkmcnt(0)
	v_cmp_lt_i64_e64 s10, v[16:17], v[14:15]
	v_cndmask_b32_e64 v23, v20, v19, s9
	v_cndmask_b32_e64 v22, v18, v21, s9
                                        ; implicit-def: $vgpr18_vgpr19
	v_cmp_ge_i32_e64 s11, v23, v38
	v_cmp_lt_i32_e64 s12, v22, v40
	s_or_b32 s10, s11, s10
	s_and_b32 s10, s12, s10
	s_xor_b32 s11, s10, -1
	s_and_saveexec_b32 s12, s11
	s_xor_b32 s11, exec_lo, s12
; %bb.131:
	v_lshl_add_u32 v18, v23, 3, v37
	ds_read_b64 v[18:19], v18 offset:8
; %bb.132:
	s_or_saveexec_b32 s11, s11
	v_mov_b32_e32 v21, v17
	v_mov_b32_e32 v20, v16
	s_xor_b32 exec_lo, exec_lo, s11
	s_cbranch_execz .LBB166_134
; %bb.133:
	s_waitcnt lgkmcnt(0)
	v_lshl_add_u32 v18, v22, 3, v37
	ds_read_b64 v[20:21], v18 offset:8
	v_mov_b32_e32 v19, v15
	v_mov_b32_e32 v18, v14
.LBB166_134:
	s_or_b32 exec_lo, exec_lo, s11
	v_add_nc_u32_e32 v24, 1, v23
	v_add_nc_u32_e32 v25, 1, v22
	s_waitcnt lgkmcnt(0)
	v_cmp_lt_i64_e64 s11, v[20:21], v[18:19]
	v_cndmask_b32_e64 v27, v24, v23, s10
	v_cndmask_b32_e64 v26, v22, v25, s10
                                        ; implicit-def: $vgpr22_vgpr23
	v_cmp_ge_i32_e64 s12, v27, v38
	v_cmp_lt_i32_e64 s13, v26, v40
	s_or_b32 s11, s12, s11
	s_and_b32 s11, s13, s11
	s_xor_b32 s12, s11, -1
	s_and_saveexec_b32 s13, s12
	s_xor_b32 s12, exec_lo, s13
; %bb.135:
	v_lshl_add_u32 v22, v27, 3, v37
	ds_read_b64 v[22:23], v22 offset:8
; %bb.136:
	s_or_saveexec_b32 s12, s12
	v_mov_b32_e32 v25, v21
	v_mov_b32_e32 v24, v20
	s_xor_b32 exec_lo, exec_lo, s12
	s_cbranch_execz .LBB166_138
; %bb.137:
	s_waitcnt lgkmcnt(0)
	v_lshl_add_u32 v22, v26, 3, v37
	ds_read_b64 v[24:25], v22 offset:8
	v_mov_b32_e32 v23, v19
	v_mov_b32_e32 v22, v18
.LBB166_138:
	s_or_b32 exec_lo, exec_lo, s12
	v_add_nc_u32_e32 v28, 1, v27
	v_add_nc_u32_e32 v29, 1, v26
	s_waitcnt lgkmcnt(0)
	v_cmp_lt_i64_e64 s12, v[24:25], v[22:23]
	v_cndmask_b32_e64 v31, v28, v27, s11
	v_cndmask_b32_e64 v30, v26, v29, s11
                                        ; implicit-def: $vgpr26_vgpr27
	v_cmp_ge_i32_e64 s13, v31, v38
	v_cmp_lt_i32_e64 s14, v30, v40
	s_or_b32 s12, s13, s12
	s_and_b32 s12, s14, s12
	s_xor_b32 s13, s12, -1
	s_and_saveexec_b32 s14, s13
	s_xor_b32 s13, exec_lo, s14
; %bb.139:
	v_lshl_add_u32 v26, v31, 3, v37
	ds_read_b64 v[26:27], v26 offset:8
; %bb.140:
	s_or_saveexec_b32 s13, s13
	v_mov_b32_e32 v29, v25
	v_mov_b32_e32 v28, v24
	s_xor_b32 exec_lo, exec_lo, s13
	s_cbranch_execz .LBB166_142
; %bb.141:
	s_waitcnt lgkmcnt(0)
	v_lshl_add_u32 v26, v30, 3, v37
	ds_read_b64 v[28:29], v26 offset:8
	v_mov_b32_e32 v27, v23
	v_mov_b32_e32 v26, v22
.LBB166_142:
	s_or_b32 exec_lo, exec_lo, s13
	v_add_nc_u32_e32 v32, 1, v31
	v_add_nc_u32_e32 v33, 1, v30
	s_waitcnt lgkmcnt(0)
	v_cmp_lt_i64_e64 s13, v[28:29], v[26:27]
                                        ; implicit-def: $vgpr36
	v_cndmask_b32_e64 v39, v32, v31, s12
	v_cndmask_b32_e64 v35, v30, v33, s12
                                        ; implicit-def: $vgpr30_vgpr31
	v_cmp_ge_i32_e64 s14, v39, v38
	v_cmp_lt_i32_e64 s15, v35, v40
	s_or_b32 s13, s14, s13
	s_and_b32 s13, s15, s13
	s_xor_b32 s14, s13, -1
	s_and_saveexec_b32 s15, s14
	s_xor_b32 s14, exec_lo, s15
; %bb.143:
	v_lshl_add_u32 v30, v39, 3, v37
	v_add_nc_u32_e32 v36, 1, v39
                                        ; implicit-def: $vgpr37
                                        ; implicit-def: $vgpr39
	ds_read_b64 v[30:31], v30 offset:8
; %bb.144:
	s_or_saveexec_b32 s14, s14
	v_mov_b32_e32 v33, v29
	v_mov_b32_e32 v32, v28
	s_xor_b32 exec_lo, exec_lo, s14
	s_cbranch_execz .LBB166_146
; %bb.145:
	s_waitcnt lgkmcnt(0)
	v_lshl_add_u32 v30, v35, 3, v37
	v_add_nc_u32_e32 v35, 1, v35
	v_mov_b32_e32 v36, v39
	ds_read_b64 v[32:33], v30 offset:8
	v_mov_b32_e32 v31, v27
	v_mov_b32_e32 v30, v26
.LBB166_146:
	s_or_b32 exec_lo, exec_lo, s14
	v_add_co_u32 v0, s14, s18, v0
	v_add_co_ci_u32_e64 v1, null, s19, v1, s14
	v_add_co_u32 v0, s14, v0, v34
	v_add_co_ci_u32_e64 v1, null, 0, v1, s14
	s_and_saveexec_b32 s14, vcc_lo
	s_cbranch_execnz .LBB166_155
; %bb.147:
	s_or_b32 exec_lo, exec_lo, s14
	s_and_saveexec_b32 s7, s0
	s_cbranch_execnz .LBB166_156
.LBB166_148:
	s_or_b32 exec_lo, exec_lo, s7
	s_and_saveexec_b32 s0, s1
	s_cbranch_execnz .LBB166_157
.LBB166_149:
	s_or_b32 exec_lo, exec_lo, s0
	s_and_saveexec_b32 s0, s2
	s_cbranch_execnz .LBB166_158
.LBB166_150:
	s_or_b32 exec_lo, exec_lo, s0
	s_and_saveexec_b32 s0, s3
	s_cbranch_execnz .LBB166_159
.LBB166_151:
	s_or_b32 exec_lo, exec_lo, s0
	s_and_saveexec_b32 s0, s4
	s_cbranch_execnz .LBB166_160
.LBB166_152:
	s_or_b32 exec_lo, exec_lo, s0
	s_and_saveexec_b32 s0, s5
	s_cbranch_execnz .LBB166_161
.LBB166_153:
	s_or_b32 exec_lo, exec_lo, s0
	s_and_saveexec_b32 s0, s6
	s_cbranch_execnz .LBB166_162
.LBB166_154:
	s_endpgm
.LBB166_155:
	v_cndmask_b32_e64 v3, v3, v5, s7
	v_cndmask_b32_e64 v2, v2, v4, s7
	global_store_dwordx2 v[0:1], v[2:3], off
	s_or_b32 exec_lo, exec_lo, s14
	s_and_saveexec_b32 s7, s0
	s_cbranch_execz .LBB166_148
.LBB166_156:
	v_cndmask_b32_e64 v3, v7, v9, s8
	v_cndmask_b32_e64 v2, v6, v8, s8
	global_store_dwordx2 v[0:1], v[2:3], off offset:8
	s_or_b32 exec_lo, exec_lo, s7
	s_and_saveexec_b32 s0, s1
	s_cbranch_execz .LBB166_149
.LBB166_157:
	v_cndmask_b32_e64 v3, v11, v13, s9
	v_cndmask_b32_e64 v2, v10, v12, s9
	global_store_dwordx2 v[0:1], v[2:3], off offset:16
	s_or_b32 exec_lo, exec_lo, s0
	s_and_saveexec_b32 s0, s2
	s_cbranch_execz .LBB166_150
.LBB166_158:
	v_cndmask_b32_e64 v3, v15, v17, s10
	v_cndmask_b32_e64 v2, v14, v16, s10
	global_store_dwordx2 v[0:1], v[2:3], off offset:24
	s_or_b32 exec_lo, exec_lo, s0
	s_and_saveexec_b32 s0, s3
	s_cbranch_execz .LBB166_151
.LBB166_159:
	v_cndmask_b32_e64 v3, v19, v21, s11
	v_cndmask_b32_e64 v2, v18, v20, s11
	global_store_dwordx2 v[0:1], v[2:3], off offset:32
	s_or_b32 exec_lo, exec_lo, s0
	s_and_saveexec_b32 s0, s4
	s_cbranch_execz .LBB166_152
.LBB166_160:
	v_cndmask_b32_e64 v3, v23, v25, s12
	v_cndmask_b32_e64 v2, v22, v24, s12
	global_store_dwordx2 v[0:1], v[2:3], off offset:40
	s_or_b32 exec_lo, exec_lo, s0
	s_and_saveexec_b32 s0, s5
	s_cbranch_execz .LBB166_153
.LBB166_161:
	v_cndmask_b32_e64 v3, v27, v29, s13
	v_cndmask_b32_e64 v2, v26, v28, s13
	global_store_dwordx2 v[0:1], v[2:3], off offset:48
	s_or_b32 exec_lo, exec_lo, s0
	s_and_saveexec_b32 s0, s6
	s_cbranch_execz .LBB166_154
.LBB166_162:
	s_waitcnt lgkmcnt(0)
	v_cmp_lt_i64_e32 vcc_lo, v[32:33], v[30:31]
	v_cmp_ge_i32_e64 s0, v36, v38
	v_cmp_lt_i32_e64 s1, v35, v40
	s_or_b32 s0, s0, vcc_lo
	s_and_b32 vcc_lo, s1, s0
	v_cndmask_b32_e32 v3, v31, v33, vcc_lo
	v_cndmask_b32_e32 v2, v30, v32, vcc_lo
	global_store_dwordx2 v[0:1], v[2:3], off offset:56
	s_endpgm
	.section	.rodata,"a",@progbits
	.p2align	6, 0x0
	.amdhsa_kernel _Z19sort_keys_segmentedILj256ELj16ELj8ExN10test_utils4lessEEvPKT2_PS2_PKjT3_
		.amdhsa_group_segment_fixed_size 16512
		.amdhsa_private_segment_fixed_size 0
		.amdhsa_kernarg_size 28
		.amdhsa_user_sgpr_count 6
		.amdhsa_user_sgpr_private_segment_buffer 1
		.amdhsa_user_sgpr_dispatch_ptr 0
		.amdhsa_user_sgpr_queue_ptr 0
		.amdhsa_user_sgpr_kernarg_segment_ptr 1
		.amdhsa_user_sgpr_dispatch_id 0
		.amdhsa_user_sgpr_flat_scratch_init 0
		.amdhsa_user_sgpr_private_segment_size 0
		.amdhsa_wavefront_size32 1
		.amdhsa_uses_dynamic_stack 0
		.amdhsa_system_sgpr_private_segment_wavefront_offset 0
		.amdhsa_system_sgpr_workgroup_id_x 1
		.amdhsa_system_sgpr_workgroup_id_y 0
		.amdhsa_system_sgpr_workgroup_id_z 0
		.amdhsa_system_sgpr_workgroup_info 0
		.amdhsa_system_vgpr_workitem_id 0
		.amdhsa_next_free_vgpr 46
		.amdhsa_next_free_sgpr 20
		.amdhsa_reserve_vcc 1
		.amdhsa_reserve_flat_scratch 0
		.amdhsa_float_round_mode_32 0
		.amdhsa_float_round_mode_16_64 0
		.amdhsa_float_denorm_mode_32 3
		.amdhsa_float_denorm_mode_16_64 3
		.amdhsa_dx10_clamp 1
		.amdhsa_ieee_mode 1
		.amdhsa_fp16_overflow 0
		.amdhsa_workgroup_processor_mode 1
		.amdhsa_memory_ordered 1
		.amdhsa_forward_progress 1
		.amdhsa_shared_vgpr_count 0
		.amdhsa_exception_fp_ieee_invalid_op 0
		.amdhsa_exception_fp_denorm_src 0
		.amdhsa_exception_fp_ieee_div_zero 0
		.amdhsa_exception_fp_ieee_overflow 0
		.amdhsa_exception_fp_ieee_underflow 0
		.amdhsa_exception_fp_ieee_inexact 0
		.amdhsa_exception_int_div_zero 0
	.end_amdhsa_kernel
	.section	.text._Z19sort_keys_segmentedILj256ELj16ELj8ExN10test_utils4lessEEvPKT2_PS2_PKjT3_,"axG",@progbits,_Z19sort_keys_segmentedILj256ELj16ELj8ExN10test_utils4lessEEvPKT2_PS2_PKjT3_,comdat
.Lfunc_end166:
	.size	_Z19sort_keys_segmentedILj256ELj16ELj8ExN10test_utils4lessEEvPKT2_PS2_PKjT3_, .Lfunc_end166-_Z19sort_keys_segmentedILj256ELj16ELj8ExN10test_utils4lessEEvPKT2_PS2_PKjT3_
                                        ; -- End function
	.set _Z19sort_keys_segmentedILj256ELj16ELj8ExN10test_utils4lessEEvPKT2_PS2_PKjT3_.num_vgpr, 46
	.set _Z19sort_keys_segmentedILj256ELj16ELj8ExN10test_utils4lessEEvPKT2_PS2_PKjT3_.num_agpr, 0
	.set _Z19sort_keys_segmentedILj256ELj16ELj8ExN10test_utils4lessEEvPKT2_PS2_PKjT3_.numbered_sgpr, 20
	.set _Z19sort_keys_segmentedILj256ELj16ELj8ExN10test_utils4lessEEvPKT2_PS2_PKjT3_.num_named_barrier, 0
	.set _Z19sort_keys_segmentedILj256ELj16ELj8ExN10test_utils4lessEEvPKT2_PS2_PKjT3_.private_seg_size, 0
	.set _Z19sort_keys_segmentedILj256ELj16ELj8ExN10test_utils4lessEEvPKT2_PS2_PKjT3_.uses_vcc, 1
	.set _Z19sort_keys_segmentedILj256ELj16ELj8ExN10test_utils4lessEEvPKT2_PS2_PKjT3_.uses_flat_scratch, 0
	.set _Z19sort_keys_segmentedILj256ELj16ELj8ExN10test_utils4lessEEvPKT2_PS2_PKjT3_.has_dyn_sized_stack, 0
	.set _Z19sort_keys_segmentedILj256ELj16ELj8ExN10test_utils4lessEEvPKT2_PS2_PKjT3_.has_recursion, 0
	.set _Z19sort_keys_segmentedILj256ELj16ELj8ExN10test_utils4lessEEvPKT2_PS2_PKjT3_.has_indirect_call, 0
	.section	.AMDGPU.csdata,"",@progbits
; Kernel info:
; codeLenInByte = 8128
; TotalNumSgprs: 22
; NumVgprs: 46
; ScratchSize: 0
; MemoryBound: 0
; FloatMode: 240
; IeeeMode: 1
; LDSByteSize: 16512 bytes/workgroup (compile time only)
; SGPRBlocks: 0
; VGPRBlocks: 5
; NumSGPRsForWavesPerEU: 22
; NumVGPRsForWavesPerEU: 46
; Occupancy: 14
; WaveLimiterHint : 0
; COMPUTE_PGM_RSRC2:SCRATCH_EN: 0
; COMPUTE_PGM_RSRC2:USER_SGPR: 6
; COMPUTE_PGM_RSRC2:TRAP_HANDLER: 0
; COMPUTE_PGM_RSRC2:TGID_X_EN: 1
; COMPUTE_PGM_RSRC2:TGID_Y_EN: 0
; COMPUTE_PGM_RSRC2:TGID_Z_EN: 0
; COMPUTE_PGM_RSRC2:TIDIG_COMP_CNT: 0
	.section	.text._Z20sort_pairs_segmentedILj256ELj16ELj8ExN10test_utils4lessEEvPKT2_PS2_PKjT3_,"axG",@progbits,_Z20sort_pairs_segmentedILj256ELj16ELj8ExN10test_utils4lessEEvPKT2_PS2_PKjT3_,comdat
	.protected	_Z20sort_pairs_segmentedILj256ELj16ELj8ExN10test_utils4lessEEvPKT2_PS2_PKjT3_ ; -- Begin function _Z20sort_pairs_segmentedILj256ELj16ELj8ExN10test_utils4lessEEvPKT2_PS2_PKjT3_
	.globl	_Z20sort_pairs_segmentedILj256ELj16ELj8ExN10test_utils4lessEEvPKT2_PS2_PKjT3_
	.p2align	8
	.type	_Z20sort_pairs_segmentedILj256ELj16ELj8ExN10test_utils4lessEEvPKT2_PS2_PKjT3_,@function
_Z20sort_pairs_segmentedILj256ELj16ELj8ExN10test_utils4lessEEvPKT2_PS2_PKjT3_: ; @_Z20sort_pairs_segmentedILj256ELj16ELj8ExN10test_utils4lessEEvPKT2_PS2_PKjT3_
; %bb.0:
	s_clause 0x1
	s_load_dwordx2 s[0:1], s[4:5], 0x10
	s_load_dwordx4 s[16:19], s[4:5], 0x0
	v_lshrrev_b32_e32 v46, 4, v0
	v_mov_b32_e32 v1, 0
                                        ; implicit-def: $vgpr6_vgpr7
	v_lshl_or_b32 v0, s6, 4, v46
	v_lshlrev_b64 v[2:3], 2, v[0:1]
	v_lshlrev_b32_e32 v0, 7, v0
	v_lshlrev_b64 v[0:1], 3, v[0:1]
	s_waitcnt lgkmcnt(0)
	v_add_co_u32 v2, vcc_lo, s0, v2
	v_add_co_ci_u32_e64 v3, null, s1, v3, vcc_lo
	global_load_dword v51, v[2:3], off
	v_mbcnt_lo_u32_b32 v2, -1, 0
	v_lshlrev_b32_e32 v55, 3, v2
	v_add_co_u32 v2, vcc_lo, s16, v0
	v_add_co_ci_u32_e64 v3, null, s17, v1, vcc_lo
	v_and_b32_e32 v52, 0x78, v55
	v_lshlrev_b32_e32 v50, 3, v52
	v_add_co_u32 v2, vcc_lo, v2, v50
	v_add_co_ci_u32_e64 v3, null, 0, v3, vcc_lo
	s_waitcnt vmcnt(0)
	v_cmp_lt_u32_e64 s6, v52, v51
	s_and_saveexec_b32 s0, s6
	s_cbranch_execz .LBB167_2
; %bb.1:
	global_load_dwordx2 v[6:7], v[2:3], off
.LBB167_2:
	s_or_b32 exec_lo, exec_lo, s0
	v_or_b32_e32 v16, 1, v52
                                        ; implicit-def: $vgpr34_vgpr35
	v_cmp_lt_u32_e64 s5, v16, v51
	s_and_saveexec_b32 s0, s5
	s_cbranch_execz .LBB167_4
; %bb.3:
	global_load_dwordx2 v[34:35], v[2:3], off offset:8
.LBB167_4:
	s_or_b32 exec_lo, exec_lo, s0
	v_or_b32_e32 v20, 2, v52
                                        ; implicit-def: $vgpr22_vgpr23
	v_cmp_lt_u32_e64 s4, v20, v51
	s_and_saveexec_b32 s0, s4
	s_cbranch_execz .LBB167_6
; %bb.5:
	global_load_dwordx2 v[22:23], v[2:3], off offset:16
.LBB167_6:
	s_or_b32 exec_lo, exec_lo, s0
	v_or_b32_e32 v28, 3, v52
                                        ; implicit-def: $vgpr36_vgpr37
	v_cmp_lt_u32_e64 s3, v28, v51
	s_and_saveexec_b32 s0, s3
	s_cbranch_execz .LBB167_8
; %bb.7:
	global_load_dwordx2 v[36:37], v[2:3], off offset:24
.LBB167_8:
	s_or_b32 exec_lo, exec_lo, s0
	v_or_b32_e32 v29, 4, v52
                                        ; implicit-def: $vgpr24_vgpr25
	v_cmp_lt_u32_e64 s2, v29, v51
	s_and_saveexec_b32 s0, s2
	s_cbranch_execz .LBB167_10
; %bb.9:
	global_load_dwordx2 v[24:25], v[2:3], off offset:32
.LBB167_10:
	s_or_b32 exec_lo, exec_lo, s0
	v_or_b32_e32 v32, 5, v52
                                        ; implicit-def: $vgpr38_vgpr39
	v_cmp_lt_u32_e64 s1, v32, v51
	s_and_saveexec_b32 s0, s1
	s_cbranch_execz .LBB167_12
; %bb.11:
	global_load_dwordx2 v[38:39], v[2:3], off offset:40
.LBB167_12:
	s_or_b32 exec_lo, exec_lo, s0
	v_or_b32_e32 v42, 6, v52
                                        ; implicit-def: $vgpr26_vgpr27
	v_cmp_lt_u32_e64 s0, v42, v51
	s_and_saveexec_b32 s7, s0
	s_cbranch_execz .LBB167_14
; %bb.13:
	global_load_dwordx2 v[26:27], v[2:3], off offset:48
.LBB167_14:
	s_or_b32 exec_lo, exec_lo, s7
	v_or_b32_e32 v43, 7, v52
                                        ; implicit-def: $vgpr40_vgpr41
	v_cmp_lt_u32_e32 vcc_lo, v43, v51
	s_and_saveexec_b32 s7, vcc_lo
	s_cbranch_execz .LBB167_16
; %bb.15:
	global_load_dwordx2 v[40:41], v[2:3], off offset:56
.LBB167_16:
	s_or_b32 exec_lo, exec_lo, s7
	s_waitcnt vmcnt(0)
	v_add_co_u32 v2, s7, v6, 1
	v_add_co_ci_u32_e64 v3, null, 0, v7, s7
	v_add_co_u32 v8, s7, v34, 1
	v_add_co_ci_u32_e64 v9, null, 0, v35, s7
	;; [unrolled: 2-line block ×7, first 2 shown]
	v_cmp_lt_i32_e64 s7, v16, v51
	v_add_co_u32 v16, s8, v40, 1
	v_add_co_ci_u32_e64 v17, null, 0, v41, s8
	v_cmp_lt_i32_e64 s8, v20, v51
	v_cndmask_b32_e64 v21, 0x7fffffff, v35, s7
	v_cndmask_b32_e64 v20, -1, v34, s7
	v_cmp_lt_i32_e64 s7, v28, v51
	v_cmp_lt_i32_e64 s9, v43, v51
	v_cndmask_b32_e64 v31, 0x7fffffff, v23, s8
	v_cndmask_b32_e64 v30, -1, v22, s8
	v_cmp_lt_i32_e64 s8, v29, v51
	v_cndmask_b32_e64 v23, 0x7fffffff, v37, s7
	v_cndmask_b32_e64 v22, -1, v36, s7
	;; [unrolled: 3-line block ×4, first 2 shown]
	v_cndmask_b32_e64 v25, 0x7fffffff, v27, s8
	v_cndmask_b32_e64 v24, -1, v26, s8
	v_cndmask_b32_e64 v27, 0x7fffffff, v41, s9
	v_cndmask_b32_e64 v26, -1, v40, s9
	s_mov_b32 s8, exec_lo
	v_cmpx_lt_i32_e64 v52, v51
	s_cbranch_execz .LBB167_74
; %bb.17:
	v_mov_b32_e32 v43, v9
	v_mov_b32_e32 v42, v8
	s_mov_b32 s9, exec_lo
	v_cmpx_lt_i64_e64 v[20:21], v[6:7]
	s_cbranch_execz .LBB167_19
; %bb.18:
	v_mov_b32_e32 v21, v7
	v_mov_b32_e32 v43, v3
	v_mov_b32_e32 v20, v6
	v_mov_b32_e32 v6, v34
	v_mov_b32_e32 v42, v2
	v_mov_b32_e32 v2, v8
	v_mov_b32_e32 v7, v35
	v_mov_b32_e32 v3, v9
.LBB167_19:
	s_or_b32 exec_lo, exec_lo, s9
	v_mov_b32_e32 v45, v13
	v_mov_b32_e32 v44, v12
	s_mov_b32 s9, exec_lo
	v_cmpx_lt_i64_e64 v[22:23], v[30:31]
	s_cbranch_execz .LBB167_21
; %bb.20:
	v_mov_b32_e32 v22, v30
	v_mov_b32_e32 v45, v11
	v_mov_b32_e32 v23, v31
	v_mov_b32_e32 v30, v36
	v_mov_b32_e32 v44, v10
	v_mov_b32_e32 v10, v12
	v_mov_b32_e32 v31, v37
	v_mov_b32_e32 v11, v13
.LBB167_21:
	s_or_b32 exec_lo, exec_lo, s9
	;; [unrolled: 16-line block ×4, first 2 shown]
	v_cmp_lt_i64_e64 s7, v[30:31], v[20:21]
	v_mov_b32_e32 v8, v30
	v_mov_b32_e32 v39, v11
	v_mov_b32_e32 v9, v31
	v_mov_b32_e32 v38, v10
	s_and_saveexec_b32 s9, s7
	s_xor_b32 s7, exec_lo, s9
	s_cbranch_execz .LBB167_27
; %bb.26:
	v_mov_b32_e32 v8, v20
	v_mov_b32_e32 v38, v42
	v_mov_b32_e32 v9, v21
	v_mov_b32_e32 v20, v30
	v_mov_b32_e32 v39, v43
	v_mov_b32_e32 v43, v11
	v_mov_b32_e32 v21, v31
	v_mov_b32_e32 v42, v10
.LBB167_27:
	s_or_b32 exec_lo, exec_lo, s7
	v_mov_b32_e32 v10, v32
	v_mov_b32_e32 v31, v15
	v_mov_b32_e32 v11, v33
	v_mov_b32_e32 v30, v14
	s_mov_b32 s9, exec_lo
	v_cmpx_lt_i64_e64 v[32:33], v[22:23]
	s_cbranch_execz .LBB167_29
; %bb.28:
	v_mov_b32_e32 v10, v22
	v_mov_b32_e32 v30, v44
	v_mov_b32_e32 v11, v23
	v_mov_b32_e32 v22, v32
	v_mov_b32_e32 v31, v45
	v_mov_b32_e32 v45, v15
	v_mov_b32_e32 v23, v33
	v_mov_b32_e32 v44, v14
.LBB167_29:
	s_or_b32 exec_lo, exec_lo, s9
	v_mov_b32_e32 v12, v24
	v_mov_b32_e32 v33, v5
	v_mov_b32_e32 v13, v25
	v_mov_b32_e32 v32, v4
	s_mov_b32 s9, exec_lo
	v_cmpx_lt_i64_e64 v[24:25], v[28:29]
	;; [unrolled: 18-line block ×23, first 2 shown]
	s_cbranch_execz .LBB167_73
; %bb.72:
	v_mov_b32_e32 v19, v5
	v_mov_b32_e32 v29, v25
	;; [unrolled: 1-line block ×8, first 2 shown]
.LBB167_73:
	s_or_b32 exec_lo, exec_lo, s9
.LBB167_74:
	s_or_b32 exec_lo, exec_lo, s8
	v_and_b32_e32 v34, 0x70, v55
	v_and_b32_e32 v36, 8, v55
	v_mad_u32_u24 v54, 0x408, v46, v50
	v_mul_u32_u24_e32 v53, 0x408, v46
	v_min_i32_e32 v34, v51, v34
	; wave barrier
	ds_write2_b64 v54, v[6:7], v[20:21] offset1:1
	ds_write2_b64 v54, v[30:31], v[22:23] offset0:2 offset1:3
	ds_write2_b64 v54, v[32:33], v[28:29] offset0:4 offset1:5
	s_mov_b32 s9, 0
	s_mov_b32 s8, exec_lo
	v_add_nc_u32_e32 v35, 8, v34
	v_lshlrev_b32_e32 v39, 3, v34
	ds_write2_b64 v54, v[24:25], v[26:27] offset0:6 offset1:7
	; wave barrier
	v_min_i32_e32 v56, v51, v35
	v_mad_u32_u24 v6, 0x408, v46, v39
	v_add_nc_u32_e32 v35, 8, v56
	v_sub_nc_u32_e32 v38, v56, v34
	v_min_i32_e32 v57, v51, v35
	v_min_i32_e32 v35, v51, v36
	v_sub_nc_u32_e32 v36, v57, v56
	v_sub_nc_u32_e32 v37, v35, v36
	v_cmp_ge_i32_e64 s7, v35, v36
	v_cndmask_b32_e64 v36, 0, v37, s7
	v_min_i32_e32 v37, v35, v38
	v_cmpx_lt_i32_e64 v36, v37
	s_cbranch_execz .LBB167_78
; %bb.75:
	v_lshlrev_b32_e32 v7, 3, v56
	v_lshlrev_b32_e32 v20, 3, v35
	v_add3_u32 v7, v53, v7, v20
	.p2align	6
.LBB167_76:                             ; =>This Inner Loop Header: Depth=1
	v_sub_nc_u32_e32 v20, v37, v36
	v_lshrrev_b32_e32 v20, 1, v20
	v_add_nc_u32_e32 v24, v20, v36
	v_not_b32_e32 v20, v24
	v_lshl_add_u32 v21, v24, 3, v6
	v_lshl_add_u32 v22, v20, 3, v7
	ds_read_b64 v[20:21], v21
	ds_read_b64 v[22:23], v22
	s_waitcnt lgkmcnt(0)
	v_cmp_lt_i64_e64 s7, v[22:23], v[20:21]
	v_add_nc_u32_e32 v20, 1, v24
	v_cndmask_b32_e64 v37, v37, v24, s7
	v_cndmask_b32_e64 v36, v20, v36, s7
	v_cmp_ge_i32_e64 s7, v36, v37
	s_or_b32 s9, s7, s9
	s_andn2_b32 exec_lo, exec_lo, s9
	s_cbranch_execnz .LBB167_76
; %bb.77:
	s_or_b32 exec_lo, exec_lo, s9
.LBB167_78:
	s_or_b32 exec_lo, exec_lo, s8
	v_add_nc_u32_e32 v7, v56, v35
	v_lshl_add_u32 v24, v36, 3, v6
	v_add_nc_u32_e32 v59, v36, v34
	v_sub_nc_u32_e32 v58, v7, v36
                                        ; implicit-def: $vgpr6_vgpr7
	v_cmp_le_i32_e64 s8, v56, v59
	v_lshl_add_u32 v26, v58, 3, v53
	v_cmp_gt_i32_e64 s9, v57, v58
	ds_read_b64 v[20:21], v24
	ds_read_b64 v[22:23], v26
	s_waitcnt lgkmcnt(0)
	v_cmp_lt_i64_e64 s7, v[22:23], v[20:21]
	s_or_b32 s7, s8, s7
	s_and_b32 s7, s9, s7
	s_xor_b32 s8, s7, -1
	s_and_saveexec_b32 s9, s8
	s_xor_b32 s8, exec_lo, s9
; %bb.79:
	ds_read_b64 v[6:7], v24 offset:8
                                        ; implicit-def: $vgpr26
; %bb.80:
	s_or_saveexec_b32 s8, s8
	v_mov_b32_e32 v25, v23
	v_mov_b32_e32 v24, v22
	s_xor_b32 exec_lo, exec_lo, s8
	s_cbranch_execz .LBB167_82
; %bb.81:
	ds_read_b64 v[24:25], v26 offset:8
	s_waitcnt lgkmcnt(1)
	v_mov_b32_e32 v6, v20
	v_mov_b32_e32 v7, v21
.LBB167_82:
	s_or_b32 exec_lo, exec_lo, s8
	v_add_nc_u32_e32 v26, 1, v59
	v_add_nc_u32_e32 v27, 1, v58
	s_waitcnt lgkmcnt(0)
	v_cmp_lt_i64_e64 s8, v[24:25], v[6:7]
	v_cndmask_b32_e64 v60, v26, v59, s7
	v_cndmask_b32_e64 v61, v58, v27, s7
                                        ; implicit-def: $vgpr26_vgpr27
	v_cmp_ge_i32_e64 s9, v60, v56
	v_cmp_lt_i32_e64 s10, v61, v57
	s_or_b32 s8, s9, s8
	s_and_b32 s8, s10, s8
	s_xor_b32 s9, s8, -1
	s_and_saveexec_b32 s10, s9
	s_xor_b32 s9, exec_lo, s10
; %bb.83:
	v_lshl_add_u32 v26, v60, 3, v53
	ds_read_b64 v[26:27], v26 offset:8
; %bb.84:
	s_or_saveexec_b32 s9, s9
	v_mov_b32_e32 v29, v25
	v_mov_b32_e32 v28, v24
	s_xor_b32 exec_lo, exec_lo, s9
	s_cbranch_execz .LBB167_86
; %bb.85:
	s_waitcnt lgkmcnt(0)
	v_lshl_add_u32 v26, v61, 3, v53
	ds_read_b64 v[28:29], v26 offset:8
	v_mov_b32_e32 v27, v7
	v_mov_b32_e32 v26, v6
.LBB167_86:
	s_or_b32 exec_lo, exec_lo, s9
	v_add_nc_u32_e32 v30, 1, v60
	v_add_nc_u32_e32 v31, 1, v61
	s_waitcnt lgkmcnt(0)
	v_cmp_lt_i64_e64 s9, v[28:29], v[26:27]
	v_cndmask_b32_e64 v62, v30, v60, s8
	v_cndmask_b32_e64 v63, v61, v31, s8
                                        ; implicit-def: $vgpr30_vgpr31
	v_cmp_ge_i32_e64 s10, v62, v56
	v_cmp_lt_i32_e64 s11, v63, v57
	s_or_b32 s9, s10, s9
	s_and_b32 s9, s11, s9
	s_xor_b32 s10, s9, -1
	s_and_saveexec_b32 s11, s10
	s_xor_b32 s10, exec_lo, s11
; %bb.87:
	v_lshl_add_u32 v30, v62, 3, v53
	ds_read_b64 v[30:31], v30 offset:8
; %bb.88:
	s_or_saveexec_b32 s10, s10
	v_mov_b32_e32 v33, v29
	v_mov_b32_e32 v32, v28
	s_xor_b32 exec_lo, exec_lo, s10
	s_cbranch_execz .LBB167_90
; %bb.89:
	s_waitcnt lgkmcnt(0)
	v_lshl_add_u32 v30, v63, 3, v53
	ds_read_b64 v[32:33], v30 offset:8
	v_mov_b32_e32 v31, v27
	v_mov_b32_e32 v30, v26
.LBB167_90:
	s_or_b32 exec_lo, exec_lo, s10
	v_add_nc_u32_e32 v34, 1, v62
	v_add_nc_u32_e32 v35, 1, v63
	s_waitcnt lgkmcnt(0)
	v_cmp_lt_i64_e64 s10, v[32:33], v[30:31]
                                        ; implicit-def: $vgpr36_vgpr37
	v_cndmask_b32_e64 v64, v34, v62, s9
	v_cndmask_b32_e64 v65, v63, v35, s9
	v_cmp_ge_i32_e64 s11, v64, v56
	v_cmp_lt_i32_e64 s12, v65, v57
	s_or_b32 s10, s11, s10
	s_and_b32 s10, s12, s10
	s_xor_b32 s11, s10, -1
	s_and_saveexec_b32 s12, s11
	s_xor_b32 s11, exec_lo, s12
; %bb.91:
	v_lshl_add_u32 v34, v64, 3, v53
	ds_read_b64 v[36:37], v34 offset:8
; %bb.92:
	s_or_saveexec_b32 s11, s11
	v_mov_b32_e32 v41, v33
	v_mov_b32_e32 v40, v32
	s_xor_b32 exec_lo, exec_lo, s11
	s_cbranch_execz .LBB167_94
; %bb.93:
	v_lshl_add_u32 v34, v65, 3, v53
	s_waitcnt lgkmcnt(0)
	v_mov_b32_e32 v37, v31
	v_mov_b32_e32 v36, v30
	ds_read_b64 v[40:41], v34 offset:8
.LBB167_94:
	s_or_b32 exec_lo, exec_lo, s11
	v_add_nc_u32_e32 v34, 1, v64
	v_add_nc_u32_e32 v35, 1, v65
	s_waitcnt lgkmcnt(0)
	v_cmp_lt_i64_e64 s11, v[40:41], v[36:37]
                                        ; implicit-def: $vgpr42_vgpr43
	v_cndmask_b32_e64 v66, v34, v64, s10
	v_cndmask_b32_e64 v67, v65, v35, s10
	v_cmp_ge_i32_e64 s12, v66, v56
	v_cmp_lt_i32_e64 s13, v67, v57
	s_or_b32 s11, s12, s11
	s_and_b32 s11, s13, s11
	s_xor_b32 s12, s11, -1
	s_and_saveexec_b32 s13, s12
	s_xor_b32 s12, exec_lo, s13
; %bb.95:
	v_lshl_add_u32 v34, v66, 3, v53
	ds_read_b64 v[42:43], v34 offset:8
; %bb.96:
	s_or_saveexec_b32 s12, s12
	v_mov_b32_e32 v45, v41
	v_mov_b32_e32 v44, v40
	s_xor_b32 exec_lo, exec_lo, s12
	s_cbranch_execz .LBB167_98
; %bb.97:
	v_lshl_add_u32 v34, v67, 3, v53
	s_waitcnt lgkmcnt(0)
	v_mov_b32_e32 v43, v37
	v_mov_b32_e32 v42, v36
	ds_read_b64 v[44:45], v34 offset:8
.LBB167_98:
	s_or_b32 exec_lo, exec_lo, s12
	v_add_nc_u32_e32 v34, 1, v66
	v_add_nc_u32_e32 v35, 1, v67
	s_waitcnt lgkmcnt(0)
	v_cmp_lt_i64_e64 s12, v[44:45], v[42:43]
                                        ; implicit-def: $vgpr46_vgpr47
	v_cndmask_b32_e64 v68, v34, v66, s11
	v_cndmask_b32_e64 v69, v67, v35, s11
	v_cmp_ge_i32_e64 s13, v68, v56
	v_cmp_lt_i32_e64 s14, v69, v57
	s_or_b32 s12, s13, s12
	s_and_b32 s12, s14, s12
	s_xor_b32 s13, s12, -1
	s_and_saveexec_b32 s14, s13
	s_xor_b32 s13, exec_lo, s14
; %bb.99:
	v_lshl_add_u32 v34, v68, 3, v53
	ds_read_b64 v[46:47], v34 offset:8
; %bb.100:
	s_or_saveexec_b32 s13, s13
	v_mov_b32_e32 v49, v45
	v_mov_b32_e32 v48, v44
	s_xor_b32 exec_lo, exec_lo, s13
	s_cbranch_execz .LBB167_102
; %bb.101:
	v_lshl_add_u32 v34, v69, 3, v53
	s_waitcnt lgkmcnt(0)
	v_mov_b32_e32 v47, v43
	v_mov_b32_e32 v46, v42
	ds_read_b64 v[48:49], v34 offset:8
.LBB167_102:
	s_or_b32 exec_lo, exec_lo, s13
	v_add_nc_u32_e32 v34, 1, v68
	v_add_nc_u32_e32 v35, 1, v69
	s_waitcnt lgkmcnt(0)
	v_cmp_lt_i64_e64 s13, v[48:49], v[46:47]
	v_cndmask_b32_e64 v70, v34, v68, s12
	v_cndmask_b32_e64 v71, v69, v35, s12
                                        ; implicit-def: $vgpr34_vgpr35
	v_cmp_ge_i32_e64 s14, v70, v56
	v_cmp_lt_i32_e64 s15, v71, v57
	s_or_b32 s13, s14, s13
	s_and_b32 s13, s15, s13
	s_xor_b32 s14, s13, -1
	s_and_saveexec_b32 s15, s14
	s_xor_b32 s14, exec_lo, s15
; %bb.103:
	v_lshl_add_u32 v34, v70, 3, v53
	ds_read_b64 v[34:35], v34 offset:8
; %bb.104:
	s_or_saveexec_b32 s14, s14
	v_mov_b32_e32 v38, v48
	v_mov_b32_e32 v39, v49
	s_xor_b32 exec_lo, exec_lo, s14
	s_cbranch_execz .LBB167_106
; %bb.105:
	s_waitcnt lgkmcnt(0)
	v_lshl_add_u32 v34, v71, 3, v53
	ds_read_b64 v[38:39], v34 offset:8
	v_mov_b32_e32 v34, v46
	v_mov_b32_e32 v35, v47
.LBB167_106:
	s_or_b32 exec_lo, exec_lo, s14
	v_add_nc_u32_e32 v73, 1, v70
	v_cndmask_b32_e64 v27, v27, v29, s9
	v_cndmask_b32_e64 v29, v7, v25, s8
	v_and_b32_e32 v7, 0x60, v55
	v_add_nc_u32_e32 v72, 1, v71
	v_cndmask_b32_e64 v47, v47, v49, s13
	v_cndmask_b32_e64 v49, v73, v70, s13
	;; [unrolled: 1-line block ×4, first 2 shown]
	v_min_i32_e32 v24, v51, v7
	v_cndmask_b32_e64 v46, v46, v48, s13
	v_cndmask_b32_e64 v48, v71, v72, s13
	;; [unrolled: 1-line block ×4, first 2 shown]
	s_waitcnt lgkmcnt(0)
	v_cmp_lt_i64_e64 s9, v[38:39], v[34:35]
	v_cndmask_b32_e64 v31, v31, v33, s10
	v_cndmask_b32_e64 v30, v30, v32, s10
	;; [unrolled: 1-line block ×3, first 2 shown]
	v_cmp_ge_i32_e64 s10, v49, v56
	; wave barrier
	ds_write2_b64 v54, v[2:3], v[8:9] offset1:1
	ds_write2_b64 v54, v[10:11], v[12:13] offset0:2 offset1:3
	v_add_nc_u32_e32 v2, 16, v24
	v_cndmask_b32_e64 v36, v36, v40, s11
	v_cndmask_b32_e64 v40, v66, v67, s11
	v_cmp_lt_i32_e64 s11, v48, v57
	v_cndmask_b32_e64 v6, v60, v61, s8
	s_or_b32 s8, s10, s9
	v_cndmask_b32_e64 v25, v59, v58, s7
	v_min_i32_e32 v56, v51, v2
	v_cndmask_b32_e64 v42, v42, v44, s12
	v_cndmask_b32_e64 v44, v68, v69, s12
	s_and_b32 s8, s11, s8
	v_cndmask_b32_e64 v70, v70, v71, s13
	v_cndmask_b32_e64 v33, v35, v39, s8
	;; [unrolled: 1-line block ×3, first 2 shown]
	v_lshl_add_u32 v2, v25, 3, v53
	v_add_nc_u32_e32 v10, 16, v56
	v_lshl_add_u32 v11, v40, 3, v53
	v_and_b32_e32 v12, 24, v55
	ds_write2_b64 v54, v[14:15], v[18:19] offset0:4 offset1:5
	ds_write2_b64 v54, v[4:5], v[16:17] offset0:6 offset1:7
	v_lshl_add_u32 v4, v6, 3, v53
	v_lshl_add_u32 v13, v44, 3, v53
	;; [unrolled: 1-line block ×6, first 2 shown]
	; wave barrier
	ds_read_b64 v[2:3], v2
	ds_read_b64 v[6:7], v4
	;; [unrolled: 1-line block ×4, first 2 shown]
	v_min_i32_e32 v57, v51, v10
	v_min_i32_e32 v18, v51, v12
	ds_read_b64 v[10:11], v11
	ds_read_b64 v[14:15], v13
	;; [unrolled: 1-line block ×4, first 2 shown]
	v_cndmask_b32_e64 v40, v21, v23, s7
	v_cndmask_b32_e64 v39, v20, v22, s7
	v_sub_nc_u32_e32 v19, v57, v56
	v_sub_nc_u32_e32 v21, v56, v24
	v_cndmask_b32_e64 v32, v34, v38, s8
	v_cndmask_b32_e64 v43, v43, v45, s12
	s_mov_b32 s9, 0
	v_sub_nc_u32_e32 v20, v18, v19
	v_cmp_ge_i32_e64 s7, v18, v19
	v_lshl_add_u32 v19, v24, 3, v53
	s_mov_b32 s8, exec_lo
	; wave barrier
	v_cndmask_b32_e64 v22, 0, v20, s7
	v_min_i32_e32 v20, v18, v21
	ds_write2_b64 v54, v[39:40], v[28:29] offset1:1
	ds_write2_b64 v54, v[26:27], v[30:31] offset0:2 offset1:3
	ds_write2_b64 v54, v[36:37], v[42:43] offset0:4 offset1:5
	;; [unrolled: 1-line block ×3, first 2 shown]
	; wave barrier
	v_cmpx_lt_i32_e64 v22, v20
	s_cbranch_execz .LBB167_110
; %bb.107:
	v_lshlrev_b32_e32 v21, 3, v56
	v_lshlrev_b32_e32 v23, 3, v18
	v_add3_u32 v21, v53, v21, v23
	.p2align	6
.LBB167_108:                            ; =>This Inner Loop Header: Depth=1
	v_sub_nc_u32_e32 v23, v20, v22
	v_lshrrev_b32_e32 v23, 1, v23
	v_add_nc_u32_e32 v23, v23, v22
	v_not_b32_e32 v25, v23
	v_lshl_add_u32 v26, v23, 3, v19
	v_lshl_add_u32 v27, v25, 3, v21
	ds_read_b64 v[25:26], v26
	ds_read_b64 v[27:28], v27
	s_waitcnt lgkmcnt(0)
	v_cmp_lt_i64_e64 s7, v[27:28], v[25:26]
	v_add_nc_u32_e32 v25, 1, v23
	v_cndmask_b32_e64 v20, v20, v23, s7
	v_cndmask_b32_e64 v22, v25, v22, s7
	v_cmp_ge_i32_e64 s7, v22, v20
	s_or_b32 s9, s7, s9
	s_andn2_b32 exec_lo, exec_lo, s9
	s_cbranch_execnz .LBB167_108
; %bb.109:
	s_or_b32 exec_lo, exec_lo, s9
.LBB167_110:
	s_or_b32 exec_lo, exec_lo, s8
	v_add_nc_u32_e32 v18, v56, v18
	v_lshl_add_u32 v25, v22, 3, v19
	v_add_nc_u32_e32 v59, v22, v24
	v_sub_nc_u32_e32 v58, v18, v22
                                        ; implicit-def: $vgpr22_vgpr23
	v_cmp_le_i32_e64 s8, v56, v59
	v_lshl_add_u32 v26, v58, 3, v53
	v_cmp_gt_i32_e64 s9, v57, v58
	ds_read_b64 v[18:19], v25
	ds_read_b64 v[20:21], v26
	s_waitcnt lgkmcnt(0)
	v_cmp_lt_i64_e64 s7, v[20:21], v[18:19]
	s_or_b32 s7, s8, s7
	s_and_b32 s7, s9, s7
	s_xor_b32 s8, s7, -1
	s_and_saveexec_b32 s9, s8
	s_xor_b32 s8, exec_lo, s9
; %bb.111:
	ds_read_b64 v[22:23], v25 offset:8
                                        ; implicit-def: $vgpr26
; %bb.112:
	s_or_saveexec_b32 s8, s8
	v_mov_b32_e32 v25, v21
	v_mov_b32_e32 v24, v20
	s_xor_b32 exec_lo, exec_lo, s8
	s_cbranch_execz .LBB167_114
; %bb.113:
	ds_read_b64 v[24:25], v26 offset:8
	s_waitcnt lgkmcnt(1)
	v_mov_b32_e32 v23, v19
	v_mov_b32_e32 v22, v18
.LBB167_114:
	s_or_b32 exec_lo, exec_lo, s8
	v_add_nc_u32_e32 v26, 1, v59
	v_add_nc_u32_e32 v27, 1, v58
	s_waitcnt lgkmcnt(0)
	v_cmp_lt_i64_e64 s8, v[24:25], v[22:23]
	v_cndmask_b32_e64 v60, v26, v59, s7
	v_cndmask_b32_e64 v61, v58, v27, s7
                                        ; implicit-def: $vgpr26_vgpr27
	v_cmp_ge_i32_e64 s9, v60, v56
	v_cmp_lt_i32_e64 s10, v61, v57
	s_or_b32 s8, s9, s8
	s_and_b32 s8, s10, s8
	s_xor_b32 s9, s8, -1
	s_and_saveexec_b32 s10, s9
	s_xor_b32 s9, exec_lo, s10
; %bb.115:
	v_lshl_add_u32 v26, v60, 3, v53
	ds_read_b64 v[26:27], v26 offset:8
; %bb.116:
	s_or_saveexec_b32 s9, s9
	v_mov_b32_e32 v29, v25
	v_mov_b32_e32 v28, v24
	s_xor_b32 exec_lo, exec_lo, s9
	s_cbranch_execz .LBB167_118
; %bb.117:
	s_waitcnt lgkmcnt(0)
	v_lshl_add_u32 v26, v61, 3, v53
	ds_read_b64 v[28:29], v26 offset:8
	v_mov_b32_e32 v27, v23
	v_mov_b32_e32 v26, v22
.LBB167_118:
	s_or_b32 exec_lo, exec_lo, s9
	v_add_nc_u32_e32 v30, 1, v60
	v_add_nc_u32_e32 v31, 1, v61
	s_waitcnt lgkmcnt(0)
	v_cmp_lt_i64_e64 s9, v[28:29], v[26:27]
	v_cndmask_b32_e64 v62, v30, v60, s8
	v_cndmask_b32_e64 v63, v61, v31, s8
                                        ; implicit-def: $vgpr30_vgpr31
	v_cmp_ge_i32_e64 s10, v62, v56
	v_cmp_lt_i32_e64 s11, v63, v57
	s_or_b32 s9, s10, s9
	s_and_b32 s9, s11, s9
	s_xor_b32 s10, s9, -1
	s_and_saveexec_b32 s11, s10
	s_xor_b32 s10, exec_lo, s11
; %bb.119:
	v_lshl_add_u32 v30, v62, 3, v53
	ds_read_b64 v[30:31], v30 offset:8
; %bb.120:
	s_or_saveexec_b32 s10, s10
	v_mov_b32_e32 v33, v29
	v_mov_b32_e32 v32, v28
	s_xor_b32 exec_lo, exec_lo, s10
	s_cbranch_execz .LBB167_122
; %bb.121:
	s_waitcnt lgkmcnt(0)
	v_lshl_add_u32 v30, v63, 3, v53
	ds_read_b64 v[32:33], v30 offset:8
	v_mov_b32_e32 v31, v27
	v_mov_b32_e32 v30, v26
.LBB167_122:
	s_or_b32 exec_lo, exec_lo, s10
	v_add_nc_u32_e32 v34, 1, v62
	v_add_nc_u32_e32 v35, 1, v63
	s_waitcnt lgkmcnt(0)
	v_cmp_lt_i64_e64 s10, v[32:33], v[30:31]
                                        ; implicit-def: $vgpr36_vgpr37
	v_cndmask_b32_e64 v64, v34, v62, s9
	v_cndmask_b32_e64 v65, v63, v35, s9
	v_cmp_ge_i32_e64 s11, v64, v56
	v_cmp_lt_i32_e64 s12, v65, v57
	s_or_b32 s10, s11, s10
	s_and_b32 s10, s12, s10
	s_xor_b32 s11, s10, -1
	s_and_saveexec_b32 s12, s11
	s_xor_b32 s11, exec_lo, s12
; %bb.123:
	v_lshl_add_u32 v34, v64, 3, v53
	ds_read_b64 v[36:37], v34 offset:8
; %bb.124:
	s_or_saveexec_b32 s11, s11
	v_mov_b32_e32 v41, v33
	v_mov_b32_e32 v40, v32
	s_xor_b32 exec_lo, exec_lo, s11
	s_cbranch_execz .LBB167_126
; %bb.125:
	v_lshl_add_u32 v34, v65, 3, v53
	s_waitcnt lgkmcnt(0)
	v_mov_b32_e32 v37, v31
	v_mov_b32_e32 v36, v30
	ds_read_b64 v[40:41], v34 offset:8
.LBB167_126:
	s_or_b32 exec_lo, exec_lo, s11
	v_add_nc_u32_e32 v34, 1, v64
	v_add_nc_u32_e32 v35, 1, v65
	s_waitcnt lgkmcnt(0)
	v_cmp_lt_i64_e64 s11, v[40:41], v[36:37]
                                        ; implicit-def: $vgpr42_vgpr43
	v_cndmask_b32_e64 v66, v34, v64, s10
	v_cndmask_b32_e64 v67, v65, v35, s10
	v_cmp_ge_i32_e64 s12, v66, v56
	v_cmp_lt_i32_e64 s13, v67, v57
	s_or_b32 s11, s12, s11
	s_and_b32 s11, s13, s11
	s_xor_b32 s12, s11, -1
	s_and_saveexec_b32 s13, s12
	s_xor_b32 s12, exec_lo, s13
; %bb.127:
	v_lshl_add_u32 v34, v66, 3, v53
	ds_read_b64 v[42:43], v34 offset:8
; %bb.128:
	s_or_saveexec_b32 s12, s12
	v_mov_b32_e32 v45, v41
	v_mov_b32_e32 v44, v40
	s_xor_b32 exec_lo, exec_lo, s12
	s_cbranch_execz .LBB167_130
; %bb.129:
	v_lshl_add_u32 v34, v67, 3, v53
	s_waitcnt lgkmcnt(0)
	v_mov_b32_e32 v43, v37
	v_mov_b32_e32 v42, v36
	ds_read_b64 v[44:45], v34 offset:8
.LBB167_130:
	s_or_b32 exec_lo, exec_lo, s12
	v_add_nc_u32_e32 v34, 1, v66
	v_add_nc_u32_e32 v35, 1, v67
	s_waitcnt lgkmcnt(0)
	v_cmp_lt_i64_e64 s12, v[44:45], v[42:43]
                                        ; implicit-def: $vgpr46_vgpr47
	v_cndmask_b32_e64 v68, v34, v66, s11
	v_cndmask_b32_e64 v69, v67, v35, s11
	v_cmp_ge_i32_e64 s13, v68, v56
	v_cmp_lt_i32_e64 s14, v69, v57
	s_or_b32 s12, s13, s12
	s_and_b32 s12, s14, s12
	s_xor_b32 s13, s12, -1
	s_and_saveexec_b32 s14, s13
	s_xor_b32 s13, exec_lo, s14
; %bb.131:
	v_lshl_add_u32 v34, v68, 3, v53
	ds_read_b64 v[46:47], v34 offset:8
; %bb.132:
	s_or_saveexec_b32 s13, s13
	v_mov_b32_e32 v49, v45
	v_mov_b32_e32 v48, v44
	s_xor_b32 exec_lo, exec_lo, s13
	s_cbranch_execz .LBB167_134
; %bb.133:
	v_lshl_add_u32 v34, v69, 3, v53
	s_waitcnt lgkmcnt(0)
	v_mov_b32_e32 v47, v43
	v_mov_b32_e32 v46, v42
	ds_read_b64 v[48:49], v34 offset:8
.LBB167_134:
	s_or_b32 exec_lo, exec_lo, s13
	v_add_nc_u32_e32 v34, 1, v68
	v_add_nc_u32_e32 v35, 1, v69
	s_waitcnt lgkmcnt(0)
	v_cmp_lt_i64_e64 s13, v[48:49], v[46:47]
	v_cndmask_b32_e64 v70, v34, v68, s12
	v_cndmask_b32_e64 v71, v69, v35, s12
                                        ; implicit-def: $vgpr34_vgpr35
	v_cmp_ge_i32_e64 s14, v70, v56
	v_cmp_lt_i32_e64 s15, v71, v57
	s_or_b32 s13, s14, s13
	s_and_b32 s13, s15, s13
	s_xor_b32 s14, s13, -1
	s_and_saveexec_b32 s15, s14
	s_xor_b32 s14, exec_lo, s15
; %bb.135:
	v_lshl_add_u32 v34, v70, 3, v53
	ds_read_b64 v[34:35], v34 offset:8
; %bb.136:
	s_or_saveexec_b32 s14, s14
	v_mov_b32_e32 v38, v48
	v_mov_b32_e32 v39, v49
	s_xor_b32 exec_lo, exec_lo, s14
	s_cbranch_execz .LBB167_138
; %bb.137:
	s_waitcnt lgkmcnt(0)
	v_lshl_add_u32 v34, v71, 3, v53
	ds_read_b64 v[38:39], v34 offset:8
	v_mov_b32_e32 v34, v46
	v_mov_b32_e32 v35, v47
.LBB167_138:
	s_or_b32 exec_lo, exec_lo, s14
	v_add_nc_u32_e32 v73, 1, v70
	v_cndmask_b32_e64 v26, v26, v28, s9
	v_cndmask_b32_e64 v28, v22, v24, s8
	v_and_b32_e32 v22, 64, v55
	v_add_nc_u32_e32 v72, 1, v71
	v_cndmask_b32_e64 v47, v47, v49, s13
	v_cndmask_b32_e64 v49, v73, v70, s13
	;; [unrolled: 1-line block ×3, first 2 shown]
	v_min_i32_e32 v22, v51, v22
	v_cndmask_b32_e64 v48, v71, v72, s13
	v_cndmask_b32_e64 v37, v37, v41, s11
	;; [unrolled: 1-line block ×4, first 2 shown]
	s_waitcnt lgkmcnt(0)
	v_cmp_lt_i64_e64 s9, v[38:39], v[34:35]
	v_cndmask_b32_e64 v31, v31, v33, s10
	v_cndmask_b32_e64 v30, v30, v32, s10
	;; [unrolled: 1-line block ×3, first 2 shown]
	v_cmp_ge_i32_e64 s10, v49, v56
	; wave barrier
	ds_write2_b64 v54, v[2:3], v[6:7] offset1:1
	ds_write2_b64 v54, v[4:5], v[8:9] offset0:2 offset1:3
	v_add_nc_u32_e32 v2, 32, v22
	v_cndmask_b32_e64 v36, v36, v40, s11
	v_cndmask_b32_e64 v40, v66, v67, s11
	v_cmp_lt_i32_e64 s11, v48, v57
	v_cndmask_b32_e64 v29, v23, v25, s8
	v_cndmask_b32_e64 v23, v60, v61, s8
	s_or_b32 s8, s10, s9
	v_cndmask_b32_e64 v24, v59, v58, s7
	v_min_i32_e32 v56, v51, v2
	v_cndmask_b32_e64 v42, v42, v44, s12
	v_cndmask_b32_e64 v44, v68, v69, s12
	s_and_b32 s8, s11, s8
	v_cndmask_b32_e64 v70, v70, v71, s13
	v_cndmask_b32_e64 v25, v49, v48, s8
	ds_write2_b64 v54, v[10:11], v[14:15] offset0:4 offset1:5
	ds_write2_b64 v54, v[12:13], v[16:17] offset0:6 offset1:7
	v_lshl_add_u32 v2, v24, 3, v53
	v_add_nc_u32_e32 v10, 32, v56
	v_lshl_add_u32 v11, v40, 3, v53
	v_and_b32_e32 v12, 56, v55
	v_lshl_add_u32 v4, v23, 3, v53
	v_lshl_add_u32 v13, v44, 3, v53
	;; [unrolled: 1-line block ×6, first 2 shown]
	; wave barrier
	ds_read_b64 v[2:3], v2
	ds_read_b64 v[6:7], v4
	;; [unrolled: 1-line block ×4, first 2 shown]
	v_min_i32_e32 v55, v51, v10
	v_min_i32_e32 v23, v51, v12
	ds_read_b64 v[10:11], v11
	ds_read_b64 v[14:15], v13
	;; [unrolled: 1-line block ×4, first 2 shown]
	v_cndmask_b32_e64 v21, v19, v21, s7
	v_cndmask_b32_e64 v20, v18, v20, s7
	v_sub_nc_u32_e32 v24, v55, v56
	v_sub_nc_u32_e32 v19, v56, v22
	v_cndmask_b32_e64 v33, v35, v39, s8
	v_cndmask_b32_e64 v32, v34, v38, s8
	v_cndmask_b32_e64 v43, v43, v45, s12
	v_sub_nc_u32_e32 v18, v23, v24
	v_cmp_ge_i32_e64 s7, v23, v24
	v_min_i32_e32 v19, v23, v19
	s_mov_b32 s9, 0
	s_mov_b32 s8, exec_lo
	v_cndmask_b32_e64 v24, 0, v18, s7
	v_lshl_add_u32 v18, v22, 3, v53
	; wave barrier
	ds_write2_b64 v54, v[20:21], v[28:29] offset1:1
	ds_write2_b64 v54, v[26:27], v[30:31] offset0:2 offset1:3
	ds_write2_b64 v54, v[36:37], v[42:43] offset0:4 offset1:5
	ds_write2_b64 v54, v[46:47], v[32:33] offset0:6 offset1:7
	; wave barrier
	v_cmpx_lt_i32_e64 v24, v19
	s_cbranch_execz .LBB167_142
; %bb.139:
	v_lshlrev_b32_e32 v20, 3, v56
	v_lshlrev_b32_e32 v21, 3, v23
	v_add3_u32 v20, v53, v20, v21
	.p2align	6
.LBB167_140:                            ; =>This Inner Loop Header: Depth=1
	v_sub_nc_u32_e32 v21, v19, v24
	v_lshrrev_b32_e32 v21, 1, v21
	v_add_nc_u32_e32 v21, v21, v24
	v_not_b32_e32 v25, v21
	v_lshl_add_u32 v26, v21, 3, v18
	v_lshl_add_u32 v27, v25, 3, v20
	ds_read_b64 v[25:26], v26
	ds_read_b64 v[27:28], v27
	s_waitcnt lgkmcnt(0)
	v_cmp_lt_i64_e64 s7, v[27:28], v[25:26]
	v_add_nc_u32_e32 v25, 1, v21
	v_cndmask_b32_e64 v19, v19, v21, s7
	v_cndmask_b32_e64 v24, v25, v24, s7
	v_cmp_ge_i32_e64 s7, v24, v19
	s_or_b32 s9, s7, s9
	s_andn2_b32 exec_lo, exec_lo, s9
	s_cbranch_execnz .LBB167_140
; %bb.141:
	s_or_b32 exec_lo, exec_lo, s9
.LBB167_142:
	s_or_b32 exec_lo, exec_lo, s8
	v_add_nc_u32_e32 v19, v56, v23
	v_lshl_add_u32 v25, v24, 3, v18
	v_add_nc_u32_e32 v58, v24, v22
                                        ; implicit-def: $vgpr22_vgpr23
	v_sub_nc_u32_e32 v57, v19, v24
	v_cmp_le_i32_e64 s8, v56, v58
	v_lshl_add_u32 v26, v57, 3, v53
	v_cmp_gt_i32_e64 s9, v55, v57
	ds_read_b64 v[18:19], v25
	ds_read_b64 v[20:21], v26
	s_waitcnt lgkmcnt(0)
	v_cmp_lt_i64_e64 s7, v[20:21], v[18:19]
	s_or_b32 s7, s8, s7
	s_and_b32 s7, s9, s7
	s_xor_b32 s8, s7, -1
	s_and_saveexec_b32 s9, s8
	s_xor_b32 s8, exec_lo, s9
; %bb.143:
	ds_read_b64 v[22:23], v25 offset:8
                                        ; implicit-def: $vgpr26
; %bb.144:
	s_or_saveexec_b32 s8, s8
	v_mov_b32_e32 v25, v21
	v_mov_b32_e32 v24, v20
	s_xor_b32 exec_lo, exec_lo, s8
	s_cbranch_execz .LBB167_146
; %bb.145:
	ds_read_b64 v[24:25], v26 offset:8
	s_waitcnt lgkmcnt(1)
	v_mov_b32_e32 v23, v19
	v_mov_b32_e32 v22, v18
.LBB167_146:
	s_or_b32 exec_lo, exec_lo, s8
	v_add_nc_u32_e32 v26, 1, v58
	v_add_nc_u32_e32 v27, 1, v57
	s_waitcnt lgkmcnt(0)
	v_cmp_lt_i64_e64 s8, v[24:25], v[22:23]
	v_cndmask_b32_e64 v59, v26, v58, s7
	v_cndmask_b32_e64 v60, v57, v27, s7
                                        ; implicit-def: $vgpr26_vgpr27
	v_cmp_ge_i32_e64 s9, v59, v56
	v_cmp_lt_i32_e64 s10, v60, v55
	s_or_b32 s8, s9, s8
	s_and_b32 s8, s10, s8
	s_xor_b32 s9, s8, -1
	s_and_saveexec_b32 s10, s9
	s_xor_b32 s9, exec_lo, s10
; %bb.147:
	v_lshl_add_u32 v26, v59, 3, v53
	ds_read_b64 v[26:27], v26 offset:8
; %bb.148:
	s_or_saveexec_b32 s9, s9
	v_mov_b32_e32 v29, v25
	v_mov_b32_e32 v28, v24
	s_xor_b32 exec_lo, exec_lo, s9
	s_cbranch_execz .LBB167_150
; %bb.149:
	s_waitcnt lgkmcnt(0)
	v_lshl_add_u32 v26, v60, 3, v53
	ds_read_b64 v[28:29], v26 offset:8
	v_mov_b32_e32 v27, v23
	v_mov_b32_e32 v26, v22
.LBB167_150:
	s_or_b32 exec_lo, exec_lo, s9
	v_add_nc_u32_e32 v30, 1, v59
	v_add_nc_u32_e32 v31, 1, v60
	s_waitcnt lgkmcnt(0)
	v_cmp_lt_i64_e64 s9, v[28:29], v[26:27]
	v_cndmask_b32_e64 v61, v30, v59, s8
	v_cndmask_b32_e64 v62, v60, v31, s8
                                        ; implicit-def: $vgpr30_vgpr31
	v_cmp_ge_i32_e64 s10, v61, v56
	v_cmp_lt_i32_e64 s11, v62, v55
	s_or_b32 s9, s10, s9
	s_and_b32 s9, s11, s9
	s_xor_b32 s10, s9, -1
	s_and_saveexec_b32 s11, s10
	s_xor_b32 s10, exec_lo, s11
; %bb.151:
	v_lshl_add_u32 v30, v61, 3, v53
	ds_read_b64 v[30:31], v30 offset:8
; %bb.152:
	s_or_saveexec_b32 s10, s10
	v_mov_b32_e32 v33, v29
	v_mov_b32_e32 v32, v28
	s_xor_b32 exec_lo, exec_lo, s10
	s_cbranch_execz .LBB167_154
; %bb.153:
	s_waitcnt lgkmcnt(0)
	v_lshl_add_u32 v30, v62, 3, v53
	ds_read_b64 v[32:33], v30 offset:8
	v_mov_b32_e32 v31, v27
	v_mov_b32_e32 v30, v26
.LBB167_154:
	s_or_b32 exec_lo, exec_lo, s10
	v_add_nc_u32_e32 v34, 1, v61
	v_add_nc_u32_e32 v35, 1, v62
	s_waitcnt lgkmcnt(0)
	v_cmp_lt_i64_e64 s10, v[32:33], v[30:31]
                                        ; implicit-def: $vgpr36_vgpr37
	v_cndmask_b32_e64 v63, v34, v61, s9
	v_cndmask_b32_e64 v64, v62, v35, s9
	v_cmp_ge_i32_e64 s11, v63, v56
	v_cmp_lt_i32_e64 s12, v64, v55
	s_or_b32 s10, s11, s10
	s_and_b32 s10, s12, s10
	s_xor_b32 s11, s10, -1
	s_and_saveexec_b32 s12, s11
	s_xor_b32 s11, exec_lo, s12
; %bb.155:
	v_lshl_add_u32 v34, v63, 3, v53
	ds_read_b64 v[36:37], v34 offset:8
; %bb.156:
	s_or_saveexec_b32 s11, s11
	v_mov_b32_e32 v41, v33
	v_mov_b32_e32 v40, v32
	s_xor_b32 exec_lo, exec_lo, s11
	s_cbranch_execz .LBB167_158
; %bb.157:
	v_lshl_add_u32 v34, v64, 3, v53
	s_waitcnt lgkmcnt(0)
	v_mov_b32_e32 v37, v31
	v_mov_b32_e32 v36, v30
	ds_read_b64 v[40:41], v34 offset:8
.LBB167_158:
	s_or_b32 exec_lo, exec_lo, s11
	v_add_nc_u32_e32 v34, 1, v63
	v_add_nc_u32_e32 v35, 1, v64
	s_waitcnt lgkmcnt(0)
	v_cmp_lt_i64_e64 s11, v[40:41], v[36:37]
                                        ; implicit-def: $vgpr42_vgpr43
	v_cndmask_b32_e64 v65, v34, v63, s10
	v_cndmask_b32_e64 v66, v64, v35, s10
	v_cmp_ge_i32_e64 s12, v65, v56
	v_cmp_lt_i32_e64 s13, v66, v55
	s_or_b32 s11, s12, s11
	s_and_b32 s11, s13, s11
	s_xor_b32 s12, s11, -1
	s_and_saveexec_b32 s13, s12
	s_xor_b32 s12, exec_lo, s13
; %bb.159:
	v_lshl_add_u32 v34, v65, 3, v53
	ds_read_b64 v[42:43], v34 offset:8
; %bb.160:
	s_or_saveexec_b32 s12, s12
	v_mov_b32_e32 v45, v41
	v_mov_b32_e32 v44, v40
	s_xor_b32 exec_lo, exec_lo, s12
	s_cbranch_execz .LBB167_162
; %bb.161:
	v_lshl_add_u32 v34, v66, 3, v53
	s_waitcnt lgkmcnt(0)
	v_mov_b32_e32 v43, v37
	v_mov_b32_e32 v42, v36
	ds_read_b64 v[44:45], v34 offset:8
.LBB167_162:
	s_or_b32 exec_lo, exec_lo, s12
	v_add_nc_u32_e32 v34, 1, v65
	v_add_nc_u32_e32 v35, 1, v66
	s_waitcnt lgkmcnt(0)
	v_cmp_lt_i64_e64 s12, v[44:45], v[42:43]
                                        ; implicit-def: $vgpr46_vgpr47
	v_cndmask_b32_e64 v67, v34, v65, s11
	v_cndmask_b32_e64 v68, v66, v35, s11
	v_cmp_ge_i32_e64 s13, v67, v56
	v_cmp_lt_i32_e64 s14, v68, v55
	s_or_b32 s12, s13, s12
	s_and_b32 s12, s14, s12
	s_xor_b32 s13, s12, -1
	s_and_saveexec_b32 s14, s13
	s_xor_b32 s13, exec_lo, s14
; %bb.163:
	v_lshl_add_u32 v34, v67, 3, v53
	ds_read_b64 v[46:47], v34 offset:8
; %bb.164:
	s_or_saveexec_b32 s13, s13
	v_mov_b32_e32 v49, v45
	v_mov_b32_e32 v48, v44
	s_xor_b32 exec_lo, exec_lo, s13
	s_cbranch_execz .LBB167_166
; %bb.165:
	v_lshl_add_u32 v34, v68, 3, v53
	s_waitcnt lgkmcnt(0)
	v_mov_b32_e32 v47, v43
	v_mov_b32_e32 v46, v42
	ds_read_b64 v[48:49], v34 offset:8
.LBB167_166:
	s_or_b32 exec_lo, exec_lo, s13
	v_add_nc_u32_e32 v34, 1, v67
	v_add_nc_u32_e32 v35, 1, v68
	s_waitcnt lgkmcnt(0)
	v_cmp_lt_i64_e64 s13, v[48:49], v[46:47]
	v_cndmask_b32_e64 v69, v34, v67, s12
	v_cndmask_b32_e64 v70, v68, v35, s12
                                        ; implicit-def: $vgpr34_vgpr35
	v_cmp_ge_i32_e64 s14, v69, v56
	v_cmp_lt_i32_e64 s15, v70, v55
	s_or_b32 s13, s14, s13
	s_and_b32 s13, s15, s13
	s_xor_b32 s14, s13, -1
	s_and_saveexec_b32 s15, s14
	s_xor_b32 s14, exec_lo, s15
; %bb.167:
	v_lshl_add_u32 v34, v69, 3, v53
	ds_read_b64 v[34:35], v34 offset:8
; %bb.168:
	s_or_saveexec_b32 s14, s14
	v_mov_b32_e32 v38, v48
	v_mov_b32_e32 v39, v49
	s_xor_b32 exec_lo, exec_lo, s14
	s_cbranch_execz .LBB167_170
; %bb.169:
	s_waitcnt lgkmcnt(0)
	v_lshl_add_u32 v34, v70, 3, v53
	ds_read_b64 v[38:39], v34 offset:8
	v_mov_b32_e32 v34, v46
	v_mov_b32_e32 v35, v47
.LBB167_170:
	s_or_b32 exec_lo, exec_lo, s14
	v_add_nc_u32_e32 v72, 1, v69
	v_add_nc_u32_e32 v71, 1, v70
	v_cndmask_b32_e64 v24, v22, v24, s8
	v_min_i32_e32 v22, 0, v51
	v_cndmask_b32_e64 v47, v47, v49, s13
	v_cndmask_b32_e64 v49, v72, v69, s13
	v_cndmask_b32_e64 v46, v46, v48, s13
	v_cndmask_b32_e64 v48, v70, v71, s13
	; wave barrier
	ds_write2_b64 v54, v[2:3], v[6:7] offset1:1
	ds_write2_b64 v54, v[4:5], v[8:9] offset0:2 offset1:3
	v_add_nc_u32_e32 v2, 64, v22
	v_cndmask_b32_e64 v27, v27, v29, s9
	v_cndmask_b32_e64 v26, v26, v28, s9
	;; [unrolled: 1-line block ×3, first 2 shown]
	s_waitcnt lgkmcnt(2)
	v_cmp_lt_i64_e64 s9, v[38:39], v[34:35]
	v_cndmask_b32_e64 v31, v31, v33, s10
	v_cndmask_b32_e64 v30, v30, v32, s10
	;; [unrolled: 1-line block ×3, first 2 shown]
	v_cmp_ge_i32_e64 s10, v49, v56
	v_cndmask_b32_e64 v37, v37, v41, s11
	v_cndmask_b32_e64 v36, v36, v40, s11
	;; [unrolled: 1-line block ×3, first 2 shown]
	v_cmp_lt_i32_e64 s11, v48, v55
	v_min_i32_e32 v55, v51, v2
	v_cndmask_b32_e64 v25, v23, v25, s8
	v_cndmask_b32_e64 v23, v59, v60, s8
	s_or_b32 s8, s10, s9
	v_cndmask_b32_e64 v33, v58, v57, s7
	v_cndmask_b32_e64 v42, v42, v44, s12
	;; [unrolled: 1-line block ×3, first 2 shown]
	s_and_b32 s8, s11, s8
	v_add_nc_u32_e32 v6, 64, v55
	v_cndmask_b32_e64 v69, v69, v70, s13
	v_cndmask_b32_e64 v29, v35, v39, s8
	;; [unrolled: 1-line block ×3, first 2 shown]
	v_lshl_add_u32 v2, v33, 3, v53
	v_lshl_add_u32 v7, v40, 3, v53
	;; [unrolled: 1-line block ×3, first 2 shown]
	v_min_i32_e32 v56, v51, v6
	v_lshl_add_u32 v6, v44, 3, v53
	ds_write2_b64 v54, v[10:11], v[14:15] offset0:4 offset1:5
	ds_write2_b64 v54, v[12:13], v[16:17] offset0:6 offset1:7
	v_lshl_add_u32 v4, v28, 3, v53
	v_lshl_add_u32 v10, v69, 3, v53
	;; [unrolled: 1-line block ×4, first 2 shown]
	; wave barrier
	ds_read_b64 v[8:9], v2
	ds_read_b64 v[12:13], v3
	;; [unrolled: 1-line block ×8, first 2 shown]
	v_min_i32_e32 v23, v51, v52
	v_sub_nc_u32_e32 v35, v56, v55
	v_cndmask_b32_e64 v33, v19, v21, s7
	v_cndmask_b32_e64 v32, v18, v20, s7
	v_sub_nc_u32_e32 v19, v55, v22
	v_cndmask_b32_e64 v28, v34, v38, s8
	v_sub_nc_u32_e32 v18, v23, v35
	v_cmp_ge_i32_e64 s7, v23, v35
	v_cndmask_b32_e64 v43, v43, v45, s12
	v_min_i32_e32 v20, v23, v19
	v_lshl_add_u32 v19, v22, 3, v53
	s_mov_b32 s9, 0
	v_cndmask_b32_e64 v18, 0, v18, s7
	s_mov_b32 s8, exec_lo
	; wave barrier
	ds_write2_b64 v54, v[32:33], v[24:25] offset1:1
	ds_write2_b64 v54, v[26:27], v[30:31] offset0:2 offset1:3
	ds_write2_b64 v54, v[36:37], v[42:43] offset0:4 offset1:5
	;; [unrolled: 1-line block ×3, first 2 shown]
	; wave barrier
	v_cmpx_lt_i32_e64 v18, v20
	s_cbranch_execz .LBB167_174
; %bb.171:
	v_lshlrev_b32_e32 v21, 3, v55
	v_lshlrev_b32_e32 v24, 3, v23
	v_add3_u32 v21, v53, v21, v24
	.p2align	6
.LBB167_172:                            ; =>This Inner Loop Header: Depth=1
	v_sub_nc_u32_e32 v24, v20, v18
	v_lshrrev_b32_e32 v24, 1, v24
	v_add_nc_u32_e32 v28, v24, v18
	v_not_b32_e32 v24, v28
	v_lshl_add_u32 v25, v28, 3, v19
	v_lshl_add_u32 v26, v24, 3, v21
	ds_read_b64 v[24:25], v25
	ds_read_b64 v[26:27], v26
	s_waitcnt lgkmcnt(0)
	v_cmp_lt_i64_e64 s7, v[26:27], v[24:25]
	v_add_nc_u32_e32 v24, 1, v28
	v_cndmask_b32_e64 v20, v20, v28, s7
	v_cndmask_b32_e64 v18, v24, v18, s7
	v_cmp_ge_i32_e64 s7, v18, v20
	s_or_b32 s9, s7, s9
	s_andn2_b32 exec_lo, exec_lo, s9
	s_cbranch_execnz .LBB167_172
; %bb.173:
	s_or_b32 exec_lo, exec_lo, s9
.LBB167_174:
	s_or_b32 exec_lo, exec_lo, s8
	v_add_nc_u32_e32 v20, v55, v23
	v_add_nc_u32_e32 v52, v18, v22
	v_sub_nc_u32_e32 v51, v20, v18
	v_lshl_add_u32 v20, v18, 3, v19
	v_cmp_le_i32_e64 s8, v55, v52
                                        ; implicit-def: $vgpr18_vgpr19
	v_lshl_add_u32 v23, v51, 3, v53
	v_cmp_gt_i32_e64 s9, v56, v51
	ds_read_b64 v[24:25], v20
	ds_read_b64 v[26:27], v23
	s_waitcnt lgkmcnt(0)
	v_cmp_lt_i64_e64 s7, v[26:27], v[24:25]
	s_or_b32 s7, s8, s7
	s_and_b32 s7, s9, s7
	s_xor_b32 s8, s7, -1
	s_and_saveexec_b32 s9, s8
	s_xor_b32 s8, exec_lo, s9
; %bb.175:
	ds_read_b64 v[18:19], v20 offset:8
                                        ; implicit-def: $vgpr23
; %bb.176:
	s_or_saveexec_b32 s8, s8
	v_mov_b32_e32 v20, v26
	v_mov_b32_e32 v21, v27
	s_xor_b32 exec_lo, exec_lo, s8
	s_cbranch_execz .LBB167_178
; %bb.177:
	ds_read_b64 v[20:21], v23 offset:8
	s_waitcnt lgkmcnt(1)
	v_mov_b32_e32 v18, v24
	v_mov_b32_e32 v19, v25
.LBB167_178:
	s_or_b32 exec_lo, exec_lo, s8
	v_add_nc_u32_e32 v22, 1, v52
	v_add_nc_u32_e32 v23, 1, v51
	s_waitcnt lgkmcnt(0)
	v_cmp_lt_i64_e64 s8, v[20:21], v[18:19]
	v_cndmask_b32_e64 v57, v22, v52, s7
	v_cndmask_b32_e64 v58, v51, v23, s7
                                        ; implicit-def: $vgpr22_vgpr23
	v_cmp_ge_i32_e64 s9, v57, v55
	v_cmp_lt_i32_e64 s10, v58, v56
	s_or_b32 s8, s9, s8
	s_and_b32 s8, s10, s8
	s_xor_b32 s9, s8, -1
	s_and_saveexec_b32 s10, s9
	s_xor_b32 s9, exec_lo, s10
; %bb.179:
	v_lshl_add_u32 v22, v57, 3, v53
	ds_read_b64 v[22:23], v22 offset:8
; %bb.180:
	s_or_saveexec_b32 s9, s9
	v_mov_b32_e32 v29, v21
	v_mov_b32_e32 v28, v20
	s_xor_b32 exec_lo, exec_lo, s9
	s_cbranch_execz .LBB167_182
; %bb.181:
	s_waitcnt lgkmcnt(0)
	v_lshl_add_u32 v22, v58, 3, v53
	ds_read_b64 v[28:29], v22 offset:8
	v_mov_b32_e32 v23, v19
	v_mov_b32_e32 v22, v18
.LBB167_182:
	s_or_b32 exec_lo, exec_lo, s9
	v_add_nc_u32_e32 v30, 1, v57
	v_add_nc_u32_e32 v31, 1, v58
	s_waitcnt lgkmcnt(0)
	v_cmp_lt_i64_e64 s9, v[28:29], v[22:23]
	v_cndmask_b32_e64 v59, v30, v57, s8
	v_cndmask_b32_e64 v60, v58, v31, s8
                                        ; implicit-def: $vgpr30_vgpr31
	v_cmp_ge_i32_e64 s10, v59, v55
	v_cmp_lt_i32_e64 s11, v60, v56
	s_or_b32 s9, s10, s9
	s_and_b32 s9, s11, s9
	s_xor_b32 s10, s9, -1
	s_and_saveexec_b32 s11, s10
	s_xor_b32 s10, exec_lo, s11
; %bb.183:
	v_lshl_add_u32 v30, v59, 3, v53
	ds_read_b64 v[30:31], v30 offset:8
; %bb.184:
	s_or_saveexec_b32 s10, s10
	v_mov_b32_e32 v33, v29
	v_mov_b32_e32 v32, v28
	s_xor_b32 exec_lo, exec_lo, s10
	s_cbranch_execz .LBB167_186
; %bb.185:
	s_waitcnt lgkmcnt(0)
	v_lshl_add_u32 v30, v60, 3, v53
	ds_read_b64 v[32:33], v30 offset:8
	v_mov_b32_e32 v31, v23
	v_mov_b32_e32 v30, v22
.LBB167_186:
	s_or_b32 exec_lo, exec_lo, s10
	v_add_nc_u32_e32 v34, 1, v59
	v_add_nc_u32_e32 v35, 1, v60
	s_waitcnt lgkmcnt(0)
	v_cmp_lt_i64_e64 s10, v[32:33], v[30:31]
	v_cndmask_b32_e64 v61, v34, v59, s9
	v_cndmask_b32_e64 v62, v60, v35, s9
                                        ; implicit-def: $vgpr34_vgpr35
	v_cmp_ge_i32_e64 s11, v61, v55
	v_cmp_lt_i32_e64 s12, v62, v56
	s_or_b32 s10, s11, s10
	s_and_b32 s10, s12, s10
	s_xor_b32 s11, s10, -1
	s_and_saveexec_b32 s12, s11
	s_xor_b32 s11, exec_lo, s12
; %bb.187:
	v_lshl_add_u32 v34, v61, 3, v53
	ds_read_b64 v[34:35], v34 offset:8
; %bb.188:
	s_or_saveexec_b32 s11, s11
	v_mov_b32_e32 v37, v33
	v_mov_b32_e32 v36, v32
	s_xor_b32 exec_lo, exec_lo, s11
	s_cbranch_execz .LBB167_190
; %bb.189:
	s_waitcnt lgkmcnt(0)
	v_lshl_add_u32 v34, v62, 3, v53
	ds_read_b64 v[36:37], v34 offset:8
	v_mov_b32_e32 v35, v31
	v_mov_b32_e32 v34, v30
.LBB167_190:
	s_or_b32 exec_lo, exec_lo, s11
	v_add_nc_u32_e32 v38, 1, v61
	v_add_nc_u32_e32 v39, 1, v62
	s_waitcnt lgkmcnt(0)
	v_cmp_lt_i64_e64 s11, v[36:37], v[34:35]
	v_cndmask_b32_e64 v63, v38, v61, s10
	v_cndmask_b32_e64 v64, v62, v39, s10
                                        ; implicit-def: $vgpr38_vgpr39
	v_cmp_ge_i32_e64 s12, v63, v55
	v_cmp_lt_i32_e64 s13, v64, v56
	s_or_b32 s11, s12, s11
	s_and_b32 s11, s13, s11
	s_xor_b32 s12, s11, -1
	s_and_saveexec_b32 s13, s12
	s_xor_b32 s12, exec_lo, s13
; %bb.191:
	v_lshl_add_u32 v38, v63, 3, v53
	ds_read_b64 v[38:39], v38 offset:8
; %bb.192:
	s_or_saveexec_b32 s12, s12
	v_mov_b32_e32 v41, v37
	v_mov_b32_e32 v40, v36
	s_xor_b32 exec_lo, exec_lo, s12
	s_cbranch_execz .LBB167_194
; %bb.193:
	s_waitcnt lgkmcnt(0)
	v_lshl_add_u32 v38, v64, 3, v53
	ds_read_b64 v[40:41], v38 offset:8
	v_mov_b32_e32 v39, v35
	v_mov_b32_e32 v38, v34
.LBB167_194:
	s_or_b32 exec_lo, exec_lo, s12
	v_add_nc_u32_e32 v42, 1, v63
	v_add_nc_u32_e32 v43, 1, v64
	s_waitcnt lgkmcnt(0)
	v_cmp_lt_i64_e64 s12, v[40:41], v[38:39]
	v_cndmask_b32_e64 v65, v42, v63, s11
	v_cndmask_b32_e64 v66, v64, v43, s11
                                        ; implicit-def: $vgpr42_vgpr43
	v_cmp_ge_i32_e64 s13, v65, v55
	v_cmp_lt_i32_e64 s14, v66, v56
	s_or_b32 s12, s13, s12
	s_and_b32 s12, s14, s12
	s_xor_b32 s13, s12, -1
	s_and_saveexec_b32 s14, s13
	s_xor_b32 s13, exec_lo, s14
; %bb.195:
	v_lshl_add_u32 v42, v65, 3, v53
	ds_read_b64 v[42:43], v42 offset:8
; %bb.196:
	s_or_saveexec_b32 s13, s13
	v_mov_b32_e32 v45, v41
	v_mov_b32_e32 v44, v40
	s_xor_b32 exec_lo, exec_lo, s13
	s_cbranch_execz .LBB167_198
; %bb.197:
	s_waitcnt lgkmcnt(0)
	v_lshl_add_u32 v42, v66, 3, v53
	ds_read_b64 v[44:45], v42 offset:8
	v_mov_b32_e32 v43, v39
	v_mov_b32_e32 v42, v38
.LBB167_198:
	s_or_b32 exec_lo, exec_lo, s13
	v_add_nc_u32_e32 v46, 1, v65
	v_add_nc_u32_e32 v47, 1, v66
	s_waitcnt lgkmcnt(0)
	v_cmp_lt_i64_e64 s13, v[44:45], v[42:43]
                                        ; implicit-def: $vgpr69
	v_cndmask_b32_e64 v70, v46, v65, s12
	v_cndmask_b32_e64 v68, v66, v47, s12
                                        ; implicit-def: $vgpr46_vgpr47
	v_cmp_ge_i32_e64 s14, v70, v55
	v_cmp_lt_i32_e64 s15, v68, v56
	s_or_b32 s13, s14, s13
	s_and_b32 s13, s15, s13
	s_xor_b32 s14, s13, -1
	s_and_saveexec_b32 s15, s14
	s_xor_b32 s14, exec_lo, s15
; %bb.199:
	v_lshl_add_u32 v46, v70, 3, v53
	v_add_nc_u32_e32 v69, 1, v70
	ds_read_b64 v[46:47], v46 offset:8
; %bb.200:
	s_or_saveexec_b32 s14, s14
	v_mov_b32_e32 v49, v45
	v_mov_b32_e32 v67, v70
	;; [unrolled: 1-line block ×3, first 2 shown]
	s_xor_b32 exec_lo, exec_lo, s14
	s_cbranch_execz .LBB167_202
; %bb.201:
	s_waitcnt lgkmcnt(0)
	v_lshl_add_u32 v46, v68, 3, v53
	v_mov_b32_e32 v67, v68
	v_mov_b32_e32 v69, v70
	ds_read_b64 v[48:49], v46 offset:8
	v_add_nc_u32_e32 v46, 1, v68
	v_mov_b32_e32 v68, v46
	v_mov_b32_e32 v47, v43
	;; [unrolled: 1-line block ×3, first 2 shown]
.LBB167_202:
	s_or_b32 exec_lo, exec_lo, s14
	s_waitcnt lgkmcnt(0)
	v_cmp_lt_i64_e64 s14, v[48:49], v[46:47]
	v_cmp_ge_i32_e64 s15, v69, v55
	v_cmp_lt_i32_e64 s16, v68, v56
	v_cndmask_b32_e64 v57, v57, v58, s8
	v_cndmask_b32_e64 v59, v59, v60, s9
	;; [unrolled: 1-line block ×3, first 2 shown]
	s_or_b32 s14, s15, s14
	v_cndmask_b32_e64 v55, v63, v64, s11
	s_and_b32 s14, s16, s14
	v_cndmask_b32_e64 v65, v65, v66, s12
	v_cndmask_b32_e64 v58, v69, v68, s14
	; wave barrier
	ds_write2_b64 v54, v[8:9], v[12:13] offset1:1
	ds_write2_b64 v54, v[2:3], v[4:5] offset0:2 offset1:3
	ds_write2_b64 v54, v[14:15], v[16:17] offset0:4 offset1:5
	;; [unrolled: 1-line block ×3, first 2 shown]
	v_lshl_add_u32 v2, v57, 3, v53
	v_lshl_add_u32 v3, v59, 3, v53
	;; [unrolled: 1-line block ×5, first 2 shown]
	; wave barrier
	v_lshl_add_u32 v16, v67, 3, v53
	v_lshl_add_u32 v17, v58, 3, v53
	ds_read_b64 v[14:15], v2
	ds_read_b64 v[12:13], v3
	;; [unrolled: 1-line block ×7, first 2 shown]
	v_cndmask_b32_e64 v17, v25, v27, s7
	v_cndmask_b32_e64 v16, v24, v26, s7
	s_and_saveexec_b32 s15, s6
	s_cbranch_execz .LBB167_204
; %bb.203:
	v_cndmask_b32_e64 v24, v52, v51, s7
	v_lshl_add_u32 v24, v24, 3, v53
	ds_read_b64 v[24:25], v24
	s_waitcnt lgkmcnt(0)
	v_add_co_u32 v16, s7, v24, v16
	v_add_co_ci_u32_e64 v17, null, v25, v17, s7
.LBB167_204:
	s_or_b32 exec_lo, exec_lo, s15
	v_add_co_u32 v0, s7, s18, v0
	v_add_co_ci_u32_e64 v1, null, s19, v1, s7
	v_add_co_u32 v0, s7, v0, v50
	v_add_co_ci_u32_e64 v1, null, 0, v1, s7
	s_and_saveexec_b32 s7, s6
	s_xor_b32 s6, exec_lo, s7
	s_cbranch_execnz .LBB167_213
; %bb.205:
	s_or_b32 exec_lo, exec_lo, s6
	s_and_saveexec_b32 s6, s5
	s_cbranch_execnz .LBB167_214
.LBB167_206:
	s_or_b32 exec_lo, exec_lo, s6
	s_and_saveexec_b32 s5, s4
	s_cbranch_execnz .LBB167_215
.LBB167_207:
	s_or_b32 exec_lo, exec_lo, s5
	s_and_saveexec_b32 s4, s3
	s_cbranch_execnz .LBB167_216
.LBB167_208:
	s_or_b32 exec_lo, exec_lo, s4
	s_and_saveexec_b32 s3, s2
	s_cbranch_execnz .LBB167_217
.LBB167_209:
	s_or_b32 exec_lo, exec_lo, s3
	s_and_saveexec_b32 s2, s1
	s_cbranch_execnz .LBB167_218
.LBB167_210:
	s_or_b32 exec_lo, exec_lo, s2
	s_and_saveexec_b32 s1, s0
	s_cbranch_execnz .LBB167_219
.LBB167_211:
	s_or_b32 exec_lo, exec_lo, s1
	s_and_saveexec_b32 s0, vcc_lo
	s_cbranch_execnz .LBB167_220
.LBB167_212:
	s_endpgm
.LBB167_213:
	global_store_dwordx2 v[0:1], v[16:17], off
	s_or_b32 exec_lo, exec_lo, s6
	s_and_saveexec_b32 s6, s5
	s_cbranch_execz .LBB167_206
.LBB167_214:
	v_cndmask_b32_e64 v16, v18, v20, s8
	s_waitcnt lgkmcnt(6)
	v_cndmask_b32_e64 v14, 0, v14, s5
	v_cndmask_b32_e64 v17, v19, v21, s8
	;; [unrolled: 1-line block ×3, first 2 shown]
	v_add_co_u32 v14, s5, v14, v16
	v_add_co_ci_u32_e64 v15, null, v15, v17, s5
	global_store_dwordx2 v[0:1], v[14:15], off offset:8
	s_or_b32 exec_lo, exec_lo, s6
	s_and_saveexec_b32 s5, s4
	s_cbranch_execz .LBB167_207
.LBB167_215:
	s_waitcnt lgkmcnt(6)
	v_cndmask_b32_e64 v14, v22, v28, s9
	s_waitcnt lgkmcnt(5)
	v_cndmask_b32_e64 v12, 0, v12, s4
	v_cndmask_b32_e64 v15, v23, v29, s9
	v_cndmask_b32_e64 v13, 0, v13, s4
	v_add_co_u32 v12, s4, v12, v14
	v_add_co_ci_u32_e64 v13, null, v13, v15, s4
	global_store_dwordx2 v[0:1], v[12:13], off offset:16
	s_or_b32 exec_lo, exec_lo, s5
	s_and_saveexec_b32 s4, s3
	s_cbranch_execz .LBB167_208
.LBB167_216:
	s_waitcnt lgkmcnt(5)
	v_cndmask_b32_e64 v12, v30, v32, s10
	s_waitcnt lgkmcnt(4)
	v_cndmask_b32_e64 v10, 0, v10, s3
	v_cndmask_b32_e64 v13, v31, v33, s10
	;; [unrolled: 1-line block ×3, first 2 shown]
	v_add_co_u32 v10, s3, v10, v12
	v_add_co_ci_u32_e64 v11, null, v11, v13, s3
	global_store_dwordx2 v[0:1], v[10:11], off offset:24
	s_or_b32 exec_lo, exec_lo, s4
	s_and_saveexec_b32 s3, s2
	s_cbranch_execz .LBB167_209
.LBB167_217:
	s_waitcnt lgkmcnt(4)
	v_cndmask_b32_e64 v10, v34, v36, s11
	s_waitcnt lgkmcnt(3)
	v_cndmask_b32_e64 v8, 0, v8, s2
	v_cndmask_b32_e64 v11, v35, v37, s11
	;; [unrolled: 1-line block ×3, first 2 shown]
	v_add_co_u32 v8, s2, v8, v10
	v_add_co_ci_u32_e64 v9, null, v9, v11, s2
	global_store_dwordx2 v[0:1], v[8:9], off offset:32
	s_or_b32 exec_lo, exec_lo, s3
	s_and_saveexec_b32 s2, s1
	s_cbranch_execz .LBB167_210
.LBB167_218:
	s_waitcnt lgkmcnt(3)
	v_cndmask_b32_e64 v8, v38, v40, s12
	s_waitcnt lgkmcnt(2)
	v_cndmask_b32_e64 v6, 0, v6, s1
	v_cndmask_b32_e64 v9, v39, v41, s12
	;; [unrolled: 1-line block ×3, first 2 shown]
	v_add_co_u32 v6, s1, v6, v8
	v_add_co_ci_u32_e64 v7, null, v7, v9, s1
	global_store_dwordx2 v[0:1], v[6:7], off offset:40
	s_or_b32 exec_lo, exec_lo, s2
	s_and_saveexec_b32 s1, s0
	s_cbranch_execz .LBB167_211
.LBB167_219:
	s_waitcnt lgkmcnt(2)
	v_cndmask_b32_e64 v6, v42, v44, s13
	s_waitcnt lgkmcnt(1)
	v_cndmask_b32_e64 v4, 0, v4, s0
	v_cndmask_b32_e64 v7, v43, v45, s13
	;; [unrolled: 1-line block ×3, first 2 shown]
	v_add_co_u32 v4, s0, v4, v6
	v_add_co_ci_u32_e64 v5, null, v5, v7, s0
	global_store_dwordx2 v[0:1], v[4:5], off offset:48
	s_or_b32 exec_lo, exec_lo, s1
	s_and_saveexec_b32 s0, vcc_lo
	s_cbranch_execz .LBB167_212
.LBB167_220:
	s_waitcnt lgkmcnt(1)
	v_cndmask_b32_e64 v4, v46, v48, s14
	s_waitcnt lgkmcnt(0)
	v_cndmask_b32_e32 v2, 0, v2, vcc_lo
	v_cndmask_b32_e64 v5, v47, v49, s14
	v_cndmask_b32_e32 v3, 0, v3, vcc_lo
	v_add_co_u32 v2, vcc_lo, v2, v4
	v_add_co_ci_u32_e64 v3, null, v3, v5, vcc_lo
	global_store_dwordx2 v[0:1], v[2:3], off offset:56
	s_endpgm
	.section	.rodata,"a",@progbits
	.p2align	6, 0x0
	.amdhsa_kernel _Z20sort_pairs_segmentedILj256ELj16ELj8ExN10test_utils4lessEEvPKT2_PS2_PKjT3_
		.amdhsa_group_segment_fixed_size 16512
		.amdhsa_private_segment_fixed_size 0
		.amdhsa_kernarg_size 28
		.amdhsa_user_sgpr_count 6
		.amdhsa_user_sgpr_private_segment_buffer 1
		.amdhsa_user_sgpr_dispatch_ptr 0
		.amdhsa_user_sgpr_queue_ptr 0
		.amdhsa_user_sgpr_kernarg_segment_ptr 1
		.amdhsa_user_sgpr_dispatch_id 0
		.amdhsa_user_sgpr_flat_scratch_init 0
		.amdhsa_user_sgpr_private_segment_size 0
		.amdhsa_wavefront_size32 1
		.amdhsa_uses_dynamic_stack 0
		.amdhsa_system_sgpr_private_segment_wavefront_offset 0
		.amdhsa_system_sgpr_workgroup_id_x 1
		.amdhsa_system_sgpr_workgroup_id_y 0
		.amdhsa_system_sgpr_workgroup_id_z 0
		.amdhsa_system_sgpr_workgroup_info 0
		.amdhsa_system_vgpr_workitem_id 0
		.amdhsa_next_free_vgpr 74
		.amdhsa_next_free_sgpr 20
		.amdhsa_reserve_vcc 1
		.amdhsa_reserve_flat_scratch 0
		.amdhsa_float_round_mode_32 0
		.amdhsa_float_round_mode_16_64 0
		.amdhsa_float_denorm_mode_32 3
		.amdhsa_float_denorm_mode_16_64 3
		.amdhsa_dx10_clamp 1
		.amdhsa_ieee_mode 1
		.amdhsa_fp16_overflow 0
		.amdhsa_workgroup_processor_mode 1
		.amdhsa_memory_ordered 1
		.amdhsa_forward_progress 1
		.amdhsa_shared_vgpr_count 0
		.amdhsa_exception_fp_ieee_invalid_op 0
		.amdhsa_exception_fp_denorm_src 0
		.amdhsa_exception_fp_ieee_div_zero 0
		.amdhsa_exception_fp_ieee_overflow 0
		.amdhsa_exception_fp_ieee_underflow 0
		.amdhsa_exception_fp_ieee_inexact 0
		.amdhsa_exception_int_div_zero 0
	.end_amdhsa_kernel
	.section	.text._Z20sort_pairs_segmentedILj256ELj16ELj8ExN10test_utils4lessEEvPKT2_PS2_PKjT3_,"axG",@progbits,_Z20sort_pairs_segmentedILj256ELj16ELj8ExN10test_utils4lessEEvPKT2_PS2_PKjT3_,comdat
.Lfunc_end167:
	.size	_Z20sort_pairs_segmentedILj256ELj16ELj8ExN10test_utils4lessEEvPKT2_PS2_PKjT3_, .Lfunc_end167-_Z20sort_pairs_segmentedILj256ELj16ELj8ExN10test_utils4lessEEvPKT2_PS2_PKjT3_
                                        ; -- End function
	.set _Z20sort_pairs_segmentedILj256ELj16ELj8ExN10test_utils4lessEEvPKT2_PS2_PKjT3_.num_vgpr, 74
	.set _Z20sort_pairs_segmentedILj256ELj16ELj8ExN10test_utils4lessEEvPKT2_PS2_PKjT3_.num_agpr, 0
	.set _Z20sort_pairs_segmentedILj256ELj16ELj8ExN10test_utils4lessEEvPKT2_PS2_PKjT3_.numbered_sgpr, 20
	.set _Z20sort_pairs_segmentedILj256ELj16ELj8ExN10test_utils4lessEEvPKT2_PS2_PKjT3_.num_named_barrier, 0
	.set _Z20sort_pairs_segmentedILj256ELj16ELj8ExN10test_utils4lessEEvPKT2_PS2_PKjT3_.private_seg_size, 0
	.set _Z20sort_pairs_segmentedILj256ELj16ELj8ExN10test_utils4lessEEvPKT2_PS2_PKjT3_.uses_vcc, 1
	.set _Z20sort_pairs_segmentedILj256ELj16ELj8ExN10test_utils4lessEEvPKT2_PS2_PKjT3_.uses_flat_scratch, 0
	.set _Z20sort_pairs_segmentedILj256ELj16ELj8ExN10test_utils4lessEEvPKT2_PS2_PKjT3_.has_dyn_sized_stack, 0
	.set _Z20sort_pairs_segmentedILj256ELj16ELj8ExN10test_utils4lessEEvPKT2_PS2_PKjT3_.has_recursion, 0
	.set _Z20sort_pairs_segmentedILj256ELj16ELj8ExN10test_utils4lessEEvPKT2_PS2_PKjT3_.has_indirect_call, 0
	.section	.AMDGPU.csdata,"",@progbits
; Kernel info:
; codeLenInByte = 9888
; TotalNumSgprs: 22
; NumVgprs: 74
; ScratchSize: 0
; MemoryBound: 0
; FloatMode: 240
; IeeeMode: 1
; LDSByteSize: 16512 bytes/workgroup (compile time only)
; SGPRBlocks: 0
; VGPRBlocks: 9
; NumSGPRsForWavesPerEU: 22
; NumVGPRsForWavesPerEU: 74
; Occupancy: 12
; WaveLimiterHint : 0
; COMPUTE_PGM_RSRC2:SCRATCH_EN: 0
; COMPUTE_PGM_RSRC2:USER_SGPR: 6
; COMPUTE_PGM_RSRC2:TRAP_HANDLER: 0
; COMPUTE_PGM_RSRC2:TGID_X_EN: 1
; COMPUTE_PGM_RSRC2:TGID_Y_EN: 0
; COMPUTE_PGM_RSRC2:TGID_Z_EN: 0
; COMPUTE_PGM_RSRC2:TIDIG_COMP_CNT: 0
	.section	.text._Z9sort_keysILj256ELj32ELj1ExN10test_utils4lessEEvPKT2_PS2_T3_,"axG",@progbits,_Z9sort_keysILj256ELj32ELj1ExN10test_utils4lessEEvPKT2_PS2_T3_,comdat
	.protected	_Z9sort_keysILj256ELj32ELj1ExN10test_utils4lessEEvPKT2_PS2_T3_ ; -- Begin function _Z9sort_keysILj256ELj32ELj1ExN10test_utils4lessEEvPKT2_PS2_T3_
	.globl	_Z9sort_keysILj256ELj32ELj1ExN10test_utils4lessEEvPKT2_PS2_T3_
	.p2align	8
	.type	_Z9sort_keysILj256ELj32ELj1ExN10test_utils4lessEEvPKT2_PS2_T3_,@function
_Z9sort_keysILj256ELj32ELj1ExN10test_utils4lessEEvPKT2_PS2_T3_: ; @_Z9sort_keysILj256ELj32ELj1ExN10test_utils4lessEEvPKT2_PS2_T3_
; %bb.0:
	s_load_dwordx4 s[0:3], s[4:5], 0x0
	s_mov_b32 s7, 0
	s_lshl_b32 s6, s6, 8
	v_lshlrev_b32_e32 v1, 3, v0
	s_lshl_b64 s[4:5], s[6:7], 3
	v_mbcnt_lo_u32_b32 v2, -1, 0
	v_lshrrev_b32_e32 v0, 5, v0
	v_mov_b32_e32 v7, 0
	v_and_b32_e32 v5, 30, v2
	v_and_b32_e32 v6, 1, v2
	v_lshlrev_b32_e32 v10, 3, v2
	v_or_b32_e32 v4, 1, v5
	v_sub_nc_u32_e32 v3, v4, v5
	s_waitcnt lgkmcnt(0)
	s_add_u32 s0, s0, s4
	s_addc_u32 s1, s1, s5
	global_load_dwordx2 v[8:9], v1, s[0:1]
	v_min_i32_e32 v11, v6, v3
	v_mad_u32_u24 v3, 0x108, v0, v10
	v_mul_u32_u24_e32 v0, 0x108, v0
	s_mov_b32 s0, exec_lo
	; wave barrier
	s_waitcnt vmcnt(0)
	ds_write_b64 v3, v[8:9]
	; wave barrier
	v_cmpx_lt_i32_e32 0, v11
	s_cbranch_execz .LBB168_4
; %bb.1:
	v_lshl_add_u32 v8, v5, 3, v0
	v_mov_b32_e32 v9, 1
	v_mov_b32_e32 v7, 0
	v_lshl_add_u32 v10, v6, 3, v8
	.p2align	6
.LBB168_2:                              ; =>This Inner Loop Header: Depth=1
	v_sub_nc_u32_e32 v11, v9, v7
	v_lshrrev_b32_e32 v11, 1, v11
	v_add_nc_u32_e32 v15, v11, v7
	v_not_b32_e32 v11, v15
	v_lshl_add_u32 v12, v15, 3, v8
	v_lshl_add_u32 v13, v11, 3, v10
	ds_read_b64 v[11:12], v12
	ds_read_b64 v[13:14], v13 offset:8
	s_waitcnt lgkmcnt(0)
	v_cmp_lt_i64_e32 vcc_lo, v[13:14], v[11:12]
	v_add_nc_u32_e32 v11, 1, v15
	v_cndmask_b32_e32 v9, v9, v15, vcc_lo
	v_cndmask_b32_e32 v7, v11, v7, vcc_lo
	v_cmp_ge_i32_e32 vcc_lo, v7, v9
	s_or_b32 s7, vcc_lo, s7
	s_andn2_b32 exec_lo, exec_lo, s7
	s_cbranch_execnz .LBB168_2
; %bb.3:
	s_or_b32 exec_lo, exec_lo, s7
.LBB168_4:
	s_or_b32 exec_lo, exec_lo, s0
	v_add_nc_u32_e32 v8, v5, v6
	v_lshlrev_b32_e32 v9, 3, v7
	v_lshlrev_b32_e32 v5, 3, v5
	v_cmp_lt_i32_e64 s0, 0, v7
	v_sub_nc_u32_e32 v8, v8, v7
	v_add3_u32 v5, v0, v9, v5
	v_lshl_add_u32 v8, v8, 3, v0
	ds_read_b64 v[9:10], v5
	ds_read_b64 v[11:12], v8 offset:8
	v_add_nc_u32_e32 v8, v4, v6
	v_and_b32_e32 v5, 28, v2
	; wave barrier
	v_sub_nc_u32_e32 v13, v8, v7
	v_or_b32_e32 v6, 2, v5
	v_and_b32_e32 v8, 3, v2
	v_cmp_ge_i32_e64 s1, v4, v13
	v_sub_nc_u32_e32 v14, v6, v5
	v_sub_nc_u32_e64 v7, v8, 2 clamp
	v_min_i32_e32 v4, v8, v14
	s_waitcnt lgkmcnt(0)
	v_cmp_lt_i64_e32 vcc_lo, v[11:12], v[9:10]
	s_or_b32 s0, s0, vcc_lo
	s_and_b32 vcc_lo, s1, s0
	s_mov_b32 s0, 0
	v_cndmask_b32_e32 v10, v10, v12, vcc_lo
	v_cndmask_b32_e32 v9, v9, v11, vcc_lo
	s_mov_b32 s1, exec_lo
	ds_write_b64 v3, v[9:10]
	; wave barrier
	v_cmpx_lt_i32_e64 v7, v4
	s_cbranch_execz .LBB168_8
; %bb.5:
	v_lshl_add_u32 v9, v5, 3, v0
	v_lshl_add_u32 v10, v8, 3, v9
	.p2align	6
.LBB168_6:                              ; =>This Inner Loop Header: Depth=1
	v_sub_nc_u32_e32 v11, v4, v7
	v_lshrrev_b32_e32 v11, 1, v11
	v_add_nc_u32_e32 v15, v11, v7
	v_not_b32_e32 v11, v15
	v_lshl_add_u32 v12, v15, 3, v9
	v_lshl_add_u32 v13, v11, 3, v10
	ds_read_b64 v[11:12], v12
	ds_read_b64 v[13:14], v13 offset:16
	s_waitcnt lgkmcnt(0)
	v_cmp_lt_i64_e32 vcc_lo, v[13:14], v[11:12]
	v_add_nc_u32_e32 v11, 1, v15
	v_cndmask_b32_e32 v4, v4, v15, vcc_lo
	v_cndmask_b32_e32 v7, v11, v7, vcc_lo
	v_cmp_ge_i32_e32 vcc_lo, v7, v4
	s_or_b32 s0, vcc_lo, s0
	s_andn2_b32 exec_lo, exec_lo, s0
	s_cbranch_execnz .LBB168_6
; %bb.7:
	s_or_b32 exec_lo, exec_lo, s0
.LBB168_8:
	s_or_b32 exec_lo, exec_lo, s1
	v_add_nc_u32_e32 v4, v5, v8
	v_lshlrev_b32_e32 v9, 3, v7
	v_lshlrev_b32_e32 v10, 3, v5
	v_add_nc_u32_e32 v6, v6, v8
	v_add_nc_u32_e32 v13, 4, v5
	v_sub_nc_u32_e32 v4, v4, v7
	v_cmp_lt_i32_e64 s0, 1, v7
	v_add3_u32 v9, v0, v9, v10
	v_sub_nc_u32_e32 v6, v6, v7
	v_and_b32_e32 v8, 7, v2
	v_lshl_add_u32 v4, v4, 3, v0
	ds_read_b64 v[9:10], v9
	ds_read_b64 v[11:12], v4 offset:16
	v_and_b32_e32 v4, 24, v2
	v_cmp_gt_i32_e64 s1, v13, v6
	v_sub_nc_u32_e64 v6, v8, 4 clamp
	; wave barrier
	v_or_b32_e32 v5, 4, v4
	v_sub_nc_u32_e32 v7, v5, v4
	v_min_i32_e32 v7, v8, v7
	s_waitcnt lgkmcnt(0)
	v_cmp_lt_i64_e32 vcc_lo, v[11:12], v[9:10]
	s_or_b32 s0, s0, vcc_lo
	s_and_b32 vcc_lo, s1, s0
	s_mov_b32 s0, exec_lo
	v_cndmask_b32_e32 v10, v10, v12, vcc_lo
	v_cndmask_b32_e32 v9, v9, v11, vcc_lo
	ds_write_b64 v3, v[9:10]
	; wave barrier
	v_cmpx_lt_i32_e64 v6, v7
	s_cbranch_execz .LBB168_12
; %bb.9:
	v_lshl_add_u32 v9, v4, 3, v0
	s_mov_b32 s1, 0
	v_lshl_add_u32 v10, v8, 3, v9
	.p2align	6
.LBB168_10:                             ; =>This Inner Loop Header: Depth=1
	v_sub_nc_u32_e32 v11, v7, v6
	v_lshrrev_b32_e32 v11, 1, v11
	v_add_nc_u32_e32 v15, v11, v6
	v_not_b32_e32 v11, v15
	v_lshl_add_u32 v12, v15, 3, v9
	v_lshl_add_u32 v13, v11, 3, v10
	ds_read_b64 v[11:12], v12
	ds_read_b64 v[13:14], v13 offset:32
	s_waitcnt lgkmcnt(0)
	v_cmp_lt_i64_e32 vcc_lo, v[13:14], v[11:12]
	v_add_nc_u32_e32 v11, 1, v15
	v_cndmask_b32_e32 v7, v7, v15, vcc_lo
	v_cndmask_b32_e32 v6, v11, v6, vcc_lo
	v_cmp_ge_i32_e32 vcc_lo, v6, v7
	s_or_b32 s1, vcc_lo, s1
	s_andn2_b32 exec_lo, exec_lo, s1
	s_cbranch_execnz .LBB168_10
; %bb.11:
	s_or_b32 exec_lo, exec_lo, s1
.LBB168_12:
	s_or_b32 exec_lo, exec_lo, s0
	v_add_nc_u32_e32 v7, v4, v8
	v_lshlrev_b32_e32 v9, 3, v6
	v_lshlrev_b32_e32 v10, 3, v4
	v_add_nc_u32_e32 v5, v5, v8
	v_add_nc_u32_e32 v13, 8, v4
	v_sub_nc_u32_e32 v7, v7, v6
	v_cmp_lt_i32_e64 s0, 3, v6
	v_add3_u32 v9, v0, v9, v10
	v_sub_nc_u32_e32 v5, v5, v6
	v_and_b32_e32 v8, 15, v2
	v_lshl_add_u32 v7, v7, 3, v0
	ds_read_b64 v[9:10], v9
	ds_read_b64 v[11:12], v7 offset:32
	v_and_b32_e32 v7, 16, v2
	v_cmp_gt_i32_e64 s1, v13, v5
	v_sub_nc_u32_e64 v5, v8, 8 clamp
	; wave barrier
	v_or_b32_e32 v4, 8, v7
	v_sub_nc_u32_e32 v6, v4, v7
	v_min_i32_e32 v6, v8, v6
	s_waitcnt lgkmcnt(0)
	v_cmp_lt_i64_e32 vcc_lo, v[11:12], v[9:10]
	s_or_b32 s0, s0, vcc_lo
	s_and_b32 vcc_lo, s1, s0
	s_mov_b32 s0, exec_lo
	v_cndmask_b32_e32 v10, v10, v12, vcc_lo
	v_cndmask_b32_e32 v9, v9, v11, vcc_lo
	ds_write_b64 v3, v[9:10]
	; wave barrier
	v_cmpx_lt_i32_e64 v5, v6
	s_cbranch_execz .LBB168_16
; %bb.13:
	v_lshl_add_u32 v9, v7, 3, v0
	s_mov_b32 s1, 0
	v_lshl_add_u32 v10, v8, 3, v9
	.p2align	6
.LBB168_14:                             ; =>This Inner Loop Header: Depth=1
	v_sub_nc_u32_e32 v11, v6, v5
	v_lshrrev_b32_e32 v11, 1, v11
	v_add_nc_u32_e32 v15, v11, v5
	v_not_b32_e32 v11, v15
	v_lshl_add_u32 v12, v15, 3, v9
	v_lshl_add_u32 v13, v11, 3, v10
	ds_read_b64 v[11:12], v12
	ds_read_b64 v[13:14], v13 offset:64
	s_waitcnt lgkmcnt(0)
	v_cmp_lt_i64_e32 vcc_lo, v[13:14], v[11:12]
	v_add_nc_u32_e32 v11, 1, v15
	v_cndmask_b32_e32 v6, v6, v15, vcc_lo
	v_cndmask_b32_e32 v5, v11, v5, vcc_lo
	v_cmp_ge_i32_e32 vcc_lo, v5, v6
	s_or_b32 s1, vcc_lo, s1
	s_andn2_b32 exec_lo, exec_lo, s1
	s_cbranch_execnz .LBB168_14
; %bb.15:
	s_or_b32 exec_lo, exec_lo, s1
.LBB168_16:
	s_or_b32 exec_lo, exec_lo, s0
	v_add_nc_u32_e32 v6, v7, v8
	v_lshlrev_b32_e32 v9, 3, v5
	v_lshlrev_b32_e32 v10, 3, v7
	v_add_nc_u32_e32 v4, v4, v8
	v_cmp_lt_i32_e64 s0, 7, v5
	v_sub_nc_u32_e32 v6, v6, v5
	v_add3_u32 v9, v0, v9, v10
	v_sub_nc_u32_e32 v4, v4, v5
	v_min_u32_e32 v5, 16, v2
	v_lshl_add_u32 v6, v6, 3, v0
	ds_read_b64 v[9:10], v9
	ds_read_b64 v[11:12], v6 offset:64
	v_add_nc_u32_e32 v6, 16, v7
	; wave barrier
	v_cmp_gt_i32_e64 s1, v6, v4
	v_sub_nc_u32_e64 v4, v2, 16 clamp
	s_waitcnt lgkmcnt(0)
	v_cmp_lt_i64_e32 vcc_lo, v[11:12], v[9:10]
	s_or_b32 s0, s0, vcc_lo
	s_and_b32 vcc_lo, s1, s0
	s_mov_b32 s0, exec_lo
	v_cndmask_b32_e32 v7, v10, v12, vcc_lo
	v_cndmask_b32_e32 v6, v9, v11, vcc_lo
	ds_write_b64 v3, v[6:7]
	; wave barrier
	v_cmpx_lt_u32_e64 v4, v5
	s_cbranch_execz .LBB168_20
; %bb.17:
	s_mov_b32 s1, 0
	.p2align	6
.LBB168_18:                             ; =>This Inner Loop Header: Depth=1
	v_sub_nc_u32_e32 v6, v5, v4
	v_lshrrev_b32_e32 v6, 1, v6
	v_add_nc_u32_e32 v10, v6, v4
	v_not_b32_e32 v6, v10
	v_lshl_add_u32 v7, v10, 3, v0
	v_lshl_add_u32 v8, v6, 3, v3
	ds_read_b64 v[6:7], v7
	ds_read_b64 v[8:9], v8 offset:128
	s_waitcnt lgkmcnt(0)
	v_cmp_lt_i64_e32 vcc_lo, v[8:9], v[6:7]
	v_add_nc_u32_e32 v6, 1, v10
	v_cndmask_b32_e32 v5, v5, v10, vcc_lo
	v_cndmask_b32_e32 v4, v6, v4, vcc_lo
	v_cmp_ge_i32_e32 vcc_lo, v4, v5
	s_or_b32 s1, vcc_lo, s1
	s_andn2_b32 exec_lo, exec_lo, s1
	s_cbranch_execnz .LBB168_18
; %bb.19:
	s_or_b32 exec_lo, exec_lo, s1
.LBB168_20:
	s_or_b32 exec_lo, exec_lo, s0
	v_sub_nc_u32_e32 v7, v2, v4
	v_lshl_add_u32 v2, v4, 3, v0
	v_cmp_lt_i32_e64 s0, 15, v4
	v_lshl_add_u32 v0, v7, 3, v0
	ds_read_b64 v[2:3], v2
	ds_read_b64 v[5:6], v0 offset:128
	v_add_nc_u32_e32 v0, 16, v7
	v_cmp_gt_i32_e64 s1, 32, v0
	s_waitcnt lgkmcnt(0)
	v_cmp_lt_i64_e32 vcc_lo, v[5:6], v[2:3]
	s_or_b32 s0, s0, vcc_lo
	s_and_b32 vcc_lo, s1, s0
	s_add_u32 s0, s2, s4
	v_cndmask_b32_e32 v3, v3, v6, vcc_lo
	v_cndmask_b32_e32 v2, v2, v5, vcc_lo
	s_addc_u32 s1, s3, s5
	global_store_dwordx2 v1, v[2:3], s[0:1]
	s_endpgm
	.section	.rodata,"a",@progbits
	.p2align	6, 0x0
	.amdhsa_kernel _Z9sort_keysILj256ELj32ELj1ExN10test_utils4lessEEvPKT2_PS2_T3_
		.amdhsa_group_segment_fixed_size 2112
		.amdhsa_private_segment_fixed_size 0
		.amdhsa_kernarg_size 20
		.amdhsa_user_sgpr_count 6
		.amdhsa_user_sgpr_private_segment_buffer 1
		.amdhsa_user_sgpr_dispatch_ptr 0
		.amdhsa_user_sgpr_queue_ptr 0
		.amdhsa_user_sgpr_kernarg_segment_ptr 1
		.amdhsa_user_sgpr_dispatch_id 0
		.amdhsa_user_sgpr_flat_scratch_init 0
		.amdhsa_user_sgpr_private_segment_size 0
		.amdhsa_wavefront_size32 1
		.amdhsa_uses_dynamic_stack 0
		.amdhsa_system_sgpr_private_segment_wavefront_offset 0
		.amdhsa_system_sgpr_workgroup_id_x 1
		.amdhsa_system_sgpr_workgroup_id_y 0
		.amdhsa_system_sgpr_workgroup_id_z 0
		.amdhsa_system_sgpr_workgroup_info 0
		.amdhsa_system_vgpr_workitem_id 0
		.amdhsa_next_free_vgpr 16
		.amdhsa_next_free_sgpr 8
		.amdhsa_reserve_vcc 1
		.amdhsa_reserve_flat_scratch 0
		.amdhsa_float_round_mode_32 0
		.amdhsa_float_round_mode_16_64 0
		.amdhsa_float_denorm_mode_32 3
		.amdhsa_float_denorm_mode_16_64 3
		.amdhsa_dx10_clamp 1
		.amdhsa_ieee_mode 1
		.amdhsa_fp16_overflow 0
		.amdhsa_workgroup_processor_mode 1
		.amdhsa_memory_ordered 1
		.amdhsa_forward_progress 1
		.amdhsa_shared_vgpr_count 0
		.amdhsa_exception_fp_ieee_invalid_op 0
		.amdhsa_exception_fp_denorm_src 0
		.amdhsa_exception_fp_ieee_div_zero 0
		.amdhsa_exception_fp_ieee_overflow 0
		.amdhsa_exception_fp_ieee_underflow 0
		.amdhsa_exception_fp_ieee_inexact 0
		.amdhsa_exception_int_div_zero 0
	.end_amdhsa_kernel
	.section	.text._Z9sort_keysILj256ELj32ELj1ExN10test_utils4lessEEvPKT2_PS2_T3_,"axG",@progbits,_Z9sort_keysILj256ELj32ELj1ExN10test_utils4lessEEvPKT2_PS2_T3_,comdat
.Lfunc_end168:
	.size	_Z9sort_keysILj256ELj32ELj1ExN10test_utils4lessEEvPKT2_PS2_T3_, .Lfunc_end168-_Z9sort_keysILj256ELj32ELj1ExN10test_utils4lessEEvPKT2_PS2_T3_
                                        ; -- End function
	.set _Z9sort_keysILj256ELj32ELj1ExN10test_utils4lessEEvPKT2_PS2_T3_.num_vgpr, 16
	.set _Z9sort_keysILj256ELj32ELj1ExN10test_utils4lessEEvPKT2_PS2_T3_.num_agpr, 0
	.set _Z9sort_keysILj256ELj32ELj1ExN10test_utils4lessEEvPKT2_PS2_T3_.numbered_sgpr, 8
	.set _Z9sort_keysILj256ELj32ELj1ExN10test_utils4lessEEvPKT2_PS2_T3_.num_named_barrier, 0
	.set _Z9sort_keysILj256ELj32ELj1ExN10test_utils4lessEEvPKT2_PS2_T3_.private_seg_size, 0
	.set _Z9sort_keysILj256ELj32ELj1ExN10test_utils4lessEEvPKT2_PS2_T3_.uses_vcc, 1
	.set _Z9sort_keysILj256ELj32ELj1ExN10test_utils4lessEEvPKT2_PS2_T3_.uses_flat_scratch, 0
	.set _Z9sort_keysILj256ELj32ELj1ExN10test_utils4lessEEvPKT2_PS2_T3_.has_dyn_sized_stack, 0
	.set _Z9sort_keysILj256ELj32ELj1ExN10test_utils4lessEEvPKT2_PS2_T3_.has_recursion, 0
	.set _Z9sort_keysILj256ELj32ELj1ExN10test_utils4lessEEvPKT2_PS2_T3_.has_indirect_call, 0
	.section	.AMDGPU.csdata,"",@progbits
; Kernel info:
; codeLenInByte = 1600
; TotalNumSgprs: 10
; NumVgprs: 16
; ScratchSize: 0
; MemoryBound: 0
; FloatMode: 240
; IeeeMode: 1
; LDSByteSize: 2112 bytes/workgroup (compile time only)
; SGPRBlocks: 0
; VGPRBlocks: 1
; NumSGPRsForWavesPerEU: 10
; NumVGPRsForWavesPerEU: 16
; Occupancy: 16
; WaveLimiterHint : 0
; COMPUTE_PGM_RSRC2:SCRATCH_EN: 0
; COMPUTE_PGM_RSRC2:USER_SGPR: 6
; COMPUTE_PGM_RSRC2:TRAP_HANDLER: 0
; COMPUTE_PGM_RSRC2:TGID_X_EN: 1
; COMPUTE_PGM_RSRC2:TGID_Y_EN: 0
; COMPUTE_PGM_RSRC2:TGID_Z_EN: 0
; COMPUTE_PGM_RSRC2:TIDIG_COMP_CNT: 0
	.section	.text._Z10sort_pairsILj256ELj32ELj1ExN10test_utils4lessEEvPKT2_PS2_T3_,"axG",@progbits,_Z10sort_pairsILj256ELj32ELj1ExN10test_utils4lessEEvPKT2_PS2_T3_,comdat
	.protected	_Z10sort_pairsILj256ELj32ELj1ExN10test_utils4lessEEvPKT2_PS2_T3_ ; -- Begin function _Z10sort_pairsILj256ELj32ELj1ExN10test_utils4lessEEvPKT2_PS2_T3_
	.globl	_Z10sort_pairsILj256ELj32ELj1ExN10test_utils4lessEEvPKT2_PS2_T3_
	.p2align	8
	.type	_Z10sort_pairsILj256ELj32ELj1ExN10test_utils4lessEEvPKT2_PS2_T3_,@function
_Z10sort_pairsILj256ELj32ELj1ExN10test_utils4lessEEvPKT2_PS2_T3_: ; @_Z10sort_pairsILj256ELj32ELj1ExN10test_utils4lessEEvPKT2_PS2_T3_
; %bb.0:
	s_load_dwordx4 s[0:3], s[4:5], 0x0
	s_mov_b32 s7, 0
	s_lshl_b32 s6, s6, 8
	v_lshlrev_b32_e32 v3, 3, v0
	s_lshl_b64 s[4:5], s[6:7], 3
	v_mbcnt_lo_u32_b32 v5, -1, 0
	v_lshrrev_b32_e32 v6, 5, v0
	v_mov_b32_e32 v0, 0
	v_and_b32_e32 v7, 30, v5
	v_and_b32_e32 v9, 1, v5
	v_lshlrev_b32_e32 v10, 3, v5
	v_or_b32_e32 v8, 1, v7
	v_lshlrev_b32_e32 v11, 3, v7
	v_sub_nc_u32_e32 v4, v8, v7
	s_waitcnt lgkmcnt(0)
	s_add_u32 s0, s0, s4
	s_addc_u32 s1, s1, s5
	global_load_dwordx2 v[1:2], v3, s[0:1]
	v_min_i32_e32 v12, v9, v4
	v_mad_u32_u24 v4, 0x108, v6, v10
	v_mad_u32_u24 v10, 0x108, v6, v11
	s_mov_b32 s0, exec_lo
	; wave barrier
	s_waitcnt vmcnt(0)
	ds_write_b64 v4, v[1:2]
	; wave barrier
	v_cmpx_lt_i32_e32 0, v12
	s_cbranch_execz .LBB169_4
; %bb.1:
	v_lshl_add_u32 v11, v9, 3, v10
	v_mov_b32_e32 v12, 1
	v_mov_b32_e32 v0, 0
	.p2align	6
.LBB169_2:                              ; =>This Inner Loop Header: Depth=1
	v_sub_nc_u32_e32 v13, v12, v0
	v_lshrrev_b32_e32 v13, 1, v13
	v_add_nc_u32_e32 v17, v13, v0
	v_not_b32_e32 v13, v17
	v_lshl_add_u32 v14, v17, 3, v10
	v_lshl_add_u32 v15, v13, 3, v11
	ds_read_b64 v[13:14], v14
	ds_read_b64 v[15:16], v15 offset:8
	s_waitcnt lgkmcnt(0)
	v_cmp_lt_i64_e32 vcc_lo, v[15:16], v[13:14]
	v_add_nc_u32_e32 v13, 1, v17
	v_cndmask_b32_e32 v12, v12, v17, vcc_lo
	v_cndmask_b32_e32 v0, v13, v0, vcc_lo
	v_cmp_ge_i32_e32 vcc_lo, v0, v12
	s_or_b32 s7, vcc_lo, s7
	s_andn2_b32 exec_lo, exec_lo, s7
	s_cbranch_execnz .LBB169_2
; %bb.3:
	s_or_b32 exec_lo, exec_lo, s7
.LBB169_4:
	s_or_b32 exec_lo, exec_lo, s0
	v_add_nc_u32_e32 v11, v7, v9
	v_mul_u32_u24_e32 v6, 0x108, v6
	v_lshl_add_u32 v10, v0, 3, v10
	v_add_nc_u32_e32 v9, v8, v9
	v_cmp_lt_i32_e64 s0, 0, v0
	v_sub_nc_u32_e32 v11, v11, v0
	v_sub_nc_u32_e32 v9, v9, v0
	v_add_nc_u32_e32 v0, v0, v7
	v_lshl_add_u32 v12, v11, 3, v6
	ds_read_b64 v[10:11], v10
	ds_read_b64 v[12:13], v12 offset:8
	v_cmp_ge_i32_e64 s1, v8, v9
	; wave barrier
	s_waitcnt lgkmcnt(0)
	v_cmp_lt_i64_e32 vcc_lo, v[12:13], v[10:11]
	s_or_b32 s0, s0, vcc_lo
	s_and_b32 vcc_lo, s1, s0
	s_mov_b32 s1, exec_lo
	v_cndmask_b32_e32 v7, v0, v9, vcc_lo
	v_add_co_u32 v0, s0, v1, 1
	v_add_co_ci_u32_e64 v1, null, 0, v2, s0
	v_lshl_add_u32 v7, v7, 3, v6
	v_and_b32_e32 v2, 28, v5
	v_cndmask_b32_e32 v13, v11, v13, vcc_lo
	ds_write_b64 v4, v[0:1]
	; wave barrier
	ds_read_b64 v[0:1], v7
	v_or_b32_e32 v8, 2, v2
	v_and_b32_e32 v9, 3, v5
	v_cndmask_b32_e32 v12, v10, v12, vcc_lo
	v_lshl_add_u32 v10, v2, 3, v6
	s_mov_b32 s0, 0
	v_sub_nc_u32_e32 v11, v8, v2
	v_sub_nc_u32_e64 v7, v9, 2 clamp
	; wave barrier
	ds_write_b64 v4, v[12:13]
	v_min_i32_e32 v11, v9, v11
	; wave barrier
	v_cmpx_lt_i32_e64 v7, v11
	s_cbranch_execz .LBB169_8
; %bb.5:
	v_lshl_add_u32 v12, v9, 3, v10
	.p2align	6
.LBB169_6:                              ; =>This Inner Loop Header: Depth=1
	v_sub_nc_u32_e32 v13, v11, v7
	v_lshrrev_b32_e32 v13, 1, v13
	v_add_nc_u32_e32 v17, v13, v7
	v_not_b32_e32 v13, v17
	v_lshl_add_u32 v14, v17, 3, v10
	v_lshl_add_u32 v15, v13, 3, v12
	ds_read_b64 v[13:14], v14
	ds_read_b64 v[15:16], v15 offset:16
	s_waitcnt lgkmcnt(0)
	v_cmp_lt_i64_e32 vcc_lo, v[15:16], v[13:14]
	v_add_nc_u32_e32 v13, 1, v17
	v_cndmask_b32_e32 v11, v11, v17, vcc_lo
	v_cndmask_b32_e32 v7, v13, v7, vcc_lo
	v_cmp_ge_i32_e32 vcc_lo, v7, v11
	s_or_b32 s0, vcc_lo, s0
	s_andn2_b32 exec_lo, exec_lo, s0
	s_cbranch_execnz .LBB169_6
; %bb.7:
	s_or_b32 exec_lo, exec_lo, s0
.LBB169_8:
	s_or_b32 exec_lo, exec_lo, s1
	v_add_nc_u32_e32 v11, v2, v9
	v_lshl_add_u32 v10, v7, 3, v10
	v_add_nc_u32_e32 v8, v8, v9
	v_add_nc_u32_e32 v9, 4, v2
	v_cmp_lt_i32_e64 s0, 1, v7
	v_sub_nc_u32_e32 v11, v11, v7
	v_add_nc_u32_e32 v2, v7, v2
	v_sub_nc_u32_e32 v8, v8, v7
	v_lshl_add_u32 v12, v11, 3, v6
	ds_read_b64 v[10:11], v10
	ds_read_b64 v[12:13], v12 offset:16
	v_cmp_gt_i32_e64 s1, v9, v8
	; wave barrier
	s_waitcnt lgkmcnt(3)
	ds_write_b64 v4, v[0:1]
	; wave barrier
	v_and_b32_e32 v9, 7, v5
	s_waitcnt lgkmcnt(1)
	v_cmp_lt_i64_e32 vcc_lo, v[12:13], v[10:11]
	s_or_b32 s0, s0, vcc_lo
	s_and_b32 vcc_lo, s1, s0
	s_mov_b32 s0, exec_lo
	v_cndmask_b32_e32 v7, v2, v8, vcc_lo
	v_and_b32_e32 v2, 24, v5
	v_cndmask_b32_e32 v13, v11, v13, vcc_lo
	v_cndmask_b32_e32 v12, v10, v12, vcc_lo
	v_lshl_add_u32 v7, v7, 3, v6
	v_or_b32_e32 v8, 4, v2
	v_lshl_add_u32 v10, v2, 3, v6
	ds_read_b64 v[0:1], v7
	v_sub_nc_u32_e32 v11, v8, v2
	v_sub_nc_u32_e64 v7, v9, 4 clamp
	; wave barrier
	ds_write_b64 v4, v[12:13]
	v_min_i32_e32 v11, v9, v11
	; wave barrier
	v_cmpx_lt_i32_e64 v7, v11
	s_cbranch_execz .LBB169_12
; %bb.9:
	v_lshl_add_u32 v12, v9, 3, v10
	s_mov_b32 s1, 0
	.p2align	6
.LBB169_10:                             ; =>This Inner Loop Header: Depth=1
	v_sub_nc_u32_e32 v13, v11, v7
	v_lshrrev_b32_e32 v13, 1, v13
	v_add_nc_u32_e32 v17, v13, v7
	v_not_b32_e32 v13, v17
	v_lshl_add_u32 v14, v17, 3, v10
	v_lshl_add_u32 v15, v13, 3, v12
	ds_read_b64 v[13:14], v14
	ds_read_b64 v[15:16], v15 offset:32
	s_waitcnt lgkmcnt(0)
	v_cmp_lt_i64_e32 vcc_lo, v[15:16], v[13:14]
	v_add_nc_u32_e32 v13, 1, v17
	v_cndmask_b32_e32 v11, v11, v17, vcc_lo
	v_cndmask_b32_e32 v7, v13, v7, vcc_lo
	v_cmp_ge_i32_e32 vcc_lo, v7, v11
	s_or_b32 s1, vcc_lo, s1
	s_andn2_b32 exec_lo, exec_lo, s1
	s_cbranch_execnz .LBB169_10
; %bb.11:
	s_or_b32 exec_lo, exec_lo, s1
.LBB169_12:
	s_or_b32 exec_lo, exec_lo, s0
	v_add_nc_u32_e32 v11, v2, v9
	v_lshl_add_u32 v10, v7, 3, v10
	v_add_nc_u32_e32 v8, v8, v9
	v_add_nc_u32_e32 v9, 8, v2
	v_cmp_lt_i32_e64 s0, 3, v7
	v_sub_nc_u32_e32 v11, v11, v7
	v_add_nc_u32_e32 v2, v7, v2
	v_sub_nc_u32_e32 v8, v8, v7
	v_lshl_add_u32 v12, v11, 3, v6
	ds_read_b64 v[10:11], v10
	ds_read_b64 v[12:13], v12 offset:32
	v_cmp_gt_i32_e64 s1, v9, v8
	; wave barrier
	s_waitcnt lgkmcnt(3)
	ds_write_b64 v4, v[0:1]
	; wave barrier
	v_and_b32_e32 v9, 15, v5
	s_waitcnt lgkmcnt(1)
	v_cmp_lt_i64_e32 vcc_lo, v[12:13], v[10:11]
	s_or_b32 s0, s0, vcc_lo
	s_and_b32 vcc_lo, s1, s0
	s_mov_b32 s0, exec_lo
	v_cndmask_b32_e32 v7, v2, v8, vcc_lo
	v_and_b32_e32 v2, 16, v5
	v_cndmask_b32_e32 v13, v11, v13, vcc_lo
	v_cndmask_b32_e32 v12, v10, v12, vcc_lo
	v_lshl_add_u32 v7, v7, 3, v6
	v_or_b32_e32 v8, 8, v2
	v_lshl_add_u32 v10, v2, 3, v6
	ds_read_b64 v[0:1], v7
	v_sub_nc_u32_e32 v11, v8, v2
	v_sub_nc_u32_e64 v7, v9, 8 clamp
	; wave barrier
	ds_write_b64 v4, v[12:13]
	v_min_i32_e32 v11, v9, v11
	; wave barrier
	v_cmpx_lt_i32_e64 v7, v11
	s_cbranch_execz .LBB169_16
; %bb.13:
	v_lshl_add_u32 v12, v9, 3, v10
	s_mov_b32 s1, 0
	.p2align	6
.LBB169_14:                             ; =>This Inner Loop Header: Depth=1
	v_sub_nc_u32_e32 v13, v11, v7
	v_lshrrev_b32_e32 v13, 1, v13
	v_add_nc_u32_e32 v17, v13, v7
	v_not_b32_e32 v13, v17
	v_lshl_add_u32 v14, v17, 3, v10
	v_lshl_add_u32 v15, v13, 3, v12
	ds_read_b64 v[13:14], v14
	ds_read_b64 v[15:16], v15 offset:64
	s_waitcnt lgkmcnt(0)
	v_cmp_lt_i64_e32 vcc_lo, v[15:16], v[13:14]
	v_add_nc_u32_e32 v13, 1, v17
	v_cndmask_b32_e32 v11, v11, v17, vcc_lo
	v_cndmask_b32_e32 v7, v13, v7, vcc_lo
	v_cmp_ge_i32_e32 vcc_lo, v7, v11
	s_or_b32 s1, vcc_lo, s1
	s_andn2_b32 exec_lo, exec_lo, s1
	s_cbranch_execnz .LBB169_14
; %bb.15:
	s_or_b32 exec_lo, exec_lo, s1
.LBB169_16:
	s_or_b32 exec_lo, exec_lo, s0
	v_add_nc_u32_e32 v11, v2, v9
	v_lshl_add_u32 v10, v7, 3, v10
	v_add_nc_u32_e32 v8, v8, v9
	v_add_nc_u32_e32 v9, 16, v2
	v_cmp_lt_i32_e64 s0, 7, v7
	v_sub_nc_u32_e32 v11, v11, v7
	v_add_nc_u32_e32 v2, v7, v2
	v_sub_nc_u32_e32 v8, v8, v7
	v_min_u32_e32 v7, 16, v5
	v_lshl_add_u32 v12, v11, 3, v6
	ds_read_b64 v[10:11], v10
	ds_read_b64 v[12:13], v12 offset:64
	v_cmp_gt_i32_e64 s1, v9, v8
	; wave barrier
	s_waitcnt lgkmcnt(3)
	ds_write_b64 v4, v[0:1]
	; wave barrier
	s_waitcnt lgkmcnt(1)
	v_cmp_lt_i64_e32 vcc_lo, v[12:13], v[10:11]
	s_or_b32 s0, s0, vcc_lo
	s_and_b32 vcc_lo, s1, s0
	s_mov_b32 s0, exec_lo
	v_cndmask_b32_e32 v2, v2, v8, vcc_lo
	v_cndmask_b32_e32 v9, v11, v13, vcc_lo
	;; [unrolled: 1-line block ×3, first 2 shown]
	v_lshl_add_u32 v2, v2, 3, v6
	ds_read_b64 v[0:1], v2
	v_sub_nc_u32_e64 v2, v5, 16 clamp
	; wave barrier
	ds_write_b64 v4, v[8:9]
	; wave barrier
	v_cmpx_lt_u32_e64 v2, v7
	s_cbranch_execz .LBB169_20
; %bb.17:
	s_mov_b32 s1, 0
	.p2align	6
.LBB169_18:                             ; =>This Inner Loop Header: Depth=1
	v_sub_nc_u32_e32 v8, v7, v2
	v_lshrrev_b32_e32 v8, 1, v8
	v_add_nc_u32_e32 v12, v8, v2
	v_not_b32_e32 v8, v12
	v_lshl_add_u32 v9, v12, 3, v6
	v_lshl_add_u32 v10, v8, 3, v4
	ds_read_b64 v[8:9], v9
	ds_read_b64 v[10:11], v10 offset:128
	s_waitcnt lgkmcnt(0)
	v_cmp_lt_i64_e32 vcc_lo, v[10:11], v[8:9]
	v_add_nc_u32_e32 v8, 1, v12
	v_cndmask_b32_e32 v7, v7, v12, vcc_lo
	v_cndmask_b32_e32 v2, v8, v2, vcc_lo
	v_cmp_ge_i32_e32 vcc_lo, v2, v7
	s_or_b32 s1, vcc_lo, s1
	s_andn2_b32 exec_lo, exec_lo, s1
	s_cbranch_execnz .LBB169_18
; %bb.19:
	s_or_b32 exec_lo, exec_lo, s1
.LBB169_20:
	s_or_b32 exec_lo, exec_lo, s0
	v_sub_nc_u32_e32 v5, v5, v2
	v_lshl_add_u32 v7, v2, 3, v6
	v_cmp_lt_i32_e64 s0, 15, v2
	v_lshl_add_u32 v9, v5, 3, v6
	v_add_nc_u32_e32 v5, 16, v5
	ds_read_b64 v[7:8], v7
	ds_read_b64 v[9:10], v9 offset:128
	v_cmp_gt_i32_e64 s1, 32, v5
	; wave barrier
	s_waitcnt lgkmcnt(3)
	ds_write_b64 v4, v[0:1]
	; wave barrier
	s_waitcnt lgkmcnt(1)
	v_cmp_lt_i64_e32 vcc_lo, v[9:10], v[7:8]
	s_or_b32 s0, s0, vcc_lo
	s_and_b32 vcc_lo, s1, s0
	s_add_u32 s0, s2, s4
	v_cndmask_b32_e32 v2, v2, v5, vcc_lo
	v_cndmask_b32_e32 v8, v8, v10, vcc_lo
	s_addc_u32 s1, s3, s5
	v_lshl_add_u32 v2, v2, 3, v6
	ds_read_b64 v[0:1], v2
	v_cndmask_b32_e32 v2, v7, v9, vcc_lo
	s_waitcnt lgkmcnt(0)
	v_add_co_u32 v0, vcc_lo, v0, v2
	v_add_co_ci_u32_e64 v1, null, v1, v8, vcc_lo
	global_store_dwordx2 v3, v[0:1], s[0:1]
	s_endpgm
	.section	.rodata,"a",@progbits
	.p2align	6, 0x0
	.amdhsa_kernel _Z10sort_pairsILj256ELj32ELj1ExN10test_utils4lessEEvPKT2_PS2_T3_
		.amdhsa_group_segment_fixed_size 2112
		.amdhsa_private_segment_fixed_size 0
		.amdhsa_kernarg_size 20
		.amdhsa_user_sgpr_count 6
		.amdhsa_user_sgpr_private_segment_buffer 1
		.amdhsa_user_sgpr_dispatch_ptr 0
		.amdhsa_user_sgpr_queue_ptr 0
		.amdhsa_user_sgpr_kernarg_segment_ptr 1
		.amdhsa_user_sgpr_dispatch_id 0
		.amdhsa_user_sgpr_flat_scratch_init 0
		.amdhsa_user_sgpr_private_segment_size 0
		.amdhsa_wavefront_size32 1
		.amdhsa_uses_dynamic_stack 0
		.amdhsa_system_sgpr_private_segment_wavefront_offset 0
		.amdhsa_system_sgpr_workgroup_id_x 1
		.amdhsa_system_sgpr_workgroup_id_y 0
		.amdhsa_system_sgpr_workgroup_id_z 0
		.amdhsa_system_sgpr_workgroup_info 0
		.amdhsa_system_vgpr_workitem_id 0
		.amdhsa_next_free_vgpr 18
		.amdhsa_next_free_sgpr 8
		.amdhsa_reserve_vcc 1
		.amdhsa_reserve_flat_scratch 0
		.amdhsa_float_round_mode_32 0
		.amdhsa_float_round_mode_16_64 0
		.amdhsa_float_denorm_mode_32 3
		.amdhsa_float_denorm_mode_16_64 3
		.amdhsa_dx10_clamp 1
		.amdhsa_ieee_mode 1
		.amdhsa_fp16_overflow 0
		.amdhsa_workgroup_processor_mode 1
		.amdhsa_memory_ordered 1
		.amdhsa_forward_progress 1
		.amdhsa_shared_vgpr_count 0
		.amdhsa_exception_fp_ieee_invalid_op 0
		.amdhsa_exception_fp_denorm_src 0
		.amdhsa_exception_fp_ieee_div_zero 0
		.amdhsa_exception_fp_ieee_overflow 0
		.amdhsa_exception_fp_ieee_underflow 0
		.amdhsa_exception_fp_ieee_inexact 0
		.amdhsa_exception_int_div_zero 0
	.end_amdhsa_kernel
	.section	.text._Z10sort_pairsILj256ELj32ELj1ExN10test_utils4lessEEvPKT2_PS2_T3_,"axG",@progbits,_Z10sort_pairsILj256ELj32ELj1ExN10test_utils4lessEEvPKT2_PS2_T3_,comdat
.Lfunc_end169:
	.size	_Z10sort_pairsILj256ELj32ELj1ExN10test_utils4lessEEvPKT2_PS2_T3_, .Lfunc_end169-_Z10sort_pairsILj256ELj32ELj1ExN10test_utils4lessEEvPKT2_PS2_T3_
                                        ; -- End function
	.set _Z10sort_pairsILj256ELj32ELj1ExN10test_utils4lessEEvPKT2_PS2_T3_.num_vgpr, 18
	.set _Z10sort_pairsILj256ELj32ELj1ExN10test_utils4lessEEvPKT2_PS2_T3_.num_agpr, 0
	.set _Z10sort_pairsILj256ELj32ELj1ExN10test_utils4lessEEvPKT2_PS2_T3_.numbered_sgpr, 8
	.set _Z10sort_pairsILj256ELj32ELj1ExN10test_utils4lessEEvPKT2_PS2_T3_.num_named_barrier, 0
	.set _Z10sort_pairsILj256ELj32ELj1ExN10test_utils4lessEEvPKT2_PS2_T3_.private_seg_size, 0
	.set _Z10sort_pairsILj256ELj32ELj1ExN10test_utils4lessEEvPKT2_PS2_T3_.uses_vcc, 1
	.set _Z10sort_pairsILj256ELj32ELj1ExN10test_utils4lessEEvPKT2_PS2_T3_.uses_flat_scratch, 0
	.set _Z10sort_pairsILj256ELj32ELj1ExN10test_utils4lessEEvPKT2_PS2_T3_.has_dyn_sized_stack, 0
	.set _Z10sort_pairsILj256ELj32ELj1ExN10test_utils4lessEEvPKT2_PS2_T3_.has_recursion, 0
	.set _Z10sort_pairsILj256ELj32ELj1ExN10test_utils4lessEEvPKT2_PS2_T3_.has_indirect_call, 0
	.section	.AMDGPU.csdata,"",@progbits
; Kernel info:
; codeLenInByte = 1716
; TotalNumSgprs: 10
; NumVgprs: 18
; ScratchSize: 0
; MemoryBound: 0
; FloatMode: 240
; IeeeMode: 1
; LDSByteSize: 2112 bytes/workgroup (compile time only)
; SGPRBlocks: 0
; VGPRBlocks: 2
; NumSGPRsForWavesPerEU: 10
; NumVGPRsForWavesPerEU: 18
; Occupancy: 16
; WaveLimiterHint : 0
; COMPUTE_PGM_RSRC2:SCRATCH_EN: 0
; COMPUTE_PGM_RSRC2:USER_SGPR: 6
; COMPUTE_PGM_RSRC2:TRAP_HANDLER: 0
; COMPUTE_PGM_RSRC2:TGID_X_EN: 1
; COMPUTE_PGM_RSRC2:TGID_Y_EN: 0
; COMPUTE_PGM_RSRC2:TGID_Z_EN: 0
; COMPUTE_PGM_RSRC2:TIDIG_COMP_CNT: 0
	.section	.text._Z19sort_keys_segmentedILj256ELj32ELj1ExN10test_utils4lessEEvPKT2_PS2_PKjT3_,"axG",@progbits,_Z19sort_keys_segmentedILj256ELj32ELj1ExN10test_utils4lessEEvPKT2_PS2_PKjT3_,comdat
	.protected	_Z19sort_keys_segmentedILj256ELj32ELj1ExN10test_utils4lessEEvPKT2_PS2_PKjT3_ ; -- Begin function _Z19sort_keys_segmentedILj256ELj32ELj1ExN10test_utils4lessEEvPKT2_PS2_PKjT3_
	.globl	_Z19sort_keys_segmentedILj256ELj32ELj1ExN10test_utils4lessEEvPKT2_PS2_PKjT3_
	.p2align	8
	.type	_Z19sort_keys_segmentedILj256ELj32ELj1ExN10test_utils4lessEEvPKT2_PS2_PKjT3_,@function
_Z19sort_keys_segmentedILj256ELj32ELj1ExN10test_utils4lessEEvPKT2_PS2_PKjT3_: ; @_Z19sort_keys_segmentedILj256ELj32ELj1ExN10test_utils4lessEEvPKT2_PS2_PKjT3_
; %bb.0:
	s_load_dwordx2 s[0:1], s[4:5], 0x10
	v_lshrrev_b32_e32 v9, 5, v0
	v_mov_b32_e32 v1, 0
	v_mbcnt_lo_u32_b32 v7, -1, 0
	v_lshl_or_b32 v0, s6, 3, v9
	s_load_dwordx4 s[4:7], s[4:5], 0x0
	v_lshlrev_b64 v[2:3], 2, v[0:1]
	v_lshlrev_b32_e32 v0, 5, v0
	s_waitcnt lgkmcnt(0)
	v_add_co_u32 v2, vcc_lo, s0, v2
	v_add_co_ci_u32_e64 v3, null, s1, v3, vcc_lo
	global_load_dword v6, v[2:3], off
	s_waitcnt vmcnt(0)
	v_cmp_ge_u32_e64 s0, v7, v6
	v_cmp_lt_u32_e32 vcc_lo, v7, v6
	s_and_saveexec_b32 s1, s0
	s_xor_b32 s0, exec_lo, s1
	s_or_saveexec_b32 s1, s0
	v_lshlrev_b64 v[0:1], 3, v[0:1]
                                        ; implicit-def: $vgpr2_vgpr3
	s_xor_b32 exec_lo, exec_lo, s1
	s_cbranch_execz .LBB170_2
; %bb.1:
	v_lshlrev_b32_e32 v2, 3, v7
	v_add_co_u32 v3, s0, s4, v0
	v_add_co_ci_u32_e64 v4, null, s5, v1, s0
	v_add_co_u32 v2, s0, v3, v2
	v_add_co_ci_u32_e64 v3, null, 0, v4, s0
	global_load_dwordx2 v[2:3], v[2:3], off
.LBB170_2:
	s_or_b32 exec_lo, exec_lo, s1
	v_and_b32_e32 v4, 30, v7
	v_and_b32_e32 v5, 1, v7
	s_mov_b32 s2, 0
	s_mov_b32 s1, exec_lo
	v_min_i32_e32 v13, v6, v4
	v_min_i32_e32 v15, v6, v5
	v_mul_u32_u24_e32 v5, 0x108, v9
	; wave barrier
	v_add_nc_u32_e32 v4, 1, v13
	v_lshlrev_b32_e32 v17, 3, v13
	v_min_i32_e32 v12, v6, v4
	v_add_nc_u32_e32 v4, 1, v12
	v_sub_nc_u32_e32 v16, v12, v13
	v_min_i32_e32 v11, v6, v4
	v_lshlrev_b32_e32 v4, 3, v7
	v_min_i32_e32 v16, v15, v16
	v_sub_nc_u32_e32 v8, v11, v12
	v_sub_nc_u32_e32 v10, v15, v8
	v_cmp_ge_i32_e64 s0, v15, v8
	v_mad_u32_u24 v8, 0x108, v9, v4
	v_cndmask_b32_e64 v14, 0, v10, s0
	v_mad_u32_u24 v10, 0x108, v9, v17
	s_waitcnt vmcnt(0)
	ds_write_b64 v8, v[2:3]
	; wave barrier
	v_cmpx_lt_i32_e64 v14, v16
	s_cbranch_execz .LBB170_6
; %bb.3:
	v_lshlrev_b32_e32 v2, 3, v12
	v_lshlrev_b32_e32 v3, 3, v15
	v_add3_u32 v2, v5, v2, v3
	.p2align	6
.LBB170_4:                              ; =>This Inner Loop Header: Depth=1
	v_sub_nc_u32_e32 v3, v16, v14
	v_lshrrev_b32_e32 v3, 1, v3
	v_add_nc_u32_e32 v3, v3, v14
	v_not_b32_e32 v9, v3
	v_lshl_add_u32 v17, v3, 3, v10
	v_lshl_add_u32 v9, v9, 3, v2
	ds_read_b64 v[17:18], v17
	ds_read_b64 v[19:20], v9
	v_add_nc_u32_e32 v9, 1, v3
	s_waitcnt lgkmcnt(0)
	v_cmp_lt_i64_e64 s0, v[19:20], v[17:18]
	v_cndmask_b32_e64 v16, v16, v3, s0
	v_cndmask_b32_e64 v14, v9, v14, s0
	v_cmp_ge_i32_e64 s0, v14, v16
	s_or_b32 s2, s0, s2
	s_andn2_b32 exec_lo, exec_lo, s2
	s_cbranch_execnz .LBB170_4
; %bb.5:
	s_or_b32 exec_lo, exec_lo, s2
.LBB170_6:
	s_or_b32 exec_lo, exec_lo, s1
	v_add_nc_u32_e32 v2, v12, v15
	v_and_b32_e32 v3, 28, v7
	v_add_nc_u32_e32 v13, v14, v13
	s_mov_b32 s3, 0
	v_sub_nc_u32_e32 v19, v2, v14
	v_lshl_add_u32 v2, v14, 3, v10
	v_min_i32_e32 v9, v6, v3
	v_cmp_le_i32_e64 s1, v12, v13
	v_lshl_add_u32 v3, v19, 3, v5
	v_cmp_gt_i32_e64 s2, v11, v19
	v_add_nc_u32_e32 v10, 2, v9
	ds_read_b64 v[15:16], v2
	ds_read_b64 v[17:18], v3
	v_and_b32_e32 v3, 3, v7
	v_min_i32_e32 v10, v6, v10
	; wave barrier
	v_min_i32_e32 v14, v6, v3
	v_add_nc_u32_e32 v2, 2, v10
	v_sub_nc_u32_e32 v20, v10, v9
	v_min_i32_e32 v2, v6, v2
	v_min_i32_e32 v11, v14, v20
	v_sub_nc_u32_e32 v3, v2, v10
	s_waitcnt lgkmcnt(0)
	v_cmp_lt_i64_e64 s0, v[17:18], v[15:16]
	v_sub_nc_u32_e32 v12, v14, v3
	s_or_b32 s1, s1, s0
	v_cmp_ge_i32_e64 s0, v14, v3
	v_lshl_add_u32 v3, v9, 3, v5
	v_cndmask_b32_e64 v13, 0, v12, s0
	s_and_b32 s0, s2, s1
	s_mov_b32 s1, exec_lo
	v_cndmask_b32_e64 v16, v16, v18, s0
	v_cndmask_b32_e64 v15, v15, v17, s0
	ds_write_b64 v8, v[15:16]
	; wave barrier
	v_cmpx_lt_i32_e64 v13, v11
	s_cbranch_execz .LBB170_10
; %bb.7:
	v_lshlrev_b32_e32 v12, 3, v10
	v_lshlrev_b32_e32 v15, 3, v14
	v_add3_u32 v12, v5, v12, v15
	.p2align	6
.LBB170_8:                              ; =>This Inner Loop Header: Depth=1
	v_sub_nc_u32_e32 v15, v11, v13
	v_lshrrev_b32_e32 v15, 1, v15
	v_add_nc_u32_e32 v19, v15, v13
	v_not_b32_e32 v15, v19
	v_lshl_add_u32 v16, v19, 3, v3
	v_lshl_add_u32 v17, v15, 3, v12
	ds_read_b64 v[15:16], v16
	ds_read_b64 v[17:18], v17
	s_waitcnt lgkmcnt(0)
	v_cmp_lt_i64_e64 s0, v[17:18], v[15:16]
	v_add_nc_u32_e32 v15, 1, v19
	v_cndmask_b32_e64 v11, v11, v19, s0
	v_cndmask_b32_e64 v13, v15, v13, s0
	v_cmp_ge_i32_e64 s0, v13, v11
	s_or_b32 s3, s0, s3
	s_andn2_b32 exec_lo, exec_lo, s3
	s_cbranch_execnz .LBB170_8
; %bb.9:
	s_or_b32 exec_lo, exec_lo, s3
.LBB170_10:
	s_or_b32 exec_lo, exec_lo, s1
	v_add_nc_u32_e32 v11, v10, v14
	v_and_b32_e32 v12, 24, v7
	v_lshl_add_u32 v3, v13, 3, v3
	s_mov_b32 s3, 0
	v_sub_nc_u32_e32 v18, v11, v13
	v_min_i32_e32 v11, v6, v12
	v_add_nc_u32_e32 v13, v13, v9
	v_lshl_add_u32 v12, v18, 3, v5
	v_add_nc_u32_e32 v19, 4, v11
	v_cmp_le_i32_e64 s1, v10, v13
	v_cmp_gt_i32_e64 s2, v2, v18
	ds_read_b64 v[14:15], v3
	ds_read_b64 v[16:17], v12
	v_lshl_add_u32 v2, v11, 3, v5
	v_min_i32_e32 v12, v6, v19
	v_and_b32_e32 v19, 7, v7
	; wave barrier
	v_add_nc_u32_e32 v3, 4, v12
	v_min_i32_e32 v9, v6, v19
	v_sub_nc_u32_e32 v20, v12, v11
	v_min_i32_e32 v3, v6, v3
	v_min_i32_e32 v10, v9, v20
	v_sub_nc_u32_e32 v19, v3, v12
	s_waitcnt lgkmcnt(0)
	v_cmp_lt_i64_e64 s0, v[16:17], v[14:15]
	v_sub_nc_u32_e32 v13, v9, v19
	s_or_b32 s1, s1, s0
	v_cmp_ge_i32_e64 s0, v9, v19
	v_cndmask_b32_e64 v13, 0, v13, s0
	s_and_b32 s0, s2, s1
	s_mov_b32 s1, exec_lo
	v_cndmask_b32_e64 v15, v15, v17, s0
	v_cndmask_b32_e64 v14, v14, v16, s0
	ds_write_b64 v8, v[14:15]
	; wave barrier
	v_cmpx_lt_i32_e64 v13, v10
	s_cbranch_execz .LBB170_14
; %bb.11:
	v_lshlrev_b32_e32 v14, 3, v12
	v_lshlrev_b32_e32 v15, 3, v9
	v_add3_u32 v14, v5, v14, v15
	.p2align	6
.LBB170_12:                             ; =>This Inner Loop Header: Depth=1
	v_sub_nc_u32_e32 v15, v10, v13
	v_lshrrev_b32_e32 v15, 1, v15
	v_add_nc_u32_e32 v19, v15, v13
	v_not_b32_e32 v15, v19
	v_lshl_add_u32 v16, v19, 3, v2
	v_lshl_add_u32 v17, v15, 3, v14
	ds_read_b64 v[15:16], v16
	ds_read_b64 v[17:18], v17
	s_waitcnt lgkmcnt(0)
	v_cmp_lt_i64_e64 s0, v[17:18], v[15:16]
	v_add_nc_u32_e32 v15, 1, v19
	v_cndmask_b32_e64 v10, v10, v19, s0
	v_cndmask_b32_e64 v13, v15, v13, s0
	v_cmp_ge_i32_e64 s0, v13, v10
	s_or_b32 s3, s0, s3
	s_andn2_b32 exec_lo, exec_lo, s3
	s_cbranch_execnz .LBB170_12
; %bb.13:
	s_or_b32 exec_lo, exec_lo, s3
.LBB170_14:
	s_or_b32 exec_lo, exec_lo, s1
	v_add_nc_u32_e32 v9, v12, v9
	v_and_b32_e32 v10, 16, v7
	v_lshl_add_u32 v2, v13, 3, v2
	v_add_nc_u32_e32 v11, v13, v11
	s_mov_b32 s3, 0
	v_sub_nc_u32_e32 v19, v9, v13
	v_min_i32_e32 v9, v6, v10
	v_cmp_le_i32_e64 s1, v12, v11
	v_lshl_add_u32 v10, v19, 3, v5
	v_add_nc_u32_e32 v14, 8, v9
	v_cmp_gt_i32_e64 s2, v3, v19
	ds_read_b64 v[15:16], v2
	ds_read_b64 v[17:18], v10
	v_min_i32_e32 v10, v6, v14
	v_and_b32_e32 v14, 15, v7
	; wave barrier
	v_add_nc_u32_e32 v2, 8, v10
	v_min_i32_e32 v14, v6, v14
	v_sub_nc_u32_e32 v20, v10, v9
	v_min_i32_e32 v2, v6, v2
	v_min_i32_e32 v3, v14, v20
	v_sub_nc_u32_e32 v13, v2, v10
	s_waitcnt lgkmcnt(0)
	v_cmp_lt_i64_e64 s0, v[17:18], v[15:16]
	v_sub_nc_u32_e32 v11, v14, v13
	s_or_b32 s1, s1, s0
	v_cmp_ge_i32_e64 s0, v14, v13
	v_cndmask_b32_e64 v13, 0, v11, s0
	s_and_b32 s0, s2, s1
	v_lshl_add_u32 v11, v9, 3, v5
	v_cndmask_b32_e64 v16, v16, v18, s0
	v_cndmask_b32_e64 v15, v15, v17, s0
	s_mov_b32 s1, exec_lo
	ds_write_b64 v8, v[15:16]
	; wave barrier
	v_cmpx_lt_i32_e64 v13, v3
	s_cbranch_execz .LBB170_18
; %bb.15:
	v_lshlrev_b32_e32 v12, 3, v10
	v_lshlrev_b32_e32 v15, 3, v14
	v_add3_u32 v12, v5, v12, v15
	.p2align	6
.LBB170_16:                             ; =>This Inner Loop Header: Depth=1
	v_sub_nc_u32_e32 v15, v3, v13
	v_lshrrev_b32_e32 v15, 1, v15
	v_add_nc_u32_e32 v19, v15, v13
	v_not_b32_e32 v15, v19
	v_lshl_add_u32 v16, v19, 3, v11
	v_lshl_add_u32 v17, v15, 3, v12
	ds_read_b64 v[15:16], v16
	ds_read_b64 v[17:18], v17
	s_waitcnt lgkmcnt(0)
	v_cmp_lt_i64_e64 s0, v[17:18], v[15:16]
	v_add_nc_u32_e32 v15, 1, v19
	v_cndmask_b32_e64 v3, v3, v19, s0
	v_cndmask_b32_e64 v13, v15, v13, s0
	v_cmp_ge_i32_e64 s0, v13, v3
	s_or_b32 s3, s0, s3
	s_andn2_b32 exec_lo, exec_lo, s3
	s_cbranch_execnz .LBB170_16
; %bb.17:
	s_or_b32 exec_lo, exec_lo, s3
.LBB170_18:
	s_or_b32 exec_lo, exec_lo, s1
	v_add_nc_u32_e32 v3, v10, v14
	v_lshl_add_u32 v11, v13, 3, v11
	v_add_nc_u32_e32 v9, v13, v9
	s_mov_b32 s3, 0
	v_sub_nc_u32_e32 v18, v3, v13
	v_min_i32_e32 v3, 0, v6
	v_cmp_le_i32_e64 s1, v10, v9
	v_lshl_add_u32 v12, v18, 3, v5
	v_add_nc_u32_e32 v19, 16, v3
	v_cmp_gt_i32_e64 s2, v2, v18
	ds_read_b64 v[14:15], v11
	ds_read_b64 v[16:17], v12
	v_min_i32_e32 v12, v6, v19
	; wave barrier
	v_add_nc_u32_e32 v11, 16, v12
	v_sub_nc_u32_e32 v13, v12, v3
	v_min_i32_e32 v11, v6, v11
	v_min_i32_e32 v6, v6, v7
	v_sub_nc_u32_e32 v7, v11, v12
	v_min_i32_e32 v9, v6, v13
	s_waitcnt lgkmcnt(0)
	v_cmp_lt_i64_e64 s0, v[16:17], v[14:15]
	v_sub_nc_u32_e32 v10, v6, v7
	s_or_b32 s1, s1, s0
	v_cmp_ge_i32_e64 s0, v6, v7
	v_lshl_add_u32 v7, v3, 3, v5
	v_cndmask_b32_e64 v2, 0, v10, s0
	s_and_b32 s0, s2, s1
	s_mov_b32 s1, exec_lo
	v_cndmask_b32_e64 v15, v15, v17, s0
	v_cndmask_b32_e64 v14, v14, v16, s0
	ds_write_b64 v8, v[14:15]
	; wave barrier
	v_cmpx_lt_i32_e64 v2, v9
	s_cbranch_execnz .LBB170_21
; %bb.19:
	s_or_b32 exec_lo, exec_lo, s1
	s_and_saveexec_b32 s0, vcc_lo
	s_cbranch_execnz .LBB170_24
.LBB170_20:
	s_endpgm
.LBB170_21:
	v_lshlrev_b32_e32 v8, 3, v12
	v_lshlrev_b32_e32 v10, 3, v6
	v_add3_u32 v8, v5, v8, v10
	.p2align	6
.LBB170_22:                             ; =>This Inner Loop Header: Depth=1
	v_sub_nc_u32_e32 v10, v9, v2
	v_lshrrev_b32_e32 v10, 1, v10
	v_add_nc_u32_e32 v10, v10, v2
	v_not_b32_e32 v13, v10
	v_lshl_add_u32 v14, v10, 3, v7
	v_lshl_add_u32 v15, v13, 3, v8
	ds_read_b64 v[13:14], v14
	ds_read_b64 v[15:16], v15
	s_waitcnt lgkmcnt(0)
	v_cmp_lt_i64_e64 s0, v[15:16], v[13:14]
	v_add_nc_u32_e32 v13, 1, v10
	v_cndmask_b32_e64 v9, v9, v10, s0
	v_cndmask_b32_e64 v2, v13, v2, s0
	v_cmp_ge_i32_e64 s0, v2, v9
	s_or_b32 s3, s0, s3
	s_andn2_b32 exec_lo, exec_lo, s3
	s_cbranch_execnz .LBB170_22
; %bb.23:
	s_or_b32 exec_lo, exec_lo, s3
	s_or_b32 exec_lo, exec_lo, s1
	s_and_saveexec_b32 s0, vcc_lo
	s_cbranch_execz .LBB170_20
.LBB170_24:
	v_add_nc_u32_e32 v6, v12, v6
	v_lshl_add_u32 v7, v2, 3, v7
	v_add_co_u32 v0, s1, s6, v0
	v_add_co_ci_u32_e64 v1, null, s7, v1, s1
	v_sub_nc_u32_e32 v9, v6, v2
	v_add_nc_u32_e32 v2, v2, v3
	v_lshl_add_u32 v5, v9, 3, v5
	v_cmp_le_i32_e32 vcc_lo, v12, v2
	v_cmp_gt_i32_e64 s1, v11, v9
	ds_read_b64 v[5:6], v5
	ds_read_b64 v[7:8], v7
	s_waitcnt lgkmcnt(0)
	v_cmp_lt_i64_e64 s0, v[5:6], v[7:8]
	s_or_b32 s0, vcc_lo, s0
	v_add_co_u32 v0, vcc_lo, v0, v4
	v_add_co_ci_u32_e64 v1, null, 0, v1, vcc_lo
	s_and_b32 vcc_lo, s1, s0
	v_cndmask_b32_e32 v3, v8, v6, vcc_lo
	v_cndmask_b32_e32 v2, v7, v5, vcc_lo
	global_store_dwordx2 v[0:1], v[2:3], off
	s_endpgm
	.section	.rodata,"a",@progbits
	.p2align	6, 0x0
	.amdhsa_kernel _Z19sort_keys_segmentedILj256ELj32ELj1ExN10test_utils4lessEEvPKT2_PS2_PKjT3_
		.amdhsa_group_segment_fixed_size 2112
		.amdhsa_private_segment_fixed_size 0
		.amdhsa_kernarg_size 28
		.amdhsa_user_sgpr_count 6
		.amdhsa_user_sgpr_private_segment_buffer 1
		.amdhsa_user_sgpr_dispatch_ptr 0
		.amdhsa_user_sgpr_queue_ptr 0
		.amdhsa_user_sgpr_kernarg_segment_ptr 1
		.amdhsa_user_sgpr_dispatch_id 0
		.amdhsa_user_sgpr_flat_scratch_init 0
		.amdhsa_user_sgpr_private_segment_size 0
		.amdhsa_wavefront_size32 1
		.amdhsa_uses_dynamic_stack 0
		.amdhsa_system_sgpr_private_segment_wavefront_offset 0
		.amdhsa_system_sgpr_workgroup_id_x 1
		.amdhsa_system_sgpr_workgroup_id_y 0
		.amdhsa_system_sgpr_workgroup_id_z 0
		.amdhsa_system_sgpr_workgroup_info 0
		.amdhsa_system_vgpr_workitem_id 0
		.amdhsa_next_free_vgpr 21
		.amdhsa_next_free_sgpr 8
		.amdhsa_reserve_vcc 1
		.amdhsa_reserve_flat_scratch 0
		.amdhsa_float_round_mode_32 0
		.amdhsa_float_round_mode_16_64 0
		.amdhsa_float_denorm_mode_32 3
		.amdhsa_float_denorm_mode_16_64 3
		.amdhsa_dx10_clamp 1
		.amdhsa_ieee_mode 1
		.amdhsa_fp16_overflow 0
		.amdhsa_workgroup_processor_mode 1
		.amdhsa_memory_ordered 1
		.amdhsa_forward_progress 1
		.amdhsa_shared_vgpr_count 0
		.amdhsa_exception_fp_ieee_invalid_op 0
		.amdhsa_exception_fp_denorm_src 0
		.amdhsa_exception_fp_ieee_div_zero 0
		.amdhsa_exception_fp_ieee_overflow 0
		.amdhsa_exception_fp_ieee_underflow 0
		.amdhsa_exception_fp_ieee_inexact 0
		.amdhsa_exception_int_div_zero 0
	.end_amdhsa_kernel
	.section	.text._Z19sort_keys_segmentedILj256ELj32ELj1ExN10test_utils4lessEEvPKT2_PS2_PKjT3_,"axG",@progbits,_Z19sort_keys_segmentedILj256ELj32ELj1ExN10test_utils4lessEEvPKT2_PS2_PKjT3_,comdat
.Lfunc_end170:
	.size	_Z19sort_keys_segmentedILj256ELj32ELj1ExN10test_utils4lessEEvPKT2_PS2_PKjT3_, .Lfunc_end170-_Z19sort_keys_segmentedILj256ELj32ELj1ExN10test_utils4lessEEvPKT2_PS2_PKjT3_
                                        ; -- End function
	.set _Z19sort_keys_segmentedILj256ELj32ELj1ExN10test_utils4lessEEvPKT2_PS2_PKjT3_.num_vgpr, 21
	.set _Z19sort_keys_segmentedILj256ELj32ELj1ExN10test_utils4lessEEvPKT2_PS2_PKjT3_.num_agpr, 0
	.set _Z19sort_keys_segmentedILj256ELj32ELj1ExN10test_utils4lessEEvPKT2_PS2_PKjT3_.numbered_sgpr, 8
	.set _Z19sort_keys_segmentedILj256ELj32ELj1ExN10test_utils4lessEEvPKT2_PS2_PKjT3_.num_named_barrier, 0
	.set _Z19sort_keys_segmentedILj256ELj32ELj1ExN10test_utils4lessEEvPKT2_PS2_PKjT3_.private_seg_size, 0
	.set _Z19sort_keys_segmentedILj256ELj32ELj1ExN10test_utils4lessEEvPKT2_PS2_PKjT3_.uses_vcc, 1
	.set _Z19sort_keys_segmentedILj256ELj32ELj1ExN10test_utils4lessEEvPKT2_PS2_PKjT3_.uses_flat_scratch, 0
	.set _Z19sort_keys_segmentedILj256ELj32ELj1ExN10test_utils4lessEEvPKT2_PS2_PKjT3_.has_dyn_sized_stack, 0
	.set _Z19sort_keys_segmentedILj256ELj32ELj1ExN10test_utils4lessEEvPKT2_PS2_PKjT3_.has_recursion, 0
	.set _Z19sort_keys_segmentedILj256ELj32ELj1ExN10test_utils4lessEEvPKT2_PS2_PKjT3_.has_indirect_call, 0
	.section	.AMDGPU.csdata,"",@progbits
; Kernel info:
; codeLenInByte = 1972
; TotalNumSgprs: 10
; NumVgprs: 21
; ScratchSize: 0
; MemoryBound: 0
; FloatMode: 240
; IeeeMode: 1
; LDSByteSize: 2112 bytes/workgroup (compile time only)
; SGPRBlocks: 0
; VGPRBlocks: 2
; NumSGPRsForWavesPerEU: 10
; NumVGPRsForWavesPerEU: 21
; Occupancy: 16
; WaveLimiterHint : 0
; COMPUTE_PGM_RSRC2:SCRATCH_EN: 0
; COMPUTE_PGM_RSRC2:USER_SGPR: 6
; COMPUTE_PGM_RSRC2:TRAP_HANDLER: 0
; COMPUTE_PGM_RSRC2:TGID_X_EN: 1
; COMPUTE_PGM_RSRC2:TGID_Y_EN: 0
; COMPUTE_PGM_RSRC2:TGID_Z_EN: 0
; COMPUTE_PGM_RSRC2:TIDIG_COMP_CNT: 0
	.section	.text._Z20sort_pairs_segmentedILj256ELj32ELj1ExN10test_utils4lessEEvPKT2_PS2_PKjT3_,"axG",@progbits,_Z20sort_pairs_segmentedILj256ELj32ELj1ExN10test_utils4lessEEvPKT2_PS2_PKjT3_,comdat
	.protected	_Z20sort_pairs_segmentedILj256ELj32ELj1ExN10test_utils4lessEEvPKT2_PS2_PKjT3_ ; -- Begin function _Z20sort_pairs_segmentedILj256ELj32ELj1ExN10test_utils4lessEEvPKT2_PS2_PKjT3_
	.globl	_Z20sort_pairs_segmentedILj256ELj32ELj1ExN10test_utils4lessEEvPKT2_PS2_PKjT3_
	.p2align	8
	.type	_Z20sort_pairs_segmentedILj256ELj32ELj1ExN10test_utils4lessEEvPKT2_PS2_PKjT3_,@function
_Z20sort_pairs_segmentedILj256ELj32ELj1ExN10test_utils4lessEEvPKT2_PS2_PKjT3_: ; @_Z20sort_pairs_segmentedILj256ELj32ELj1ExN10test_utils4lessEEvPKT2_PS2_PKjT3_
; %bb.0:
	s_load_dwordx2 s[0:1], s[4:5], 0x10
	v_lshrrev_b32_e32 v6, 5, v0
	v_mov_b32_e32 v1, 0
	v_mbcnt_lo_u32_b32 v5, -1, 0
	v_lshl_or_b32 v0, s6, 3, v6
	s_load_dwordx4 s[4:7], s[4:5], 0x0
	v_lshlrev_b64 v[2:3], 2, v[0:1]
	v_lshlrev_b32_e32 v0, 5, v0
	s_waitcnt lgkmcnt(0)
	v_add_co_u32 v2, vcc_lo, s0, v2
	v_add_co_ci_u32_e64 v3, null, s1, v3, vcc_lo
	global_load_dword v4, v[2:3], off
	s_waitcnt vmcnt(0)
	v_cmp_ge_u32_e64 s0, v5, v4
	v_cmp_lt_u32_e32 vcc_lo, v5, v4
	s_and_saveexec_b32 s1, s0
	s_xor_b32 s0, exec_lo, s1
	s_or_saveexec_b32 s1, s0
	v_lshlrev_b64 v[0:1], 3, v[0:1]
                                        ; implicit-def: $vgpr2_vgpr3
	s_xor_b32 exec_lo, exec_lo, s1
	s_cbranch_execz .LBB171_2
; %bb.1:
	v_lshlrev_b32_e32 v2, 3, v5
	v_add_co_u32 v3, s0, s4, v0
	v_add_co_ci_u32_e64 v7, null, s5, v1, s0
	v_add_co_u32 v2, s0, v3, v2
	v_add_co_ci_u32_e64 v3, null, 0, v7, s0
	global_load_dwordx2 v[2:3], v[2:3], off
.LBB171_2:
	s_or_b32 exec_lo, exec_lo, s1
	v_and_b32_e32 v7, 30, v5
	v_and_b32_e32 v9, 1, v5
	s_mov_b32 s2, 0
	s_mov_b32 s1, exec_lo
	v_min_i32_e32 v7, v4, v7
	v_min_i32_e32 v14, v4, v9
	v_mul_u32_u24_e32 v9, 0x108, v6
	; wave barrier
	v_add_nc_u32_e32 v8, 1, v7
	v_lshlrev_b32_e32 v16, 3, v7
	v_min_i32_e32 v11, v4, v8
	v_add_nc_u32_e32 v8, 1, v11
	v_sub_nc_u32_e32 v15, v11, v7
	v_min_i32_e32 v12, v4, v8
	v_lshlrev_b32_e32 v8, 3, v5
	v_min_i32_e32 v15, v14, v15
	v_sub_nc_u32_e32 v10, v12, v11
	v_sub_nc_u32_e32 v13, v14, v10
	v_cmp_ge_i32_e64 s0, v14, v10
	v_mad_u32_u24 v10, 0x108, v6, v8
	v_mad_u32_u24 v6, 0x108, v6, v16
	v_cndmask_b32_e64 v13, 0, v13, s0
	s_waitcnt vmcnt(0)
	ds_write_b64 v10, v[2:3]
	; wave barrier
	v_cmpx_lt_i32_e64 v13, v15
	s_cbranch_execz .LBB171_6
; %bb.3:
	v_lshlrev_b32_e32 v16, 3, v11
	v_lshlrev_b32_e32 v17, 3, v14
	v_add3_u32 v16, v9, v16, v17
	.p2align	6
.LBB171_4:                              ; =>This Inner Loop Header: Depth=1
	v_sub_nc_u32_e32 v17, v15, v13
	v_lshrrev_b32_e32 v17, 1, v17
	v_add_nc_u32_e32 v21, v17, v13
	v_not_b32_e32 v17, v21
	v_lshl_add_u32 v18, v21, 3, v6
	v_lshl_add_u32 v19, v17, 3, v16
	ds_read_b64 v[17:18], v18
	ds_read_b64 v[19:20], v19
	s_waitcnt lgkmcnt(0)
	v_cmp_lt_i64_e64 s0, v[19:20], v[17:18]
	v_add_nc_u32_e32 v17, 1, v21
	v_cndmask_b32_e64 v15, v15, v21, s0
	v_cndmask_b32_e64 v13, v17, v13, s0
	v_cmp_ge_i32_e64 s0, v13, v15
	s_or_b32 s2, s0, s2
	s_andn2_b32 exec_lo, exec_lo, s2
	s_cbranch_execnz .LBB171_4
; %bb.5:
	s_or_b32 exec_lo, exec_lo, s2
.LBB171_6:
	s_or_b32 exec_lo, exec_lo, s1
	v_add_nc_u32_e32 v14, v11, v14
	v_lshl_add_u32 v6, v13, 3, v6
	v_add_nc_u32_e32 v7, v13, v7
	v_add_co_u32 v2, s3, v2, 1
	v_sub_nc_u32_e32 v18, v14, v13
	v_add_co_ci_u32_e64 v3, null, 0, v3, s3
	v_cmp_le_i32_e64 s0, v11, v7
	v_lshl_add_u32 v16, v18, 3, v9
	v_cmp_gt_i32_e64 s1, v12, v18
	ds_read_b64 v[14:15], v6
	ds_read_b64 v[16:17], v16
	v_and_b32_e32 v6, 28, v5
	; wave barrier
	ds_write_b64 v10, v[2:3]
	v_and_b32_e32 v2, 3, v5
	v_min_i32_e32 v6, v4, v6
	; wave barrier
	v_add_nc_u32_e32 v13, 2, v6
	v_min_i32_e32 v11, v4, v13
	s_waitcnt lgkmcnt(1)
	v_cmp_lt_i64_e64 s2, v[16:17], v[14:15]
	v_add_nc_u32_e32 v12, 2, v11
	v_min_i32_e32 v12, v4, v12
	s_or_b32 s0, s0, s2
	s_mov_b32 s2, 0
	s_and_b32 s0, s1, s0
	v_cndmask_b32_e64 v7, v7, v18, s0
	v_sub_nc_u32_e32 v13, v12, v11
	v_cndmask_b32_e64 v17, v15, v17, s0
	v_sub_nc_u32_e32 v18, v11, v6
	v_cndmask_b32_e64 v16, v14, v16, s0
	v_lshl_add_u32 v3, v7, 3, v9
	v_min_i32_e32 v7, v4, v2
	v_lshl_add_u32 v14, v6, 3, v9
	ds_read_b64 v[2:3], v3
	v_sub_nc_u32_e32 v15, v7, v13
	v_cmp_ge_i32_e64 s1, v7, v13
	; wave barrier
	ds_write_b64 v10, v[16:17]
	v_cndmask_b32_e64 v13, 0, v15, s1
	v_min_i32_e32 v15, v7, v18
	s_mov_b32 s1, exec_lo
	; wave barrier
	v_cmpx_lt_i32_e64 v13, v15
	s_cbranch_execz .LBB171_10
; %bb.7:
	v_lshlrev_b32_e32 v16, 3, v11
	v_lshlrev_b32_e32 v17, 3, v7
	v_add3_u32 v16, v9, v16, v17
	.p2align	6
.LBB171_8:                              ; =>This Inner Loop Header: Depth=1
	v_sub_nc_u32_e32 v17, v15, v13
	v_lshrrev_b32_e32 v17, 1, v17
	v_add_nc_u32_e32 v21, v17, v13
	v_not_b32_e32 v17, v21
	v_lshl_add_u32 v18, v21, 3, v14
	v_lshl_add_u32 v19, v17, 3, v16
	ds_read_b64 v[17:18], v18
	ds_read_b64 v[19:20], v19
	s_waitcnt lgkmcnt(0)
	v_cmp_lt_i64_e64 s0, v[19:20], v[17:18]
	v_add_nc_u32_e32 v17, 1, v21
	v_cndmask_b32_e64 v15, v15, v21, s0
	v_cndmask_b32_e64 v13, v17, v13, s0
	v_cmp_ge_i32_e64 s0, v13, v15
	s_or_b32 s2, s0, s2
	s_andn2_b32 exec_lo, exec_lo, s2
	s_cbranch_execnz .LBB171_8
; %bb.9:
	s_or_b32 exec_lo, exec_lo, s2
.LBB171_10:
	s_or_b32 exec_lo, exec_lo, s1
	v_add_nc_u32_e32 v7, v11, v7
	v_add_nc_u32_e32 v6, v13, v6
	v_sub_nc_u32_e32 v18, v7, v13
	v_lshl_add_u32 v7, v13, 3, v14
	v_cmp_le_i32_e64 s1, v11, v6
	v_lshl_add_u32 v16, v18, 3, v9
	v_cmp_gt_i32_e64 s2, v12, v18
	ds_read_b64 v[14:15], v7
	ds_read_b64 v[16:17], v16
	v_and_b32_e32 v7, 24, v5
	; wave barrier
	s_waitcnt lgkmcnt(3)
	ds_write_b64 v10, v[2:3]
	v_and_b32_e32 v2, 7, v5
	v_min_i32_e32 v7, v4, v7
	; wave barrier
	v_add_nc_u32_e32 v13, 4, v7
	v_min_i32_e32 v11, v4, v13
	s_waitcnt lgkmcnt(1)
	v_cmp_lt_i64_e64 s0, v[16:17], v[14:15]
	v_add_nc_u32_e32 v12, 4, v11
	v_min_i32_e32 v12, v4, v12
	s_or_b32 s0, s1, s0
	s_and_b32 s0, s2, s0
	s_mov_b32 s2, 0
	v_cndmask_b32_e64 v6, v6, v18, s0
	v_sub_nc_u32_e32 v13, v12, v11
	v_cndmask_b32_e64 v17, v15, v17, s0
	v_sub_nc_u32_e32 v18, v11, v7
	v_cndmask_b32_e64 v16, v14, v16, s0
	v_lshl_add_u32 v3, v6, 3, v9
	v_min_i32_e32 v6, v4, v2
	v_lshl_add_u32 v14, v7, 3, v9
	ds_read_b64 v[2:3], v3
	v_sub_nc_u32_e32 v15, v6, v13
	v_cmp_ge_i32_e64 s1, v6, v13
	; wave barrier
	ds_write_b64 v10, v[16:17]
	v_cndmask_b32_e64 v13, 0, v15, s1
	v_min_i32_e32 v15, v6, v18
	s_mov_b32 s1, exec_lo
	; wave barrier
	v_cmpx_lt_i32_e64 v13, v15
	s_cbranch_execz .LBB171_14
; %bb.11:
	v_lshlrev_b32_e32 v16, 3, v11
	v_lshlrev_b32_e32 v17, 3, v6
	v_add3_u32 v16, v9, v16, v17
	.p2align	6
.LBB171_12:                             ; =>This Inner Loop Header: Depth=1
	v_sub_nc_u32_e32 v17, v15, v13
	v_lshrrev_b32_e32 v17, 1, v17
	v_add_nc_u32_e32 v21, v17, v13
	v_not_b32_e32 v17, v21
	v_lshl_add_u32 v18, v21, 3, v14
	v_lshl_add_u32 v19, v17, 3, v16
	ds_read_b64 v[17:18], v18
	ds_read_b64 v[19:20], v19
	s_waitcnt lgkmcnt(0)
	v_cmp_lt_i64_e64 s0, v[19:20], v[17:18]
	v_add_nc_u32_e32 v17, 1, v21
	v_cndmask_b32_e64 v15, v15, v21, s0
	v_cndmask_b32_e64 v13, v17, v13, s0
	v_cmp_ge_i32_e64 s0, v13, v15
	s_or_b32 s2, s0, s2
	s_andn2_b32 exec_lo, exec_lo, s2
	s_cbranch_execnz .LBB171_12
; %bb.13:
	s_or_b32 exec_lo, exec_lo, s2
.LBB171_14:
	s_or_b32 exec_lo, exec_lo, s1
	v_add_nc_u32_e32 v6, v11, v6
	v_sub_nc_u32_e32 v18, v6, v13
	v_lshl_add_u32 v6, v13, 3, v14
	v_add_nc_u32_e32 v13, v13, v7
	v_lshl_add_u32 v16, v18, 3, v9
	v_cmp_gt_i32_e64 s2, v12, v18
	v_cmp_le_i32_e64 s1, v11, v13
	ds_read_b64 v[14:15], v6
	ds_read_b64 v[16:17], v16
	v_and_b32_e32 v6, 16, v5
	; wave barrier
	s_waitcnt lgkmcnt(3)
	ds_write_b64 v10, v[2:3]
	v_and_b32_e32 v2, 15, v5
	v_min_i32_e32 v6, v4, v6
	; wave barrier
	v_add_nc_u32_e32 v7, 8, v6
	v_min_i32_e32 v7, v4, v7
	s_waitcnt lgkmcnt(1)
	v_cmp_lt_i64_e64 s0, v[16:17], v[14:15]
	v_add_nc_u32_e32 v11, 8, v7
	v_min_i32_e32 v11, v4, v11
	s_or_b32 s0, s1, s0
	s_and_b32 s0, s2, s0
	s_mov_b32 s2, 0
	v_cndmask_b32_e64 v12, v13, v18, s0
	v_sub_nc_u32_e32 v13, v11, v7
	v_cndmask_b32_e64 v17, v15, v17, s0
	v_sub_nc_u32_e32 v18, v7, v6
	v_cndmask_b32_e64 v16, v14, v16, s0
	v_lshl_add_u32 v3, v12, 3, v9
	v_min_i32_e32 v12, v4, v2
	v_lshl_add_u32 v14, v6, 3, v9
	ds_read_b64 v[2:3], v3
	v_sub_nc_u32_e32 v15, v12, v13
	v_cmp_ge_i32_e64 s1, v12, v13
	; wave barrier
	ds_write_b64 v10, v[16:17]
	v_cndmask_b32_e64 v13, 0, v15, s1
	v_min_i32_e32 v15, v12, v18
	s_mov_b32 s1, exec_lo
	; wave barrier
	v_cmpx_lt_i32_e64 v13, v15
	s_cbranch_execz .LBB171_18
; %bb.15:
	v_lshlrev_b32_e32 v16, 3, v7
	v_lshlrev_b32_e32 v17, 3, v12
	v_add3_u32 v16, v9, v16, v17
	.p2align	6
.LBB171_16:                             ; =>This Inner Loop Header: Depth=1
	v_sub_nc_u32_e32 v17, v15, v13
	v_lshrrev_b32_e32 v17, 1, v17
	v_add_nc_u32_e32 v21, v17, v13
	v_not_b32_e32 v17, v21
	v_lshl_add_u32 v18, v21, 3, v14
	v_lshl_add_u32 v19, v17, 3, v16
	ds_read_b64 v[17:18], v18
	ds_read_b64 v[19:20], v19
	s_waitcnt lgkmcnt(0)
	v_cmp_lt_i64_e64 s0, v[19:20], v[17:18]
	v_add_nc_u32_e32 v17, 1, v21
	v_cndmask_b32_e64 v15, v15, v21, s0
	v_cndmask_b32_e64 v13, v17, v13, s0
	v_cmp_ge_i32_e64 s0, v13, v15
	s_or_b32 s2, s0, s2
	s_andn2_b32 exec_lo, exec_lo, s2
	s_cbranch_execnz .LBB171_16
; %bb.17:
	s_or_b32 exec_lo, exec_lo, s2
.LBB171_18:
	s_or_b32 exec_lo, exec_lo, s1
	v_add_nc_u32_e32 v12, v7, v12
	v_add_nc_u32_e32 v6, v13, v6
	v_sub_nc_u32_e32 v19, v12, v13
	v_lshl_add_u32 v12, v13, 3, v14
	v_cmp_le_i32_e64 s1, v7, v6
	v_lshl_add_u32 v14, v19, 3, v9
	v_cmp_gt_i32_e64 s2, v11, v19
	ds_read_b64 v[15:16], v12
	ds_read_b64 v[17:18], v14
	v_min_i32_e32 v12, 0, v4
	; wave barrier
	s_waitcnt lgkmcnt(3)
	ds_write_b64 v10, v[2:3]
	v_add_nc_u32_e32 v13, 16, v12
	; wave barrier
	v_min_i32_e32 v11, v4, v13
	v_add_nc_u32_e32 v7, 16, v11
	s_waitcnt lgkmcnt(1)
	v_cmp_lt_i64_e64 s0, v[17:18], v[15:16]
	v_min_i32_e32 v13, v4, v7
	v_min_i32_e32 v4, v4, v5
	v_sub_nc_u32_e32 v7, v11, v12
	v_sub_nc_u32_e32 v5, v13, v11
	s_or_b32 s0, s1, s0
	s_and_b32 s0, s2, s0
	s_mov_b32 s2, 0
	v_cndmask_b32_e64 v6, v6, v19, s0
	v_cmp_ge_i32_e64 s1, v4, v5
	v_cndmask_b32_e64 v16, v16, v18, s0
	v_cndmask_b32_e64 v15, v15, v17, s0
	v_lshl_add_u32 v2, v6, 3, v9
	v_sub_nc_u32_e32 v6, v4, v5
	v_lshl_add_u32 v5, v12, 3, v9
	ds_read_b64 v[2:3], v2
	v_cndmask_b32_e64 v14, 0, v6, s1
	v_min_i32_e32 v6, v4, v7
	s_mov_b32 s1, exec_lo
	; wave barrier
	ds_write_b64 v10, v[15:16]
	; wave barrier
	v_cmpx_lt_i32_e64 v14, v6
	s_cbranch_execz .LBB171_22
; %bb.19:
	v_lshlrev_b32_e32 v7, 3, v11
	v_lshlrev_b32_e32 v15, 3, v4
	v_add3_u32 v7, v9, v7, v15
	.p2align	6
.LBB171_20:                             ; =>This Inner Loop Header: Depth=1
	v_sub_nc_u32_e32 v15, v6, v14
	v_lshrrev_b32_e32 v15, 1, v15
	v_add_nc_u32_e32 v19, v15, v14
	v_not_b32_e32 v15, v19
	v_lshl_add_u32 v16, v19, 3, v5
	v_lshl_add_u32 v17, v15, 3, v7
	ds_read_b64 v[15:16], v16
	ds_read_b64 v[17:18], v17
	s_waitcnt lgkmcnt(0)
	v_cmp_lt_i64_e64 s0, v[17:18], v[15:16]
	v_add_nc_u32_e32 v15, 1, v19
	v_cndmask_b32_e64 v6, v6, v19, s0
	v_cndmask_b32_e64 v14, v15, v14, s0
	v_cmp_ge_i32_e64 s0, v14, v6
	s_or_b32 s2, s0, s2
	s_andn2_b32 exec_lo, exec_lo, s2
	s_cbranch_execnz .LBB171_20
; %bb.21:
	s_or_b32 exec_lo, exec_lo, s2
.LBB171_22:
	s_or_b32 exec_lo, exec_lo, s1
	v_add_nc_u32_e32 v4, v11, v4
	v_sub_nc_u32_e32 v15, v4, v14
	v_lshl_add_u32 v4, v14, 3, v5
	v_lshl_add_u32 v6, v15, 3, v9
	ds_read_b64 v[4:5], v4
	ds_read_b64 v[6:7], v6
	; wave barrier
	s_waitcnt lgkmcnt(3)
	ds_write_b64 v10, v[2:3]
	; wave barrier
	s_and_saveexec_b32 s0, vcc_lo
	s_cbranch_execz .LBB171_24
; %bb.23:
	v_add_nc_u32_e32 v2, v14, v12
	s_waitcnt lgkmcnt(1)
	v_cmp_lt_i64_e32 vcc_lo, v[6:7], v[4:5]
	v_cmp_gt_i32_e64 s1, v13, v15
	v_cmp_le_i32_e64 s0, v11, v2
	s_or_b32 s0, s0, vcc_lo
	s_and_b32 vcc_lo, s1, s0
	v_cndmask_b32_e32 v2, v2, v15, vcc_lo
	v_cndmask_b32_e32 v4, v4, v6, vcc_lo
	;; [unrolled: 1-line block ×3, first 2 shown]
	v_add_co_u32 v6, vcc_lo, s6, v0
	v_lshl_add_u32 v2, v2, 3, v9
	v_add_co_ci_u32_e64 v7, null, s7, v1, vcc_lo
	ds_read_b64 v[2:3], v2
	s_waitcnt lgkmcnt(0)
	v_add_co_u32 v0, vcc_lo, v2, v4
	v_add_co_ci_u32_e64 v1, null, v3, v5, vcc_lo
	v_add_co_u32 v2, vcc_lo, v6, v8
	v_add_co_ci_u32_e64 v3, null, 0, v7, vcc_lo
	global_store_dwordx2 v[2:3], v[0:1], off
.LBB171_24:
	s_endpgm
	.section	.rodata,"a",@progbits
	.p2align	6, 0x0
	.amdhsa_kernel _Z20sort_pairs_segmentedILj256ELj32ELj1ExN10test_utils4lessEEvPKT2_PS2_PKjT3_
		.amdhsa_group_segment_fixed_size 2112
		.amdhsa_private_segment_fixed_size 0
		.amdhsa_kernarg_size 28
		.amdhsa_user_sgpr_count 6
		.amdhsa_user_sgpr_private_segment_buffer 1
		.amdhsa_user_sgpr_dispatch_ptr 0
		.amdhsa_user_sgpr_queue_ptr 0
		.amdhsa_user_sgpr_kernarg_segment_ptr 1
		.amdhsa_user_sgpr_dispatch_id 0
		.amdhsa_user_sgpr_flat_scratch_init 0
		.amdhsa_user_sgpr_private_segment_size 0
		.amdhsa_wavefront_size32 1
		.amdhsa_uses_dynamic_stack 0
		.amdhsa_system_sgpr_private_segment_wavefront_offset 0
		.amdhsa_system_sgpr_workgroup_id_x 1
		.amdhsa_system_sgpr_workgroup_id_y 0
		.amdhsa_system_sgpr_workgroup_id_z 0
		.amdhsa_system_sgpr_workgroup_info 0
		.amdhsa_system_vgpr_workitem_id 0
		.amdhsa_next_free_vgpr 22
		.amdhsa_next_free_sgpr 8
		.amdhsa_reserve_vcc 1
		.amdhsa_reserve_flat_scratch 0
		.amdhsa_float_round_mode_32 0
		.amdhsa_float_round_mode_16_64 0
		.amdhsa_float_denorm_mode_32 3
		.amdhsa_float_denorm_mode_16_64 3
		.amdhsa_dx10_clamp 1
		.amdhsa_ieee_mode 1
		.amdhsa_fp16_overflow 0
		.amdhsa_workgroup_processor_mode 1
		.amdhsa_memory_ordered 1
		.amdhsa_forward_progress 1
		.amdhsa_shared_vgpr_count 0
		.amdhsa_exception_fp_ieee_invalid_op 0
		.amdhsa_exception_fp_denorm_src 0
		.amdhsa_exception_fp_ieee_div_zero 0
		.amdhsa_exception_fp_ieee_overflow 0
		.amdhsa_exception_fp_ieee_underflow 0
		.amdhsa_exception_fp_ieee_inexact 0
		.amdhsa_exception_int_div_zero 0
	.end_amdhsa_kernel
	.section	.text._Z20sort_pairs_segmentedILj256ELj32ELj1ExN10test_utils4lessEEvPKT2_PS2_PKjT3_,"axG",@progbits,_Z20sort_pairs_segmentedILj256ELj32ELj1ExN10test_utils4lessEEvPKT2_PS2_PKjT3_,comdat
.Lfunc_end171:
	.size	_Z20sort_pairs_segmentedILj256ELj32ELj1ExN10test_utils4lessEEvPKT2_PS2_PKjT3_, .Lfunc_end171-_Z20sort_pairs_segmentedILj256ELj32ELj1ExN10test_utils4lessEEvPKT2_PS2_PKjT3_
                                        ; -- End function
	.set _Z20sort_pairs_segmentedILj256ELj32ELj1ExN10test_utils4lessEEvPKT2_PS2_PKjT3_.num_vgpr, 22
	.set _Z20sort_pairs_segmentedILj256ELj32ELj1ExN10test_utils4lessEEvPKT2_PS2_PKjT3_.num_agpr, 0
	.set _Z20sort_pairs_segmentedILj256ELj32ELj1ExN10test_utils4lessEEvPKT2_PS2_PKjT3_.numbered_sgpr, 8
	.set _Z20sort_pairs_segmentedILj256ELj32ELj1ExN10test_utils4lessEEvPKT2_PS2_PKjT3_.num_named_barrier, 0
	.set _Z20sort_pairs_segmentedILj256ELj32ELj1ExN10test_utils4lessEEvPKT2_PS2_PKjT3_.private_seg_size, 0
	.set _Z20sort_pairs_segmentedILj256ELj32ELj1ExN10test_utils4lessEEvPKT2_PS2_PKjT3_.uses_vcc, 1
	.set _Z20sort_pairs_segmentedILj256ELj32ELj1ExN10test_utils4lessEEvPKT2_PS2_PKjT3_.uses_flat_scratch, 0
	.set _Z20sort_pairs_segmentedILj256ELj32ELj1ExN10test_utils4lessEEvPKT2_PS2_PKjT3_.has_dyn_sized_stack, 0
	.set _Z20sort_pairs_segmentedILj256ELj32ELj1ExN10test_utils4lessEEvPKT2_PS2_PKjT3_.has_recursion, 0
	.set _Z20sort_pairs_segmentedILj256ELj32ELj1ExN10test_utils4lessEEvPKT2_PS2_PKjT3_.has_indirect_call, 0
	.section	.AMDGPU.csdata,"",@progbits
; Kernel info:
; codeLenInByte = 2216
; TotalNumSgprs: 10
; NumVgprs: 22
; ScratchSize: 0
; MemoryBound: 0
; FloatMode: 240
; IeeeMode: 1
; LDSByteSize: 2112 bytes/workgroup (compile time only)
; SGPRBlocks: 0
; VGPRBlocks: 2
; NumSGPRsForWavesPerEU: 10
; NumVGPRsForWavesPerEU: 22
; Occupancy: 16
; WaveLimiterHint : 0
; COMPUTE_PGM_RSRC2:SCRATCH_EN: 0
; COMPUTE_PGM_RSRC2:USER_SGPR: 6
; COMPUTE_PGM_RSRC2:TRAP_HANDLER: 0
; COMPUTE_PGM_RSRC2:TGID_X_EN: 1
; COMPUTE_PGM_RSRC2:TGID_Y_EN: 0
; COMPUTE_PGM_RSRC2:TGID_Z_EN: 0
; COMPUTE_PGM_RSRC2:TIDIG_COMP_CNT: 0
	.section	.text._Z9sort_keysILj256ELj32ELj4ExN10test_utils4lessEEvPKT2_PS2_T3_,"axG",@progbits,_Z9sort_keysILj256ELj32ELj4ExN10test_utils4lessEEvPKT2_PS2_T3_,comdat
	.protected	_Z9sort_keysILj256ELj32ELj4ExN10test_utils4lessEEvPKT2_PS2_T3_ ; -- Begin function _Z9sort_keysILj256ELj32ELj4ExN10test_utils4lessEEvPKT2_PS2_T3_
	.globl	_Z9sort_keysILj256ELj32ELj4ExN10test_utils4lessEEvPKT2_PS2_T3_
	.p2align	8
	.type	_Z9sort_keysILj256ELj32ELj4ExN10test_utils4lessEEvPKT2_PS2_T3_,@function
_Z9sort_keysILj256ELj32ELj4ExN10test_utils4lessEEvPKT2_PS2_T3_: ; @_Z9sort_keysILj256ELj32ELj4ExN10test_utils4lessEEvPKT2_PS2_T3_
; %bb.0:
	s_load_dwordx4 s[8:11], s[4:5], 0x0
	s_mov_b32 s3, 0
	s_lshl_b32 s2, s6, 10
	v_lshlrev_b32_e32 v1, 5, v0
	s_lshl_b64 s[4:5], s[2:3], 3
	v_mbcnt_lo_u32_b32 v2, -1, 0
	v_lshlrev_b32_e32 v16, 2, v0
	v_mov_b32_e32 v9, 0
	v_lshlrev_b32_e32 v18, 2, v2
	v_lshlrev_b32_e32 v2, 5, v2
	v_and_b32_e32 v8, 0x78, v18
	v_and_b32_e32 v4, 4, v18
	v_or_b32_e32 v20, 4, v8
	s_waitcnt lgkmcnt(0)
	s_add_u32 s0, s8, s4
	s_addc_u32 s1, s9, s5
	s_clause 0x1
	global_load_dwordx4 v[10:13], v1, s[0:1]
	global_load_dwordx4 v[21:24], v1, s[0:1] offset:16
	v_lshrrev_b32_e32 v1, 5, v0
	v_sub_nc_u32_e32 v5, v20, v8
	v_lshlrev_b32_e32 v3, 3, v8
	; wave barrier
	v_mad_u32_u24 v19, 0x408, v1, v2
	v_min_i32_e32 v2, v4, v5
	v_mad_u32_u24 v0, 0x408, v1, v3
	s_waitcnt vmcnt(1)
	v_cmp_gt_i64_e32 vcc_lo, v[12:13], v[10:11]
	s_waitcnt vmcnt(0)
	v_cmp_lt_i64_e64 s0, v[23:24], v[21:22]
	v_cmp_lt_i64_e64 s1, v[12:13], v[10:11]
	v_cndmask_b32_e32 v6, v11, v13, vcc_lo
	v_cndmask_b32_e32 v5, v10, v12, vcc_lo
	v_cmp_gt_i64_e32 vcc_lo, v[23:24], v[21:22]
	v_cndmask_b32_e64 v15, v22, v24, s0
	v_cndmask_b32_e64 v14, v21, v23, s0
	;; [unrolled: 1-line block ×5, first 2 shown]
	v_cndmask_b32_e32 v25, v22, v24, vcc_lo
	v_cndmask_b32_e64 v10, v10, v12, s1
	v_cmp_gt_i64_e64 s1, v[14:15], v[5:6]
	v_cmp_lt_i64_e64 s2, v[14:15], v[5:6]
	v_cndmask_b32_e64 v12, v24, v22, s0
	v_cndmask_b32_e32 v24, v21, v23, vcc_lo
	v_cndmask_b32_e64 v7, v23, v21, s0
	v_cmp_lt_i64_e32 vcc_lo, v[14:15], v[10:11]
	v_cndmask_b32_e64 v23, v5, v14, s1
	v_cndmask_b32_e64 v26, v6, v15, s1
	v_cmp_gt_i64_e64 s0, v[5:6], v[24:25]
	v_cndmask_b32_e64 v21, v6, v15, s2
	v_cndmask_b32_e64 v28, v5, v14, s2
	;; [unrolled: 1-line block ×5, first 2 shown]
	v_cndmask_b32_e32 v6, v11, v21, vcc_lo
	v_cndmask_b32_e64 v12, v12, v26, s0
	v_cndmask_b32_e32 v22, v21, v11, vcc_lo
	v_cndmask_b32_e32 v21, v28, v10, vcc_lo
	v_cndmask_b32_e64 v27, v26, v25, s0
	v_cndmask_b32_e64 v26, v23, v24, s0
	;; [unrolled: 1-line block ×4, first 2 shown]
	v_cndmask_b32_e32 v15, v15, v11, vcc_lo
	v_cndmask_b32_e32 v3, v3, v10, vcc_lo
	v_cmp_lt_i64_e64 s1, v[26:27], v[21:22]
	v_cndmask_b32_e32 v5, v10, v28, vcc_lo
	v_cndmask_b32_e64 v10, v29, v24, s0
	v_cndmask_b32_e64 v11, v7, v23, s0
	s_mov_b32 s0, exec_lo
	v_cndmask_b32_e64 v14, v13, v22, s1
	v_cndmask_b32_e64 v23, v15, v27, s1
	;; [unrolled: 1-line block ×4, first 2 shown]
	ds_write2_b64 v19, v[5:6], v[22:23] offset1:1
	ds_write2_b64 v19, v[13:14], v[11:12] offset0:2 offset1:3
	; wave barrier
	v_cmpx_lt_i32_e32 0, v2
	s_cbranch_execz .LBB172_4
; %bb.1:
	v_lshl_add_u32 v3, v4, 3, v0
	v_mov_b32_e32 v9, 0
	.p2align	6
.LBB172_2:                              ; =>This Inner Loop Header: Depth=1
	v_sub_nc_u32_e32 v5, v2, v9
	v_lshrrev_b32_e32 v5, 1, v5
	v_add_nc_u32_e32 v7, v5, v9
	v_not_b32_e32 v5, v7
	v_lshl_add_u32 v6, v7, 3, v0
	v_lshl_add_u32 v10, v5, 3, v3
	ds_read_b64 v[5:6], v6
	ds_read_b64 v[10:11], v10 offset:32
	s_waitcnt lgkmcnt(0)
	v_cmp_lt_i64_e32 vcc_lo, v[10:11], v[5:6]
	v_add_nc_u32_e32 v5, 1, v7
	v_cndmask_b32_e32 v2, v2, v7, vcc_lo
	v_cndmask_b32_e32 v9, v5, v9, vcc_lo
	v_cmp_ge_i32_e32 vcc_lo, v9, v2
	s_or_b32 s3, vcc_lo, s3
	s_andn2_b32 exec_lo, exec_lo, s3
	s_cbranch_execnz .LBB172_2
; %bb.3:
	s_or_b32 exec_lo, exec_lo, s3
.LBB172_4:
	s_or_b32 exec_lo, exec_lo, s0
	v_mul_u32_u24_e32 v17, 0x408, v1
	v_add_nc_u32_e32 v1, v8, v4
	v_lshl_add_u32 v6, v9, 3, v0
	v_add_nc_u32_e32 v4, v20, v4
	v_add_nc_u32_e32 v21, 8, v8
	v_cmp_lt_i32_e64 s0, 3, v9
	v_sub_nc_u32_e32 v1, v1, v9
	v_sub_nc_u32_e32 v10, v4, v9
                                        ; implicit-def: $vgpr4_vgpr5
	v_lshl_add_u32 v11, v1, 3, v17
	ds_read_b64 v[0:1], v6
	ds_read_b64 v[2:3], v11 offset:32
	v_cmp_gt_i32_e64 s1, v21, v10
	s_waitcnt lgkmcnt(0)
	v_cmp_lt_i64_e32 vcc_lo, v[2:3], v[0:1]
	s_or_b32 s0, s0, vcc_lo
	s_and_b32 vcc_lo, s1, s0
	s_xor_b32 s0, vcc_lo, -1
	s_and_saveexec_b32 s1, s0
	s_xor_b32 s0, exec_lo, s1
; %bb.5:
	ds_read_b64 v[4:5], v6 offset:8
                                        ; implicit-def: $vgpr11
; %bb.6:
	s_or_saveexec_b32 s0, s0
	v_mov_b32_e32 v7, v3
	v_mov_b32_e32 v6, v2
	s_xor_b32 exec_lo, exec_lo, s0
	s_cbranch_execz .LBB172_8
; %bb.7:
	ds_read_b64 v[6:7], v11 offset:40
	s_waitcnt lgkmcnt(1)
	v_mov_b32_e32 v5, v1
	v_mov_b32_e32 v4, v0
.LBB172_8:
	s_or_b32 exec_lo, exec_lo, s0
	v_add_nc_u32_e32 v8, v9, v8
	v_add_nc_u32_e32 v11, 1, v10
	s_waitcnt lgkmcnt(0)
	v_cmp_lt_i64_e64 s0, v[6:7], v[4:5]
	v_add_nc_u32_e32 v9, 1, v8
	v_cndmask_b32_e32 v9, v9, v8, vcc_lo
	v_cndmask_b32_e32 v8, v10, v11, vcc_lo
                                        ; implicit-def: $vgpr10_vgpr11
	v_cmp_ge_i32_e64 s1, v9, v20
	v_cmp_lt_i32_e64 s2, v8, v21
	s_or_b32 s0, s1, s0
	s_and_b32 s0, s2, s0
	s_xor_b32 s1, s0, -1
	s_and_saveexec_b32 s2, s1
	s_xor_b32 s1, exec_lo, s2
; %bb.9:
	v_lshl_add_u32 v10, v9, 3, v17
	ds_read_b64 v[10:11], v10 offset:8
; %bb.10:
	s_or_saveexec_b32 s1, s1
	v_mov_b32_e32 v15, v7
	v_mov_b32_e32 v14, v6
	s_xor_b32 exec_lo, exec_lo, s1
	s_cbranch_execz .LBB172_12
; %bb.11:
	s_waitcnt lgkmcnt(0)
	v_lshl_add_u32 v10, v8, 3, v17
	ds_read_b64 v[14:15], v10 offset:8
	v_mov_b32_e32 v11, v5
	v_mov_b32_e32 v10, v4
.LBB172_12:
	s_or_b32 exec_lo, exec_lo, s1
	v_add_nc_u32_e32 v12, 1, v9
	v_add_nc_u32_e32 v13, 1, v8
	s_waitcnt lgkmcnt(0)
	v_cmp_lt_i64_e64 s1, v[14:15], v[10:11]
	v_cndmask_b32_e64 v23, v12, v9, s0
	v_cndmask_b32_e64 v22, v8, v13, s0
                                        ; implicit-def: $vgpr8_vgpr9
	v_cmp_ge_i32_e64 s2, v23, v20
	v_cmp_lt_i32_e64 s3, v22, v21
	s_or_b32 s1, s2, s1
	s_and_b32 s1, s3, s1
	s_xor_b32 s2, s1, -1
	s_and_saveexec_b32 s3, s2
	s_xor_b32 s2, exec_lo, s3
; %bb.13:
	v_lshl_add_u32 v8, v23, 3, v17
	ds_read_b64 v[8:9], v8 offset:8
; %bb.14:
	s_or_saveexec_b32 s2, s2
	v_mov_b32_e32 v12, v14
	v_mov_b32_e32 v13, v15
	s_xor_b32 exec_lo, exec_lo, s2
	s_cbranch_execz .LBB172_16
; %bb.15:
	s_waitcnt lgkmcnt(0)
	v_lshl_add_u32 v8, v22, 3, v17
	ds_read_b64 v[12:13], v8 offset:8
	v_mov_b32_e32 v8, v10
	v_mov_b32_e32 v9, v11
.LBB172_16:
	s_or_b32 exec_lo, exec_lo, s2
	v_add_nc_u32_e32 v24, 1, v23
	v_cndmask_b32_e64 v15, v11, v15, s1
	v_add_nc_u32_e32 v11, 1, v22
	v_cndmask_b32_e64 v14, v10, v14, s1
	v_cndmask_b32_e64 v7, v5, v7, s0
	;; [unrolled: 1-line block ×3, first 2 shown]
	v_and_b32_e32 v10, 0x70, v18
	v_cndmask_b32_e64 v6, v4, v6, s0
	v_cndmask_b32_e64 v4, v22, v11, s1
	s_waitcnt lgkmcnt(0)
	v_cmp_lt_i64_e64 s0, v[12:13], v[8:9]
	v_cmp_ge_i32_e64 s1, v5, v20
	v_or_b32_e32 v20, 8, v10
	v_cndmask_b32_e32 v3, v1, v3, vcc_lo
	v_cmp_lt_i32_e64 s2, v4, v21
	v_and_b32_e32 v4, 12, v18
	s_or_b32 s0, s1, s0
	v_sub_nc_u32_e32 v1, v20, v10
	v_cndmask_b32_e32 v2, v0, v2, vcc_lo
	s_and_b32 vcc_lo, s2, s0
	v_lshl_add_u32 v0, v10, 3, v17
	v_cndmask_b32_e32 v13, v9, v13, vcc_lo
	v_sub_nc_u32_e64 v9, v4, 8 clamp
	v_min_i32_e32 v1, v4, v1
	v_cndmask_b32_e32 v12, v8, v12, vcc_lo
	s_mov_b32 s0, exec_lo
	; wave barrier
	ds_write2_b64 v19, v[2:3], v[6:7] offset1:1
	ds_write2_b64 v19, v[14:15], v[12:13] offset0:2 offset1:3
	; wave barrier
	v_cmpx_lt_i32_e64 v9, v1
	s_cbranch_execz .LBB172_20
; %bb.17:
	v_lshl_add_u32 v2, v4, 3, v0
	s_mov_b32 s1, 0
	.p2align	6
.LBB172_18:                             ; =>This Inner Loop Header: Depth=1
	v_sub_nc_u32_e32 v3, v1, v9
	v_lshrrev_b32_e32 v3, 1, v3
	v_add_nc_u32_e32 v3, v3, v9
	v_not_b32_e32 v5, v3
	v_lshl_add_u32 v6, v3, 3, v0
	v_lshl_add_u32 v7, v5, 3, v2
	ds_read_b64 v[5:6], v6
	ds_read_b64 v[7:8], v7 offset:64
	s_waitcnt lgkmcnt(0)
	v_cmp_lt_i64_e32 vcc_lo, v[7:8], v[5:6]
	v_add_nc_u32_e32 v5, 1, v3
	v_cndmask_b32_e32 v1, v1, v3, vcc_lo
	v_cndmask_b32_e32 v9, v5, v9, vcc_lo
	v_cmp_ge_i32_e32 vcc_lo, v9, v1
	s_or_b32 s1, vcc_lo, s1
	s_andn2_b32 exec_lo, exec_lo, s1
	s_cbranch_execnz .LBB172_18
; %bb.19:
	s_or_b32 exec_lo, exec_lo, s1
.LBB172_20:
	s_or_b32 exec_lo, exec_lo, s0
	v_add_nc_u32_e32 v1, v10, v4
	v_lshl_add_u32 v6, v9, 3, v0
	v_add_nc_u32_e32 v4, v20, v4
	v_add_nc_u32_e32 v21, 16, v10
	v_cmp_lt_i32_e64 s0, 7, v9
	v_sub_nc_u32_e32 v1, v1, v9
	v_sub_nc_u32_e32 v8, v4, v9
                                        ; implicit-def: $vgpr4_vgpr5
	v_lshl_add_u32 v11, v1, 3, v17
	ds_read_b64 v[0:1], v6
	ds_read_b64 v[2:3], v11 offset:64
	v_cmp_gt_i32_e64 s1, v21, v8
	s_waitcnt lgkmcnt(0)
	v_cmp_lt_i64_e32 vcc_lo, v[2:3], v[0:1]
	s_or_b32 s0, s0, vcc_lo
	s_and_b32 vcc_lo, s1, s0
	s_xor_b32 s0, vcc_lo, -1
	s_and_saveexec_b32 s1, s0
	s_xor_b32 s0, exec_lo, s1
; %bb.21:
	ds_read_b64 v[4:5], v6 offset:8
                                        ; implicit-def: $vgpr11
; %bb.22:
	s_or_saveexec_b32 s0, s0
	v_mov_b32_e32 v7, v3
	v_mov_b32_e32 v6, v2
	s_xor_b32 exec_lo, exec_lo, s0
	s_cbranch_execz .LBB172_24
; %bb.23:
	ds_read_b64 v[6:7], v11 offset:72
	s_waitcnt lgkmcnt(1)
	v_mov_b32_e32 v5, v1
	v_mov_b32_e32 v4, v0
.LBB172_24:
	s_or_b32 exec_lo, exec_lo, s0
	v_add_nc_u32_e32 v9, v9, v10
	v_add_nc_u32_e32 v11, 1, v8
	s_waitcnt lgkmcnt(0)
	v_cmp_lt_i64_e64 s0, v[6:7], v[4:5]
	v_add_nc_u32_e32 v10, 1, v9
	v_cndmask_b32_e32 v8, v8, v11, vcc_lo
	v_cndmask_b32_e32 v9, v10, v9, vcc_lo
	v_cmp_lt_i32_e64 s2, v8, v21
                                        ; implicit-def: $vgpr10_vgpr11
	v_cmp_ge_i32_e64 s1, v9, v20
	s_or_b32 s0, s1, s0
	s_and_b32 s0, s2, s0
	s_xor_b32 s1, s0, -1
	s_and_saveexec_b32 s2, s1
	s_xor_b32 s1, exec_lo, s2
; %bb.25:
	v_lshl_add_u32 v10, v9, 3, v17
	ds_read_b64 v[10:11], v10 offset:8
; %bb.26:
	s_or_saveexec_b32 s1, s1
	v_mov_b32_e32 v15, v7
	v_mov_b32_e32 v14, v6
	s_xor_b32 exec_lo, exec_lo, s1
	s_cbranch_execz .LBB172_28
; %bb.27:
	s_waitcnt lgkmcnt(0)
	v_lshl_add_u32 v10, v8, 3, v17
	ds_read_b64 v[14:15], v10 offset:8
	v_mov_b32_e32 v11, v5
	v_mov_b32_e32 v10, v4
.LBB172_28:
	s_or_b32 exec_lo, exec_lo, s1
	v_add_nc_u32_e32 v12, 1, v9
	v_add_nc_u32_e32 v13, 1, v8
	s_waitcnt lgkmcnt(0)
	v_cmp_lt_i64_e64 s1, v[14:15], v[10:11]
	v_cndmask_b32_e64 v23, v12, v9, s0
	v_cndmask_b32_e64 v22, v8, v13, s0
                                        ; implicit-def: $vgpr8_vgpr9
	v_cmp_ge_i32_e64 s2, v23, v20
	v_cmp_lt_i32_e64 s3, v22, v21
	s_or_b32 s1, s2, s1
	s_and_b32 s1, s3, s1
	s_xor_b32 s2, s1, -1
	s_and_saveexec_b32 s3, s2
	s_xor_b32 s2, exec_lo, s3
; %bb.29:
	v_lshl_add_u32 v8, v23, 3, v17
	ds_read_b64 v[8:9], v8 offset:8
; %bb.30:
	s_or_saveexec_b32 s2, s2
	v_mov_b32_e32 v12, v14
	v_mov_b32_e32 v13, v15
	s_xor_b32 exec_lo, exec_lo, s2
	s_cbranch_execz .LBB172_32
; %bb.31:
	s_waitcnt lgkmcnt(0)
	v_lshl_add_u32 v8, v22, 3, v17
	ds_read_b64 v[12:13], v8 offset:8
	v_mov_b32_e32 v8, v10
	v_mov_b32_e32 v9, v11
.LBB172_32:
	s_or_b32 exec_lo, exec_lo, s2
	v_add_nc_u32_e32 v24, 1, v23
	v_cndmask_b32_e64 v15, v11, v15, s1
	v_add_nc_u32_e32 v11, 1, v22
	v_cndmask_b32_e64 v14, v10, v14, s1
	v_cndmask_b32_e64 v7, v5, v7, s0
	v_cndmask_b32_e64 v5, v24, v23, s1
	v_and_b32_e32 v10, 0x60, v18
	v_cndmask_b32_e64 v6, v4, v6, s0
	v_cndmask_b32_e64 v4, v22, v11, s1
	s_waitcnt lgkmcnt(0)
	v_cmp_lt_i64_e64 s0, v[12:13], v[8:9]
	v_cmp_ge_i32_e64 s1, v5, v20
	v_or_b32_e32 v20, 16, v10
	v_cndmask_b32_e32 v3, v1, v3, vcc_lo
	v_cmp_lt_i32_e64 s2, v4, v21
	v_and_b32_e32 v4, 28, v18
	s_or_b32 s0, s1, s0
	v_sub_nc_u32_e32 v1, v20, v10
	v_cndmask_b32_e32 v2, v0, v2, vcc_lo
	s_and_b32 vcc_lo, s2, s0
	v_lshl_add_u32 v0, v10, 3, v17
	v_cndmask_b32_e32 v13, v9, v13, vcc_lo
	v_sub_nc_u32_e64 v9, v4, 16 clamp
	v_min_i32_e32 v1, v4, v1
	v_cndmask_b32_e32 v12, v8, v12, vcc_lo
	s_mov_b32 s0, exec_lo
	; wave barrier
	ds_write2_b64 v19, v[2:3], v[6:7] offset1:1
	ds_write2_b64 v19, v[14:15], v[12:13] offset0:2 offset1:3
	; wave barrier
	v_cmpx_lt_i32_e64 v9, v1
	s_cbranch_execz .LBB172_36
; %bb.33:
	v_lshl_add_u32 v2, v4, 3, v0
	s_mov_b32 s1, 0
	.p2align	6
.LBB172_34:                             ; =>This Inner Loop Header: Depth=1
	v_sub_nc_u32_e32 v3, v1, v9
	v_lshrrev_b32_e32 v3, 1, v3
	v_add_nc_u32_e32 v3, v3, v9
	v_not_b32_e32 v5, v3
	v_lshl_add_u32 v6, v3, 3, v0
	v_lshl_add_u32 v7, v5, 3, v2
	ds_read_b64 v[5:6], v6
	ds_read_b64 v[7:8], v7 offset:128
	s_waitcnt lgkmcnt(0)
	v_cmp_lt_i64_e32 vcc_lo, v[7:8], v[5:6]
	v_add_nc_u32_e32 v5, 1, v3
	v_cndmask_b32_e32 v1, v1, v3, vcc_lo
	v_cndmask_b32_e32 v9, v5, v9, vcc_lo
	v_cmp_ge_i32_e32 vcc_lo, v9, v1
	s_or_b32 s1, vcc_lo, s1
	s_andn2_b32 exec_lo, exec_lo, s1
	s_cbranch_execnz .LBB172_34
; %bb.35:
	s_or_b32 exec_lo, exec_lo, s1
.LBB172_36:
	s_or_b32 exec_lo, exec_lo, s0
	v_add_nc_u32_e32 v1, v10, v4
	v_lshl_add_u32 v6, v9, 3, v0
	v_add_nc_u32_e32 v4, v20, v4
	v_add_nc_u32_e32 v21, 32, v10
	v_cmp_lt_i32_e64 s0, 15, v9
	v_sub_nc_u32_e32 v1, v1, v9
	v_sub_nc_u32_e32 v8, v4, v9
                                        ; implicit-def: $vgpr4_vgpr5
	v_lshl_add_u32 v11, v1, 3, v17
	ds_read_b64 v[0:1], v6
	ds_read_b64 v[2:3], v11 offset:128
	v_cmp_gt_i32_e64 s1, v21, v8
	s_waitcnt lgkmcnt(0)
	v_cmp_lt_i64_e32 vcc_lo, v[2:3], v[0:1]
	s_or_b32 s0, s0, vcc_lo
	s_and_b32 vcc_lo, s1, s0
	s_xor_b32 s0, vcc_lo, -1
	s_and_saveexec_b32 s1, s0
	s_xor_b32 s0, exec_lo, s1
; %bb.37:
	ds_read_b64 v[4:5], v6 offset:8
                                        ; implicit-def: $vgpr11
; %bb.38:
	s_or_saveexec_b32 s0, s0
	v_mov_b32_e32 v7, v3
	v_mov_b32_e32 v6, v2
	s_xor_b32 exec_lo, exec_lo, s0
	s_cbranch_execz .LBB172_40
; %bb.39:
	ds_read_b64 v[6:7], v11 offset:136
	s_waitcnt lgkmcnt(1)
	v_mov_b32_e32 v5, v1
	v_mov_b32_e32 v4, v0
.LBB172_40:
	s_or_b32 exec_lo, exec_lo, s0
	v_add_nc_u32_e32 v9, v9, v10
	v_add_nc_u32_e32 v11, 1, v8
	s_waitcnt lgkmcnt(0)
	v_cmp_lt_i64_e64 s0, v[6:7], v[4:5]
	v_add_nc_u32_e32 v10, 1, v9
	v_cndmask_b32_e32 v8, v8, v11, vcc_lo
	v_cndmask_b32_e32 v9, v10, v9, vcc_lo
	v_cmp_lt_i32_e64 s2, v8, v21
                                        ; implicit-def: $vgpr10_vgpr11
	v_cmp_ge_i32_e64 s1, v9, v20
	s_or_b32 s0, s1, s0
	s_and_b32 s0, s2, s0
	s_xor_b32 s1, s0, -1
	s_and_saveexec_b32 s2, s1
	s_xor_b32 s1, exec_lo, s2
; %bb.41:
	v_lshl_add_u32 v10, v9, 3, v17
	ds_read_b64 v[10:11], v10 offset:8
; %bb.42:
	s_or_saveexec_b32 s1, s1
	v_mov_b32_e32 v15, v7
	v_mov_b32_e32 v14, v6
	s_xor_b32 exec_lo, exec_lo, s1
	s_cbranch_execz .LBB172_44
; %bb.43:
	s_waitcnt lgkmcnt(0)
	v_lshl_add_u32 v10, v8, 3, v17
	ds_read_b64 v[14:15], v10 offset:8
	v_mov_b32_e32 v11, v5
	v_mov_b32_e32 v10, v4
.LBB172_44:
	s_or_b32 exec_lo, exec_lo, s1
	v_add_nc_u32_e32 v12, 1, v9
	v_add_nc_u32_e32 v13, 1, v8
	s_waitcnt lgkmcnt(0)
	v_cmp_lt_i64_e64 s1, v[14:15], v[10:11]
	v_cndmask_b32_e64 v23, v12, v9, s0
	v_cndmask_b32_e64 v22, v8, v13, s0
                                        ; implicit-def: $vgpr8_vgpr9
	v_cmp_ge_i32_e64 s2, v23, v20
	v_cmp_lt_i32_e64 s3, v22, v21
	s_or_b32 s1, s2, s1
	s_and_b32 s1, s3, s1
	s_xor_b32 s2, s1, -1
	s_and_saveexec_b32 s3, s2
	s_xor_b32 s2, exec_lo, s3
; %bb.45:
	v_lshl_add_u32 v8, v23, 3, v17
	ds_read_b64 v[8:9], v8 offset:8
; %bb.46:
	s_or_saveexec_b32 s2, s2
	v_mov_b32_e32 v12, v14
	v_mov_b32_e32 v13, v15
	s_xor_b32 exec_lo, exec_lo, s2
	s_cbranch_execz .LBB172_48
; %bb.47:
	s_waitcnt lgkmcnt(0)
	v_lshl_add_u32 v8, v22, 3, v17
	ds_read_b64 v[12:13], v8 offset:8
	v_mov_b32_e32 v8, v10
	v_mov_b32_e32 v9, v11
.LBB172_48:
	s_or_b32 exec_lo, exec_lo, s2
	v_add_nc_u32_e32 v24, 1, v23
	v_cndmask_b32_e64 v15, v11, v15, s1
	v_add_nc_u32_e32 v11, 1, v22
	v_cndmask_b32_e64 v14, v10, v14, s1
	v_cndmask_b32_e64 v7, v5, v7, s0
	;; [unrolled: 1-line block ×3, first 2 shown]
	v_and_b32_e32 v10, 64, v18
	v_cndmask_b32_e64 v6, v4, v6, s0
	v_cndmask_b32_e64 v4, v22, v11, s1
	s_waitcnt lgkmcnt(0)
	v_cmp_lt_i64_e64 s0, v[12:13], v[8:9]
	v_cmp_ge_i32_e64 s1, v5, v20
	v_or_b32_e32 v20, 32, v10
	v_cndmask_b32_e32 v3, v1, v3, vcc_lo
	v_cmp_lt_i32_e64 s2, v4, v21
	v_and_b32_e32 v4, 60, v18
	s_or_b32 s0, s1, s0
	v_sub_nc_u32_e32 v1, v20, v10
	v_cndmask_b32_e32 v2, v0, v2, vcc_lo
	s_and_b32 vcc_lo, s2, s0
	v_lshl_add_u32 v0, v10, 3, v17
	v_cndmask_b32_e32 v13, v9, v13, vcc_lo
	v_sub_nc_u32_e64 v9, v4, 32 clamp
	v_min_i32_e32 v1, v4, v1
	v_cndmask_b32_e32 v12, v8, v12, vcc_lo
	s_mov_b32 s0, exec_lo
	; wave barrier
	ds_write2_b64 v19, v[2:3], v[6:7] offset1:1
	ds_write2_b64 v19, v[14:15], v[12:13] offset0:2 offset1:3
	; wave barrier
	v_cmpx_lt_i32_e64 v9, v1
	s_cbranch_execz .LBB172_52
; %bb.49:
	v_lshl_add_u32 v2, v4, 3, v0
	s_mov_b32 s1, 0
	.p2align	6
.LBB172_50:                             ; =>This Inner Loop Header: Depth=1
	v_sub_nc_u32_e32 v3, v1, v9
	v_lshrrev_b32_e32 v3, 1, v3
	v_add_nc_u32_e32 v3, v3, v9
	v_not_b32_e32 v5, v3
	v_lshl_add_u32 v6, v3, 3, v0
	v_lshl_add_u32 v7, v5, 3, v2
	ds_read_b64 v[5:6], v6
	ds_read_b64 v[7:8], v7 offset:256
	s_waitcnt lgkmcnt(0)
	v_cmp_lt_i64_e32 vcc_lo, v[7:8], v[5:6]
	v_add_nc_u32_e32 v5, 1, v3
	v_cndmask_b32_e32 v1, v1, v3, vcc_lo
	v_cndmask_b32_e32 v9, v5, v9, vcc_lo
	v_cmp_ge_i32_e32 vcc_lo, v9, v1
	s_or_b32 s1, vcc_lo, s1
	s_andn2_b32 exec_lo, exec_lo, s1
	s_cbranch_execnz .LBB172_50
; %bb.51:
	s_or_b32 exec_lo, exec_lo, s1
.LBB172_52:
	s_or_b32 exec_lo, exec_lo, s0
	v_add_nc_u32_e32 v1, v10, v4
	v_lshl_add_u32 v6, v9, 3, v0
	v_add_nc_u32_e32 v4, v20, v4
	v_add_nc_u32_e32 v21, 64, v10
	v_cmp_lt_i32_e64 s0, 31, v9
	v_sub_nc_u32_e32 v1, v1, v9
	v_sub_nc_u32_e32 v8, v4, v9
                                        ; implicit-def: $vgpr4_vgpr5
	v_lshl_add_u32 v11, v1, 3, v17
	ds_read_b64 v[0:1], v6
	ds_read_b64 v[2:3], v11 offset:256
	v_cmp_gt_i32_e64 s1, v21, v8
	s_waitcnt lgkmcnt(0)
	v_cmp_lt_i64_e32 vcc_lo, v[2:3], v[0:1]
	s_or_b32 s0, s0, vcc_lo
	s_and_b32 vcc_lo, s1, s0
	s_xor_b32 s0, vcc_lo, -1
	s_and_saveexec_b32 s1, s0
	s_xor_b32 s0, exec_lo, s1
; %bb.53:
	ds_read_b64 v[4:5], v6 offset:8
                                        ; implicit-def: $vgpr11
; %bb.54:
	s_or_saveexec_b32 s0, s0
	v_mov_b32_e32 v7, v3
	v_mov_b32_e32 v6, v2
	s_xor_b32 exec_lo, exec_lo, s0
	s_cbranch_execz .LBB172_56
; %bb.55:
	ds_read_b64 v[6:7], v11 offset:264
	s_waitcnt lgkmcnt(1)
	v_mov_b32_e32 v5, v1
	v_mov_b32_e32 v4, v0
.LBB172_56:
	s_or_b32 exec_lo, exec_lo, s0
	v_add_nc_u32_e32 v9, v9, v10
	v_add_nc_u32_e32 v12, 1, v8
	s_waitcnt lgkmcnt(0)
	v_cmp_lt_i64_e64 s0, v[6:7], v[4:5]
	v_add_nc_u32_e32 v10, 1, v9
	v_cndmask_b32_e32 v11, v10, v9, vcc_lo
	v_cndmask_b32_e32 v10, v8, v12, vcc_lo
                                        ; implicit-def: $vgpr8_vgpr9
	v_cmp_ge_i32_e64 s1, v11, v20
	v_cmp_lt_i32_e64 s2, v10, v21
	s_or_b32 s0, s1, s0
	s_and_b32 s0, s2, s0
	s_xor_b32 s1, s0, -1
	s_and_saveexec_b32 s2, s1
	s_xor_b32 s1, exec_lo, s2
; %bb.57:
	v_lshl_add_u32 v8, v11, 3, v17
	ds_read_b64 v[8:9], v8 offset:8
; %bb.58:
	s_or_saveexec_b32 s1, s1
	v_mov_b32_e32 v13, v7
	v_mov_b32_e32 v12, v6
	s_xor_b32 exec_lo, exec_lo, s1
	s_cbranch_execz .LBB172_60
; %bb.59:
	s_waitcnt lgkmcnt(0)
	v_lshl_add_u32 v8, v10, 3, v17
	ds_read_b64 v[12:13], v8 offset:8
	v_mov_b32_e32 v9, v5
	v_mov_b32_e32 v8, v4
.LBB172_60:
	s_or_b32 exec_lo, exec_lo, s1
	v_add_nc_u32_e32 v14, 1, v11
	v_add_nc_u32_e32 v15, 1, v10
	s_waitcnt lgkmcnt(0)
	v_cmp_lt_i64_e64 s1, v[12:13], v[8:9]
	v_cndmask_b32_e64 v23, v14, v11, s0
	v_cndmask_b32_e64 v22, v10, v15, s0
                                        ; implicit-def: $vgpr10_vgpr11
	v_cmp_ge_i32_e64 s2, v23, v20
	v_cmp_lt_i32_e64 s3, v22, v21
	s_or_b32 s1, s2, s1
	s_and_b32 s1, s3, s1
	s_xor_b32 s2, s1, -1
	s_and_saveexec_b32 s3, s2
	s_xor_b32 s2, exec_lo, s3
; %bb.61:
	v_lshl_add_u32 v10, v23, 3, v17
	ds_read_b64 v[10:11], v10 offset:8
; %bb.62:
	s_or_saveexec_b32 s2, s2
	v_mov_b32_e32 v15, v13
	v_mov_b32_e32 v14, v12
	s_xor_b32 exec_lo, exec_lo, s2
	s_cbranch_execz .LBB172_64
; %bb.63:
	s_waitcnt lgkmcnt(0)
	v_lshl_add_u32 v10, v22, 3, v17
	ds_read_b64 v[14:15], v10 offset:8
	v_mov_b32_e32 v11, v9
	v_mov_b32_e32 v10, v8
.LBB172_64:
	s_or_b32 exec_lo, exec_lo, s2
	v_add_nc_u32_e32 v24, 1, v23
	v_add_nc_u32_e32 v25, 1, v22
	v_cndmask_b32_e64 v8, v8, v12, s1
	v_cndmask_b32_e64 v5, v5, v7, s0
	;; [unrolled: 1-line block ×5, first 2 shown]
	s_waitcnt lgkmcnt(0)
	v_cmp_lt_i64_e64 s0, v[14:15], v[10:11]
	v_cndmask_b32_e64 v9, v9, v13, s1
	v_cndmask_b32_e32 v3, v1, v3, vcc_lo
	v_cmp_ge_i32_e64 s1, v12, v20
	v_cmp_lt_i32_e64 s2, v7, v21
	v_cndmask_b32_e32 v2, v0, v2, vcc_lo
	v_sub_nc_u32_e64 v0, v18, 64 clamp
	v_min_u32_e32 v1, 64, v18
	s_or_b32 s0, s1, s0
	s_and_b32 vcc_lo, s2, s0
	s_mov_b32 s0, exec_lo
	v_cndmask_b32_e32 v7, v11, v15, vcc_lo
	v_cndmask_b32_e32 v6, v10, v14, vcc_lo
	; wave barrier
	ds_write2_b64 v19, v[2:3], v[4:5] offset1:1
	ds_write2_b64 v19, v[8:9], v[6:7] offset0:2 offset1:3
	; wave barrier
	v_cmpx_lt_u32_e64 v0, v1
	s_cbranch_execz .LBB172_68
; %bb.65:
	s_mov_b32 s1, 0
	.p2align	6
.LBB172_66:                             ; =>This Inner Loop Header: Depth=1
	v_sub_nc_u32_e32 v2, v1, v0
	v_lshrrev_b32_e32 v2, 1, v2
	v_add_nc_u32_e32 v6, v2, v0
	v_not_b32_e32 v2, v6
	v_lshl_add_u32 v3, v6, 3, v17
	v_lshl_add_u32 v4, v2, 3, v19
	ds_read_b64 v[2:3], v3
	ds_read_b64 v[4:5], v4 offset:512
	s_waitcnt lgkmcnt(0)
	v_cmp_lt_i64_e32 vcc_lo, v[4:5], v[2:3]
	v_add_nc_u32_e32 v2, 1, v6
	v_cndmask_b32_e32 v1, v1, v6, vcc_lo
	v_cndmask_b32_e32 v0, v2, v0, vcc_lo
	v_cmp_ge_i32_e32 vcc_lo, v0, v1
	s_or_b32 s1, vcc_lo, s1
	s_andn2_b32 exec_lo, exec_lo, s1
	s_cbranch_execnz .LBB172_66
; %bb.67:
	s_or_b32 exec_lo, exec_lo, s1
.LBB172_68:
	s_or_b32 exec_lo, exec_lo, s0
	v_sub_nc_u32_e32 v1, v18, v0
	v_lshl_add_u32 v8, v0, 3, v17
	v_cmp_lt_i32_e64 s0, 63, v0
                                        ; implicit-def: $vgpr6_vgpr7
	v_lshl_add_u32 v10, v1, 3, v17
	v_add_nc_u32_e32 v1, 64, v1
	ds_read_b64 v[2:3], v8
	ds_read_b64 v[4:5], v10 offset:512
	v_cmp_gt_i32_e64 s1, 0x80, v1
	s_waitcnt lgkmcnt(0)
	v_cmp_lt_i64_e32 vcc_lo, v[4:5], v[2:3]
	s_or_b32 s0, s0, vcc_lo
	s_and_b32 vcc_lo, s1, s0
	s_xor_b32 s0, vcc_lo, -1
	s_and_saveexec_b32 s1, s0
	s_xor_b32 s0, exec_lo, s1
; %bb.69:
	ds_read_b64 v[6:7], v8 offset:8
                                        ; implicit-def: $vgpr10
; %bb.70:
	s_or_saveexec_b32 s0, s0
	v_mov_b32_e32 v9, v5
	v_mov_b32_e32 v8, v4
	s_xor_b32 exec_lo, exec_lo, s0
	s_cbranch_execz .LBB172_72
; %bb.71:
	ds_read_b64 v[8:9], v10 offset:520
	s_waitcnt lgkmcnt(1)
	v_mov_b32_e32 v7, v3
	v_mov_b32_e32 v6, v2
.LBB172_72:
	s_or_b32 exec_lo, exec_lo, s0
	v_add_nc_u32_e32 v10, 1, v0
	v_add_nc_u32_e32 v11, 1, v1
	s_waitcnt lgkmcnt(0)
	v_cmp_lt_i64_e64 s0, v[8:9], v[6:7]
                                        ; implicit-def: $vgpr12_vgpr13
	v_cndmask_b32_e32 v14, v10, v0, vcc_lo
	v_cndmask_b32_e32 v0, v1, v11, vcc_lo
	v_cmp_lt_i32_e64 s1, 63, v14
	v_cmp_gt_i32_e64 s2, 0x80, v0
	s_or_b32 s0, s1, s0
	s_and_b32 s0, s2, s0
	s_xor_b32 s1, s0, -1
	s_and_saveexec_b32 s2, s1
	s_xor_b32 s1, exec_lo, s2
; %bb.73:
	v_lshl_add_u32 v1, v14, 3, v17
	ds_read_b64 v[12:13], v1 offset:8
; %bb.74:
	s_or_saveexec_b32 s1, s1
	v_mov_b32_e32 v11, v9
	v_mov_b32_e32 v10, v8
	s_xor_b32 exec_lo, exec_lo, s1
	s_cbranch_execz .LBB172_76
; %bb.75:
	v_lshl_add_u32 v1, v0, 3, v17
	s_waitcnt lgkmcnt(0)
	v_mov_b32_e32 v13, v7
	v_mov_b32_e32 v12, v6
	ds_read_b64 v[10:11], v1 offset:8
.LBB172_76:
	s_or_b32 exec_lo, exec_lo, s1
	v_add_nc_u32_e32 v1, 1, v14
	v_add_nc_u32_e32 v15, 1, v0
	s_waitcnt lgkmcnt(0)
	v_cmp_ge_i64_e64 s1, v[10:11], v[12:13]
                                        ; implicit-def: $vgpr19
	v_cndmask_b32_e64 v20, v1, v14, s0
	v_cndmask_b32_e64 v18, v0, v15, s0
                                        ; implicit-def: $vgpr14_vgpr15
	v_cmp_gt_i32_e64 s2, 64, v20
	v_cmp_lt_i32_e64 s3, 0x7f, v18
	s_and_b32 s1, s2, s1
	s_or_b32 s1, s3, s1
	s_and_saveexec_b32 s2, s1
	s_xor_b32 s1, exec_lo, s2
; %bb.77:
	v_lshl_add_u32 v0, v20, 3, v17
	v_add_nc_u32_e32 v19, 1, v20
                                        ; implicit-def: $vgpr17
                                        ; implicit-def: $vgpr20
	ds_read_b64 v[14:15], v0 offset:8
; %bb.78:
	s_or_saveexec_b32 s1, s1
	v_mov_b32_e32 v0, v12
	v_mov_b32_e32 v1, v13
	s_xor_b32 exec_lo, exec_lo, s1
	s_cbranch_execz .LBB172_80
; %bb.79:
	v_lshl_add_u32 v0, v18, 3, v17
	s_waitcnt lgkmcnt(0)
	v_mov_b32_e32 v15, v13
	v_add_nc_u32_e32 v18, 1, v18
	v_mov_b32_e32 v19, v20
	v_mov_b32_e32 v14, v12
	ds_read_b64 v[21:22], v0 offset:8
	v_mov_b32_e32 v0, v10
	v_mov_b32_e32 v1, v11
	s_waitcnt lgkmcnt(0)
	v_mov_b32_e32 v10, v21
	v_mov_b32_e32 v11, v22
.LBB172_80:
	s_or_b32 exec_lo, exec_lo, s1
	s_waitcnt lgkmcnt(0)
	v_cmp_lt_i64_e64 s1, v[10:11], v[14:15]
	v_cmp_lt_i32_e64 s2, 63, v19
	v_cmp_gt_i32_e64 s3, 0x80, v18
	v_cndmask_b32_e64 v7, v7, v9, s0
	v_cndmask_b32_e64 v6, v6, v8, s0
	v_cndmask_b32_e32 v5, v3, v5, vcc_lo
	s_or_b32 s0, s2, s1
	v_cndmask_b32_e32 v4, v2, v4, vcc_lo
	s_and_b32 vcc_lo, s3, s0
	v_lshlrev_b32_e32 v8, 3, v16
	v_cndmask_b32_e32 v3, v15, v11, vcc_lo
	v_cndmask_b32_e32 v2, v14, v10, vcc_lo
	s_add_u32 s0, s10, s4
	s_addc_u32 s1, s11, s5
	global_store_dwordx4 v8, v[4:7], s[0:1]
	global_store_dwordx4 v8, v[0:3], s[0:1] offset:16
	s_endpgm
	.section	.rodata,"a",@progbits
	.p2align	6, 0x0
	.amdhsa_kernel _Z9sort_keysILj256ELj32ELj4ExN10test_utils4lessEEvPKT2_PS2_T3_
		.amdhsa_group_segment_fixed_size 8256
		.amdhsa_private_segment_fixed_size 0
		.amdhsa_kernarg_size 20
		.amdhsa_user_sgpr_count 6
		.amdhsa_user_sgpr_private_segment_buffer 1
		.amdhsa_user_sgpr_dispatch_ptr 0
		.amdhsa_user_sgpr_queue_ptr 0
		.amdhsa_user_sgpr_kernarg_segment_ptr 1
		.amdhsa_user_sgpr_dispatch_id 0
		.amdhsa_user_sgpr_flat_scratch_init 0
		.amdhsa_user_sgpr_private_segment_size 0
		.amdhsa_wavefront_size32 1
		.amdhsa_uses_dynamic_stack 0
		.amdhsa_system_sgpr_private_segment_wavefront_offset 0
		.amdhsa_system_sgpr_workgroup_id_x 1
		.amdhsa_system_sgpr_workgroup_id_y 0
		.amdhsa_system_sgpr_workgroup_id_z 0
		.amdhsa_system_sgpr_workgroup_info 0
		.amdhsa_system_vgpr_workitem_id 0
		.amdhsa_next_free_vgpr 30
		.amdhsa_next_free_sgpr 12
		.amdhsa_reserve_vcc 1
		.amdhsa_reserve_flat_scratch 0
		.amdhsa_float_round_mode_32 0
		.amdhsa_float_round_mode_16_64 0
		.amdhsa_float_denorm_mode_32 3
		.amdhsa_float_denorm_mode_16_64 3
		.amdhsa_dx10_clamp 1
		.amdhsa_ieee_mode 1
		.amdhsa_fp16_overflow 0
		.amdhsa_workgroup_processor_mode 1
		.amdhsa_memory_ordered 1
		.amdhsa_forward_progress 1
		.amdhsa_shared_vgpr_count 0
		.amdhsa_exception_fp_ieee_invalid_op 0
		.amdhsa_exception_fp_denorm_src 0
		.amdhsa_exception_fp_ieee_div_zero 0
		.amdhsa_exception_fp_ieee_overflow 0
		.amdhsa_exception_fp_ieee_underflow 0
		.amdhsa_exception_fp_ieee_inexact 0
		.amdhsa_exception_int_div_zero 0
	.end_amdhsa_kernel
	.section	.text._Z9sort_keysILj256ELj32ELj4ExN10test_utils4lessEEvPKT2_PS2_T3_,"axG",@progbits,_Z9sort_keysILj256ELj32ELj4ExN10test_utils4lessEEvPKT2_PS2_T3_,comdat
.Lfunc_end172:
	.size	_Z9sort_keysILj256ELj32ELj4ExN10test_utils4lessEEvPKT2_PS2_T3_, .Lfunc_end172-_Z9sort_keysILj256ELj32ELj4ExN10test_utils4lessEEvPKT2_PS2_T3_
                                        ; -- End function
	.set _Z9sort_keysILj256ELj32ELj4ExN10test_utils4lessEEvPKT2_PS2_T3_.num_vgpr, 30
	.set _Z9sort_keysILj256ELj32ELj4ExN10test_utils4lessEEvPKT2_PS2_T3_.num_agpr, 0
	.set _Z9sort_keysILj256ELj32ELj4ExN10test_utils4lessEEvPKT2_PS2_T3_.numbered_sgpr, 12
	.set _Z9sort_keysILj256ELj32ELj4ExN10test_utils4lessEEvPKT2_PS2_T3_.num_named_barrier, 0
	.set _Z9sort_keysILj256ELj32ELj4ExN10test_utils4lessEEvPKT2_PS2_T3_.private_seg_size, 0
	.set _Z9sort_keysILj256ELj32ELj4ExN10test_utils4lessEEvPKT2_PS2_T3_.uses_vcc, 1
	.set _Z9sort_keysILj256ELj32ELj4ExN10test_utils4lessEEvPKT2_PS2_T3_.uses_flat_scratch, 0
	.set _Z9sort_keysILj256ELj32ELj4ExN10test_utils4lessEEvPKT2_PS2_T3_.has_dyn_sized_stack, 0
	.set _Z9sort_keysILj256ELj32ELj4ExN10test_utils4lessEEvPKT2_PS2_T3_.has_recursion, 0
	.set _Z9sort_keysILj256ELj32ELj4ExN10test_utils4lessEEvPKT2_PS2_T3_.has_indirect_call, 0
	.section	.AMDGPU.csdata,"",@progbits
; Kernel info:
; codeLenInByte = 4100
; TotalNumSgprs: 14
; NumVgprs: 30
; ScratchSize: 0
; MemoryBound: 0
; FloatMode: 240
; IeeeMode: 1
; LDSByteSize: 8256 bytes/workgroup (compile time only)
; SGPRBlocks: 0
; VGPRBlocks: 3
; NumSGPRsForWavesPerEU: 14
; NumVGPRsForWavesPerEU: 30
; Occupancy: 16
; WaveLimiterHint : 0
; COMPUTE_PGM_RSRC2:SCRATCH_EN: 0
; COMPUTE_PGM_RSRC2:USER_SGPR: 6
; COMPUTE_PGM_RSRC2:TRAP_HANDLER: 0
; COMPUTE_PGM_RSRC2:TGID_X_EN: 1
; COMPUTE_PGM_RSRC2:TGID_Y_EN: 0
; COMPUTE_PGM_RSRC2:TGID_Z_EN: 0
; COMPUTE_PGM_RSRC2:TIDIG_COMP_CNT: 0
	.section	.text._Z10sort_pairsILj256ELj32ELj4ExN10test_utils4lessEEvPKT2_PS2_T3_,"axG",@progbits,_Z10sort_pairsILj256ELj32ELj4ExN10test_utils4lessEEvPKT2_PS2_T3_,comdat
	.protected	_Z10sort_pairsILj256ELj32ELj4ExN10test_utils4lessEEvPKT2_PS2_T3_ ; -- Begin function _Z10sort_pairsILj256ELj32ELj4ExN10test_utils4lessEEvPKT2_PS2_T3_
	.globl	_Z10sort_pairsILj256ELj32ELj4ExN10test_utils4lessEEvPKT2_PS2_T3_
	.p2align	8
	.type	_Z10sort_pairsILj256ELj32ELj4ExN10test_utils4lessEEvPKT2_PS2_T3_,@function
_Z10sort_pairsILj256ELj32ELj4ExN10test_utils4lessEEvPKT2_PS2_T3_: ; @_Z10sort_pairsILj256ELj32ELj4ExN10test_utils4lessEEvPKT2_PS2_T3_
; %bb.0:
	s_load_dwordx4 s[8:11], s[4:5], 0x0
	s_mov_b32 s1, 0
	s_lshl_b32 s0, s6, 10
	v_lshlrev_b32_e32 v1, 5, v0
	s_lshl_b64 s[6:7], s[0:1], 3
	s_waitcnt lgkmcnt(0)
	s_add_u32 s0, s8, s6
	s_addc_u32 s1, s9, s7
	s_clause 0x1
	global_load_dwordx4 v[17:20], v1, s[0:1] offset:16
	global_load_dwordx4 v[1:4], v1, s[0:1]
	s_mov_b32 s1, exec_lo
	s_waitcnt vmcnt(1)
	v_add_co_u32 v5, vcc_lo, v19, 1
	v_add_co_ci_u32_e64 v6, null, 0, v20, vcc_lo
	s_waitcnt vmcnt(0)
	v_cmp_lt_i64_e64 s0, v[3:4], v[1:2]
	v_add_co_u32 v23, vcc_lo, v17, 1
	v_mov_b32_e32 v22, v6
	v_mov_b32_e32 v13, v17
	;; [unrolled: 1-line block ×4, first 2 shown]
	v_add_co_ci_u32_e64 v24, null, 0, v18, vcc_lo
	v_cndmask_b32_e64 v12, v4, v2, s0
	v_mov_b32_e32 v21, v5
	v_cndmask_b32_e64 v11, v3, v1, s0
	v_cndmask_b32_e64 v10, v2, v4, s0
	;; [unrolled: 1-line block ×3, first 2 shown]
	v_mov_b32_e32 v14, v18
	v_cmpx_lt_i64_e64 v[15:16], v[17:18]
	s_cbranch_execz .LBB173_2
; %bb.1:
	v_mov_b32_e32 v7, v17
	v_mov_b32_e32 v8, v18
	;; [unrolled: 1-line block ×12, first 2 shown]
.LBB173_2:
	s_or_b32 exec_lo, exec_lo, s1
	v_add_co_u32 v25, vcc_lo, v1, 1
	v_add_co_ci_u32_e64 v26, null, 0, v2, vcc_lo
	v_add_co_u32 v27, vcc_lo, v3, 1
	v_add_co_ci_u32_e64 v28, null, 0, v4, vcc_lo
	v_mov_b32_e32 v1, v9
	v_mov_b32_e32 v2, v10
	;; [unrolled: 1-line block ×9, first 2 shown]
	v_cndmask_b32_e64 v20, v28, v26, s0
	v_cndmask_b32_e64 v19, v27, v25, s0
	v_mov_b32_e32 v14, v24
	s_mov_b32 s1, exec_lo
	v_cmpx_lt_i64_e64 v[17:18], v[11:12]
	s_xor_b32 s1, exec_lo, s1
	s_cbranch_execz .LBB173_4
; %bb.3:
	v_mov_b32_e32 v1, v9
	v_mov_b32_e32 v2, v10
	;; [unrolled: 1-line block ×20, first 2 shown]
.LBB173_4:
	s_or_b32 exec_lo, exec_lo, s1
	v_cmp_lt_i64_e32 vcc_lo, v[11:12], v[9:10]
	v_mov_b32_e32 v9, v21
	v_mov_b32_e32 v16, v6
	;; [unrolled: 1-line block ×4, first 2 shown]
	s_mov_b32 s2, exec_lo
	v_cndmask_b32_e32 v18, v4, v2, vcc_lo
	v_cndmask_b32_e32 v17, v3, v1, vcc_lo
	;; [unrolled: 1-line block ×4, first 2 shown]
	v_cmpx_lt_i64_e64 v[7:8], v[5:6]
	s_cbranch_execz .LBB173_6
; %bb.5:
	v_mov_b32_e32 v1, v5
	v_mov_b32_e32 v2, v6
	;; [unrolled: 1-line block ×12, first 2 shown]
.LBB173_6:
	s_or_b32 exec_lo, exec_lo, s2
	v_cndmask_b32_e64 v34, v26, v28, s0
	v_cndmask_b32_e64 v33, v25, v27, s0
	v_mov_b32_e32 v22, v18
	v_mov_b32_e32 v3, v13
	;; [unrolled: 1-line block ×3, first 2 shown]
	v_cndmask_b32_e32 v2, v20, v34, vcc_lo
	v_cndmask_b32_e32 v1, v19, v33, vcc_lo
	v_mov_b32_e32 v4, v14
	s_mov_b32 s1, exec_lo
	v_cmpx_lt_i64_e64 v[5:6], v[17:18]
	s_cbranch_execz .LBB173_8
; %bb.7:
	v_mov_b32_e32 v4, v2
	v_mov_b32_e32 v22, v6
	v_mov_b32_e32 v3, v1
	v_mov_b32_e32 v1, v13
	v_mov_b32_e32 v15, v17
	v_mov_b32_e32 v21, v5
	v_mov_b32_e32 v2, v14
	v_mov_b32_e32 v16, v18
.LBB173_8:
	s_or_b32 exec_lo, exec_lo, s1
	v_mbcnt_lo_u32_b32 v13, -1, 0
	v_lshlrev_b32_e32 v29, 2, v0
	v_lshrrev_b32_e32 v6, 5, v0
	v_mov_b32_e32 v24, 0
	v_mov_b32_e32 v17, v7
	v_lshlrev_b32_e32 v32, 2, v13
	v_lshlrev_b32_e32 v13, 5, v13
	v_mov_b32_e32 v18, v8
	s_mov_b32 s1, exec_lo
	v_and_b32_e32 v23, 0x78, v32
	v_and_b32_e32 v0, 4, v32
	v_mad_u32_u24 v30, 0x408, v6, v13
	; wave barrier
	ds_write2_b64 v30, v[11:12], v[21:22] offset1:1
	ds_write2_b64 v30, v[15:16], v[17:18] offset0:2 offset1:3
	v_or_b32_e32 v5, 4, v23
	v_lshlrev_b32_e32 v25, 3, v23
	; wave barrier
	v_sub_nc_u32_e32 v14, v5, v23
	v_mad_u32_u24 v7, 0x408, v6, v25
	v_min_i32_e32 v13, v0, v14
	v_cmpx_lt_i32_e32 0, v13
	s_cbranch_execz .LBB173_12
; %bb.9:
	v_lshl_add_u32 v8, v0, 3, v7
	v_mov_b32_e32 v24, 0
	s_mov_b32 s2, 0
	.p2align	6
.LBB173_10:                             ; =>This Inner Loop Header: Depth=1
	v_sub_nc_u32_e32 v11, v13, v24
	v_lshrrev_b32_e32 v11, 1, v11
	v_add_nc_u32_e32 v16, v11, v24
	v_not_b32_e32 v11, v16
	v_lshl_add_u32 v12, v16, 3, v7
	v_lshl_add_u32 v14, v11, 3, v8
	ds_read_b64 v[11:12], v12
	ds_read_b64 v[14:15], v14 offset:32
	s_waitcnt lgkmcnt(0)
	v_cmp_lt_i64_e64 s0, v[14:15], v[11:12]
	v_add_nc_u32_e32 v11, 1, v16
	v_cndmask_b32_e64 v13, v13, v16, s0
	v_cndmask_b32_e64 v24, v11, v24, s0
	v_cmp_ge_i32_e64 s0, v24, v13
	s_or_b32 s2, s0, s2
	s_andn2_b32 exec_lo, exec_lo, s2
	s_cbranch_execnz .LBB173_10
; %bb.11:
	s_or_b32 exec_lo, exec_lo, s2
.LBB173_12:
	s_or_b32 exec_lo, exec_lo, s1
	v_mul_u32_u24_e32 v31, 0x408, v6
	v_add_nc_u32_e32 v6, v23, v0
	v_lshl_add_u32 v8, v24, 3, v7
	v_cmp_lt_i32_e64 s1, 3, v24
                                        ; implicit-def: $vgpr15_vgpr16
	v_sub_nc_u32_e32 v6, v6, v24
	v_lshl_add_u32 v7, v6, 3, v31
	v_add_nc_u32_e32 v6, v5, v0
	v_add_nc_u32_e32 v0, 8, v23
	ds_read_b64 v[11:12], v8
	ds_read_b64 v[13:14], v7 offset:32
	v_sub_nc_u32_e32 v6, v6, v24
	v_cmp_gt_i32_e64 s2, v0, v6
	s_waitcnt lgkmcnt(0)
	v_cmp_lt_i64_e64 s0, v[13:14], v[11:12]
	s_or_b32 s0, s1, s0
	s_and_b32 s0, s2, s0
	s_xor_b32 s1, s0, -1
	s_and_saveexec_b32 s2, s1
	s_xor_b32 s1, exec_lo, s2
; %bb.13:
	ds_read_b64 v[15:16], v8 offset:8
                                        ; implicit-def: $vgpr7
; %bb.14:
	s_or_saveexec_b32 s1, s1
	v_mov_b32_e32 v18, v14
	v_mov_b32_e32 v17, v13
	s_xor_b32 exec_lo, exec_lo, s1
	s_cbranch_execz .LBB173_16
; %bb.15:
	ds_read_b64 v[17:18], v7 offset:40
	s_waitcnt lgkmcnt(1)
	v_mov_b32_e32 v16, v12
	v_mov_b32_e32 v15, v11
.LBB173_16:
	s_or_b32 exec_lo, exec_lo, s1
	v_add_nc_u32_e32 v7, v24, v23
	v_add_nc_u32_e32 v21, 1, v6
	s_waitcnt lgkmcnt(0)
	v_cmp_lt_i64_e64 s1, v[17:18], v[15:16]
	v_add_nc_u32_e32 v8, 1, v7
	v_cndmask_b32_e64 v35, v6, v21, s0
                                        ; implicit-def: $vgpr21_vgpr22
	v_cndmask_b32_e64 v8, v8, v7, s0
	v_cmp_lt_i32_e64 s3, v35, v0
	v_cmp_ge_i32_e64 s2, v8, v5
	s_or_b32 s1, s2, s1
	s_and_b32 s1, s3, s1
	s_xor_b32 s2, s1, -1
	s_and_saveexec_b32 s3, s2
	s_xor_b32 s2, exec_lo, s3
; %bb.17:
	v_lshl_add_u32 v21, v8, 3, v31
	ds_read_b64 v[21:22], v21 offset:8
; %bb.18:
	s_or_saveexec_b32 s2, s2
	v_mov_b32_e32 v24, v18
	v_mov_b32_e32 v23, v17
	s_xor_b32 exec_lo, exec_lo, s2
	s_cbranch_execz .LBB173_20
; %bb.19:
	s_waitcnt lgkmcnt(0)
	v_lshl_add_u32 v21, v35, 3, v31
	ds_read_b64 v[23:24], v21 offset:8
	v_mov_b32_e32 v22, v16
	v_mov_b32_e32 v21, v15
.LBB173_20:
	s_or_b32 exec_lo, exec_lo, s2
	v_add_nc_u32_e32 v25, 1, v8
	v_add_nc_u32_e32 v26, 1, v35
	s_waitcnt lgkmcnt(0)
	v_cmp_lt_i64_e64 s2, v[23:24], v[21:22]
	v_cndmask_b32_e64 v37, v25, v8, s1
	v_cndmask_b32_e64 v36, v35, v26, s1
                                        ; implicit-def: $vgpr25_vgpr26
	v_cmp_ge_i32_e64 s3, v37, v5
	v_cmp_lt_i32_e64 s4, v36, v0
	s_or_b32 s2, s3, s2
	s_and_b32 s2, s4, s2
	s_xor_b32 s3, s2, -1
	s_and_saveexec_b32 s4, s3
	s_xor_b32 s3, exec_lo, s4
; %bb.21:
	v_lshl_add_u32 v25, v37, 3, v31
	ds_read_b64 v[25:26], v25 offset:8
; %bb.22:
	s_or_saveexec_b32 s3, s3
	v_mov_b32_e32 v28, v24
	v_mov_b32_e32 v27, v23
	s_xor_b32 exec_lo, exec_lo, s3
	s_cbranch_execz .LBB173_24
; %bb.23:
	s_waitcnt lgkmcnt(0)
	v_lshl_add_u32 v25, v36, 3, v31
	ds_read_b64 v[27:28], v25 offset:8
	v_mov_b32_e32 v26, v22
	v_mov_b32_e32 v25, v21
.LBB173_24:
	s_or_b32 exec_lo, exec_lo, s3
	v_add_nc_u32_e32 v38, 1, v37
	v_add_nc_u32_e32 v39, 1, v36
	v_cndmask_b32_e64 v40, v37, v36, s2
	v_cndmask_b32_e64 v8, v8, v35, s1
	;; [unrolled: 1-line block ×4, first 2 shown]
	v_cndmask_b32_e32 v7, v34, v20, vcc_lo
	v_cndmask_b32_e64 v20, v36, v39, s2
	v_cndmask_b32_e32 v6, v33, v19, vcc_lo
	s_waitcnt lgkmcnt(0)
	v_cmp_lt_i64_e32 vcc_lo, v[27:28], v[25:26]
	v_cmp_ge_i32_e64 s3, v37, v5
	v_cmp_lt_i32_e64 s4, v20, v0
	; wave barrier
	ds_write2_b64 v30, v[6:7], v[1:2] offset1:1
	s_or_b32 s3, s3, vcc_lo
	v_lshl_add_u32 v1, v35, 3, v31
	s_and_b32 vcc_lo, s4, s3
	v_lshl_add_u32 v2, v8, 3, v31
	v_cndmask_b32_e32 v0, v37, v20, vcc_lo
	ds_write2_b64 v30, v[3:4], v[9:10] offset0:2 offset1:3
	v_lshl_add_u32 v3, v40, 3, v31
	; wave barrier
	v_lshl_add_u32 v8, v0, 3, v31
	v_and_b32_e32 v19, 0x70, v32
	ds_read_b64 v[4:5], v1
	ds_read_b64 v[6:7], v2
	ds_read_b64 v[0:1], v3
	ds_read_b64 v[2:3], v8
	v_cndmask_b32_e32 v28, v26, v28, vcc_lo
	v_cndmask_b32_e64 v22, v22, v24, s2
	v_cndmask_b32_e64 v24, v16, v18, s1
	v_or_b32_e32 v26, 8, v19
	v_and_b32_e32 v18, 12, v32
	v_cndmask_b32_e64 v21, v21, v23, s2
	v_cndmask_b32_e64 v23, v15, v17, s1
	;; [unrolled: 1-line block ×3, first 2 shown]
	v_sub_nc_u32_e32 v8, v26, v19
	v_cndmask_b32_e64 v11, v11, v13, s0
	v_sub_nc_u32_e64 v16, v18, 8 clamp
	v_cndmask_b32_e32 v27, v25, v27, vcc_lo
	s_mov_b32 s0, exec_lo
	v_min_i32_e32 v9, v18, v8
	v_lshl_add_u32 v8, v19, 3, v31
	; wave barrier
	ds_write2_b64 v30, v[11:12], v[23:24] offset1:1
	ds_write2_b64 v30, v[21:22], v[27:28] offset0:2 offset1:3
	; wave barrier
	v_cmpx_lt_i32_e64 v16, v9
	s_cbranch_execz .LBB173_28
; %bb.25:
	v_lshl_add_u32 v10, v18, 3, v8
	s_mov_b32 s1, 0
	.p2align	6
.LBB173_26:                             ; =>This Inner Loop Header: Depth=1
	v_sub_nc_u32_e32 v11, v9, v16
	v_lshrrev_b32_e32 v11, 1, v11
	v_add_nc_u32_e32 v15, v11, v16
	v_not_b32_e32 v11, v15
	v_lshl_add_u32 v12, v15, 3, v8
	v_lshl_add_u32 v13, v11, 3, v10
	ds_read_b64 v[11:12], v12
	ds_read_b64 v[13:14], v13 offset:64
	s_waitcnt lgkmcnt(0)
	v_cmp_lt_i64_e32 vcc_lo, v[13:14], v[11:12]
	v_add_nc_u32_e32 v11, 1, v15
	v_cndmask_b32_e32 v9, v9, v15, vcc_lo
	v_cndmask_b32_e32 v16, v11, v16, vcc_lo
	v_cmp_ge_i32_e32 vcc_lo, v16, v9
	s_or_b32 s1, vcc_lo, s1
	s_andn2_b32 exec_lo, exec_lo, s1
	s_cbranch_execnz .LBB173_26
; %bb.27:
	s_or_b32 exec_lo, exec_lo, s1
.LBB173_28:
	s_or_b32 exec_lo, exec_lo, s0
	v_add_nc_u32_e32 v9, v19, v18
	v_lshl_add_u32 v14, v16, 3, v8
	v_add_nc_u32_e32 v12, v26, v18
	v_add_nc_u32_e32 v24, 16, v19
	v_cmp_lt_i32_e64 s0, 7, v16
	v_sub_nc_u32_e32 v9, v9, v16
	v_sub_nc_u32_e32 v25, v12, v16
                                        ; implicit-def: $vgpr12_vgpr13
	v_lshl_add_u32 v17, v9, 3, v31
	ds_read_b64 v[8:9], v14
	ds_read_b64 v[10:11], v17 offset:64
	v_cmp_gt_i32_e64 s1, v24, v25
	s_waitcnt lgkmcnt(0)
	v_cmp_lt_i64_e32 vcc_lo, v[10:11], v[8:9]
	s_or_b32 s0, s0, vcc_lo
	s_and_b32 vcc_lo, s1, s0
	s_xor_b32 s0, vcc_lo, -1
	s_and_saveexec_b32 s1, s0
	s_xor_b32 s0, exec_lo, s1
; %bb.29:
	ds_read_b64 v[12:13], v14 offset:8
                                        ; implicit-def: $vgpr17
; %bb.30:
	s_or_saveexec_b32 s0, s0
	v_mov_b32_e32 v15, v11
	v_mov_b32_e32 v14, v10
	s_xor_b32 exec_lo, exec_lo, s0
	s_cbranch_execz .LBB173_32
; %bb.31:
	ds_read_b64 v[14:15], v17 offset:72
	s_waitcnt lgkmcnt(1)
	v_mov_b32_e32 v13, v9
	v_mov_b32_e32 v12, v8
.LBB173_32:
	s_or_b32 exec_lo, exec_lo, s0
	v_add_nc_u32_e32 v27, v16, v19
	v_add_nc_u32_e32 v17, 1, v25
	s_waitcnt lgkmcnt(0)
	v_cmp_lt_i64_e64 s0, v[14:15], v[12:13]
	v_add_nc_u32_e32 v16, 1, v27
	v_cndmask_b32_e32 v33, v25, v17, vcc_lo
	v_cndmask_b32_e32 v28, v16, v27, vcc_lo
	v_cmp_lt_i32_e64 s2, v33, v24
                                        ; implicit-def: $vgpr16_vgpr17
	v_cmp_ge_i32_e64 s1, v28, v26
	s_or_b32 s0, s1, s0
	s_and_b32 s0, s2, s0
	s_xor_b32 s1, s0, -1
	s_and_saveexec_b32 s2, s1
	s_xor_b32 s1, exec_lo, s2
; %bb.33:
	v_lshl_add_u32 v16, v28, 3, v31
	ds_read_b64 v[16:17], v16 offset:8
; %bb.34:
	s_or_saveexec_b32 s1, s1
	v_mov_b32_e32 v19, v15
	v_mov_b32_e32 v18, v14
	s_xor_b32 exec_lo, exec_lo, s1
	s_cbranch_execz .LBB173_36
; %bb.35:
	s_waitcnt lgkmcnt(0)
	v_lshl_add_u32 v16, v33, 3, v31
	ds_read_b64 v[18:19], v16 offset:8
	v_mov_b32_e32 v17, v13
	v_mov_b32_e32 v16, v12
.LBB173_36:
	s_or_b32 exec_lo, exec_lo, s1
	v_add_nc_u32_e32 v20, 1, v28
	v_add_nc_u32_e32 v21, 1, v33
	s_waitcnt lgkmcnt(0)
	v_cmp_lt_i64_e64 s1, v[18:19], v[16:17]
	v_cndmask_b32_e64 v35, v20, v28, s0
	v_cndmask_b32_e64 v34, v33, v21, s0
                                        ; implicit-def: $vgpr20_vgpr21
	v_cmp_ge_i32_e64 s2, v35, v26
	v_cmp_lt_i32_e64 s3, v34, v24
	s_or_b32 s1, s2, s1
	s_and_b32 s1, s3, s1
	s_xor_b32 s2, s1, -1
	s_and_saveexec_b32 s3, s2
	s_xor_b32 s2, exec_lo, s3
; %bb.37:
	v_lshl_add_u32 v20, v35, 3, v31
	ds_read_b64 v[20:21], v20 offset:8
; %bb.38:
	s_or_saveexec_b32 s2, s2
	v_mov_b32_e32 v23, v19
	v_mov_b32_e32 v22, v18
	s_xor_b32 exec_lo, exec_lo, s2
	s_cbranch_execz .LBB173_40
; %bb.39:
	s_waitcnt lgkmcnt(0)
	v_lshl_add_u32 v20, v34, 3, v31
	ds_read_b64 v[22:23], v20 offset:8
	v_mov_b32_e32 v21, v17
	v_mov_b32_e32 v20, v16
.LBB173_40:
	s_or_b32 exec_lo, exec_lo, s2
	v_add_nc_u32_e32 v36, 1, v35
	v_add_nc_u32_e32 v37, 1, v34
	v_cndmask_b32_e64 v28, v28, v33, s0
	v_cndmask_b32_e32 v25, v27, v25, vcc_lo
	s_waitcnt lgkmcnt(0)
	v_cmp_lt_i64_e64 s2, v[22:23], v[20:21]
	v_cndmask_b32_e64 v33, v36, v35, s1
	v_cndmask_b32_e64 v27, v34, v37, s1
	;; [unrolled: 1-line block ×3, first 2 shown]
	; wave barrier
	v_cmp_ge_i32_e64 s3, v33, v26
	v_cmp_lt_i32_e64 s4, v27, v24
	ds_write2_b64 v30, v[4:5], v[6:7] offset1:1
	ds_write2_b64 v30, v[0:1], v[2:3] offset0:2 offset1:3
	v_lshl_add_u32 v1, v25, 3, v31
	v_lshl_add_u32 v2, v28, 3, v31
	s_or_b32 s2, s3, s2
	v_lshl_add_u32 v3, v38, 3, v31
	s_and_b32 s2, s4, s2
	v_cndmask_b32_e64 v0, v33, v27, s2
	; wave barrier
	v_cndmask_b32_e64 v23, v21, v23, s2
	v_and_b32_e32 v21, 0x60, v32
	v_cndmask_b32_e64 v19, v17, v19, s1
	v_lshl_add_u32 v24, v0, 3, v31
	v_cndmask_b32_e64 v15, v13, v15, s0
	ds_read_b64 v[4:5], v1
	ds_read_b64 v[6:7], v2
	;; [unrolled: 1-line block ×4, first 2 shown]
	v_or_b32_e32 v24, 16, v21
	v_and_b32_e32 v13, 28, v32
	v_cndmask_b32_e64 v18, v16, v18, s1
	v_cndmask_b32_e64 v14, v12, v14, s0
	v_cndmask_b32_e32 v11, v9, v11, vcc_lo
	v_sub_nc_u32_e32 v17, v24, v21
	v_cndmask_b32_e32 v10, v8, v10, vcc_lo
	v_sub_nc_u32_e64 v16, v13, 16 clamp
	v_lshl_add_u32 v8, v21, 3, v31
	v_cndmask_b32_e64 v22, v20, v22, s2
	v_min_i32_e32 v9, v13, v17
	s_mov_b32 s0, exec_lo
	; wave barrier
	ds_write2_b64 v30, v[10:11], v[14:15] offset1:1
	ds_write2_b64 v30, v[18:19], v[22:23] offset0:2 offset1:3
	; wave barrier
	v_cmpx_lt_i32_e64 v16, v9
	s_cbranch_execz .LBB173_44
; %bb.41:
	v_lshl_add_u32 v10, v13, 3, v8
	s_mov_b32 s1, 0
	.p2align	6
.LBB173_42:                             ; =>This Inner Loop Header: Depth=1
	v_sub_nc_u32_e32 v11, v9, v16
	v_lshrrev_b32_e32 v11, 1, v11
	v_add_nc_u32_e32 v17, v11, v16
	v_not_b32_e32 v11, v17
	v_lshl_add_u32 v12, v17, 3, v8
	v_lshl_add_u32 v14, v11, 3, v10
	ds_read_b64 v[11:12], v12
	ds_read_b64 v[14:15], v14 offset:128
	s_waitcnt lgkmcnt(0)
	v_cmp_lt_i64_e32 vcc_lo, v[14:15], v[11:12]
	v_add_nc_u32_e32 v11, 1, v17
	v_cndmask_b32_e32 v9, v9, v17, vcc_lo
	v_cndmask_b32_e32 v16, v11, v16, vcc_lo
	v_cmp_ge_i32_e32 vcc_lo, v16, v9
	s_or_b32 s1, vcc_lo, s1
	s_andn2_b32 exec_lo, exec_lo, s1
	s_cbranch_execnz .LBB173_42
; %bb.43:
	s_or_b32 exec_lo, exec_lo, s1
.LBB173_44:
	s_or_b32 exec_lo, exec_lo, s0
	v_add_nc_u32_e32 v9, v21, v13
	v_lshl_add_u32 v14, v16, 3, v8
	v_add_nc_u32_e32 v12, v24, v13
	v_add_nc_u32_e32 v25, 32, v21
	v_cmp_lt_i32_e64 s0, 15, v16
	v_sub_nc_u32_e32 v9, v9, v16
	v_sub_nc_u32_e32 v26, v12, v16
                                        ; implicit-def: $vgpr12_vgpr13
	v_lshl_add_u32 v17, v9, 3, v31
	ds_read_b64 v[8:9], v14
	ds_read_b64 v[10:11], v17 offset:128
	v_cmp_gt_i32_e64 s1, v25, v26
	s_waitcnt lgkmcnt(0)
	v_cmp_lt_i64_e32 vcc_lo, v[10:11], v[8:9]
	s_or_b32 s0, s0, vcc_lo
	s_and_b32 vcc_lo, s1, s0
	s_xor_b32 s0, vcc_lo, -1
	s_and_saveexec_b32 s1, s0
	s_xor_b32 s0, exec_lo, s1
; %bb.45:
	ds_read_b64 v[12:13], v14 offset:8
                                        ; implicit-def: $vgpr17
; %bb.46:
	s_or_saveexec_b32 s0, s0
	v_mov_b32_e32 v15, v11
	v_mov_b32_e32 v14, v10
	s_xor_b32 exec_lo, exec_lo, s0
	s_cbranch_execz .LBB173_48
; %bb.47:
	ds_read_b64 v[14:15], v17 offset:136
	s_waitcnt lgkmcnt(1)
	v_mov_b32_e32 v13, v9
	v_mov_b32_e32 v12, v8
.LBB173_48:
	s_or_b32 exec_lo, exec_lo, s0
	v_add_nc_u32_e32 v27, v16, v21
	v_add_nc_u32_e32 v17, 1, v26
	s_waitcnt lgkmcnt(0)
	v_cmp_lt_i64_e64 s0, v[14:15], v[12:13]
	v_add_nc_u32_e32 v16, 1, v27
	v_cndmask_b32_e32 v33, v26, v17, vcc_lo
	v_cndmask_b32_e32 v28, v16, v27, vcc_lo
	v_cmp_lt_i32_e64 s2, v33, v25
                                        ; implicit-def: $vgpr16_vgpr17
	v_cmp_ge_i32_e64 s1, v28, v24
	s_or_b32 s0, s1, s0
	s_and_b32 s0, s2, s0
	s_xor_b32 s1, s0, -1
	s_and_saveexec_b32 s2, s1
	s_xor_b32 s1, exec_lo, s2
; %bb.49:
	v_lshl_add_u32 v16, v28, 3, v31
	ds_read_b64 v[16:17], v16 offset:8
; %bb.50:
	s_or_saveexec_b32 s1, s1
	v_mov_b32_e32 v19, v15
	v_mov_b32_e32 v18, v14
	s_xor_b32 exec_lo, exec_lo, s1
	s_cbranch_execz .LBB173_52
; %bb.51:
	s_waitcnt lgkmcnt(0)
	v_lshl_add_u32 v16, v33, 3, v31
	ds_read_b64 v[18:19], v16 offset:8
	v_mov_b32_e32 v17, v13
	v_mov_b32_e32 v16, v12
.LBB173_52:
	s_or_b32 exec_lo, exec_lo, s1
	v_add_nc_u32_e32 v20, 1, v28
	v_add_nc_u32_e32 v21, 1, v33
	s_waitcnt lgkmcnt(0)
	v_cmp_lt_i64_e64 s1, v[18:19], v[16:17]
	v_cndmask_b32_e64 v35, v20, v28, s0
	v_cndmask_b32_e64 v34, v33, v21, s0
                                        ; implicit-def: $vgpr20_vgpr21
	v_cmp_ge_i32_e64 s2, v35, v24
	v_cmp_lt_i32_e64 s3, v34, v25
	s_or_b32 s1, s2, s1
	s_and_b32 s1, s3, s1
	s_xor_b32 s2, s1, -1
	s_and_saveexec_b32 s3, s2
	s_xor_b32 s2, exec_lo, s3
; %bb.53:
	v_lshl_add_u32 v20, v35, 3, v31
	ds_read_b64 v[20:21], v20 offset:8
; %bb.54:
	s_or_saveexec_b32 s2, s2
	v_mov_b32_e32 v23, v19
	v_mov_b32_e32 v22, v18
	s_xor_b32 exec_lo, exec_lo, s2
	s_cbranch_execz .LBB173_56
; %bb.55:
	s_waitcnt lgkmcnt(0)
	v_lshl_add_u32 v20, v34, 3, v31
	ds_read_b64 v[22:23], v20 offset:8
	v_mov_b32_e32 v21, v17
	v_mov_b32_e32 v20, v16
.LBB173_56:
	s_or_b32 exec_lo, exec_lo, s2
	v_add_nc_u32_e32 v36, 1, v35
	v_add_nc_u32_e32 v37, 1, v34
	v_cndmask_b32_e64 v28, v28, v33, s0
	v_cndmask_b32_e32 v26, v27, v26, vcc_lo
	s_waitcnt lgkmcnt(0)
	v_cmp_lt_i64_e64 s2, v[22:23], v[20:21]
	v_cndmask_b32_e64 v33, v36, v35, s1
	v_cndmask_b32_e64 v27, v34, v37, s1
	v_cndmask_b32_e64 v38, v35, v34, s1
	; wave barrier
	v_cmp_ge_i32_e64 s3, v33, v24
	v_cmp_lt_i32_e64 s4, v27, v25
	ds_write2_b64 v30, v[4:5], v[6:7] offset1:1
	ds_write2_b64 v30, v[0:1], v[2:3] offset0:2 offset1:3
	v_lshl_add_u32 v1, v26, 3, v31
	v_lshl_add_u32 v2, v28, 3, v31
	s_or_b32 s2, s3, s2
	v_lshl_add_u32 v3, v38, 3, v31
	s_and_b32 s2, s4, s2
	v_cndmask_b32_e64 v0, v33, v27, s2
	; wave barrier
	v_cndmask_b32_e64 v23, v21, v23, s2
	v_and_b32_e32 v21, 64, v32
	v_cndmask_b32_e64 v19, v17, v19, s1
	v_lshl_add_u32 v24, v0, 3, v31
	v_cndmask_b32_e64 v15, v13, v15, s0
	ds_read_b64 v[4:5], v1
	ds_read_b64 v[6:7], v2
	;; [unrolled: 1-line block ×4, first 2 shown]
	v_or_b32_e32 v24, 32, v21
	v_and_b32_e32 v13, 60, v32
	v_cndmask_b32_e64 v18, v16, v18, s1
	v_cndmask_b32_e64 v14, v12, v14, s0
	v_cndmask_b32_e32 v11, v9, v11, vcc_lo
	v_sub_nc_u32_e32 v17, v24, v21
	v_cndmask_b32_e32 v10, v8, v10, vcc_lo
	v_sub_nc_u32_e64 v16, v13, 32 clamp
	v_lshl_add_u32 v8, v21, 3, v31
	v_cndmask_b32_e64 v22, v20, v22, s2
	v_min_i32_e32 v9, v13, v17
	s_mov_b32 s0, exec_lo
	; wave barrier
	ds_write2_b64 v30, v[10:11], v[14:15] offset1:1
	ds_write2_b64 v30, v[18:19], v[22:23] offset0:2 offset1:3
	; wave barrier
	v_cmpx_lt_i32_e64 v16, v9
	s_cbranch_execz .LBB173_60
; %bb.57:
	v_lshl_add_u32 v10, v13, 3, v8
	s_mov_b32 s1, 0
	.p2align	6
.LBB173_58:                             ; =>This Inner Loop Header: Depth=1
	v_sub_nc_u32_e32 v11, v9, v16
	v_lshrrev_b32_e32 v11, 1, v11
	v_add_nc_u32_e32 v17, v11, v16
	v_not_b32_e32 v11, v17
	v_lshl_add_u32 v12, v17, 3, v8
	v_lshl_add_u32 v14, v11, 3, v10
	ds_read_b64 v[11:12], v12
	ds_read_b64 v[14:15], v14 offset:256
	s_waitcnt lgkmcnt(0)
	v_cmp_lt_i64_e32 vcc_lo, v[14:15], v[11:12]
	v_add_nc_u32_e32 v11, 1, v17
	v_cndmask_b32_e32 v9, v9, v17, vcc_lo
	v_cndmask_b32_e32 v16, v11, v16, vcc_lo
	v_cmp_ge_i32_e32 vcc_lo, v16, v9
	s_or_b32 s1, vcc_lo, s1
	s_andn2_b32 exec_lo, exec_lo, s1
	s_cbranch_execnz .LBB173_58
; %bb.59:
	s_or_b32 exec_lo, exec_lo, s1
.LBB173_60:
	s_or_b32 exec_lo, exec_lo, s0
	v_add_nc_u32_e32 v9, v21, v13
	v_lshl_add_u32 v14, v16, 3, v8
	v_add_nc_u32_e32 v12, v24, v13
	v_add_nc_u32_e32 v25, 64, v21
	v_cmp_lt_i32_e64 s0, 31, v16
	v_sub_nc_u32_e32 v9, v9, v16
	v_sub_nc_u32_e32 v26, v12, v16
                                        ; implicit-def: $vgpr12_vgpr13
	v_lshl_add_u32 v17, v9, 3, v31
	ds_read_b64 v[8:9], v14
	ds_read_b64 v[10:11], v17 offset:256
	v_cmp_gt_i32_e64 s1, v25, v26
	s_waitcnt lgkmcnt(0)
	v_cmp_lt_i64_e32 vcc_lo, v[10:11], v[8:9]
	s_or_b32 s0, s0, vcc_lo
	s_and_b32 vcc_lo, s1, s0
	s_xor_b32 s0, vcc_lo, -1
	s_and_saveexec_b32 s1, s0
	s_xor_b32 s0, exec_lo, s1
; %bb.61:
	ds_read_b64 v[12:13], v14 offset:8
                                        ; implicit-def: $vgpr17
; %bb.62:
	s_or_saveexec_b32 s0, s0
	v_mov_b32_e32 v15, v11
	v_mov_b32_e32 v14, v10
	s_xor_b32 exec_lo, exec_lo, s0
	s_cbranch_execz .LBB173_64
; %bb.63:
	ds_read_b64 v[14:15], v17 offset:264
	s_waitcnt lgkmcnt(1)
	v_mov_b32_e32 v13, v9
	v_mov_b32_e32 v12, v8
.LBB173_64:
	s_or_b32 exec_lo, exec_lo, s0
	v_add_nc_u32_e32 v27, v16, v21
	v_add_nc_u32_e32 v17, 1, v26
	s_waitcnt lgkmcnt(0)
	v_cmp_lt_i64_e64 s0, v[14:15], v[12:13]
	v_add_nc_u32_e32 v16, 1, v27
	v_cndmask_b32_e32 v33, v26, v17, vcc_lo
	v_cndmask_b32_e32 v28, v16, v27, vcc_lo
	v_cmp_lt_i32_e64 s2, v33, v25
                                        ; implicit-def: $vgpr16_vgpr17
	v_cmp_ge_i32_e64 s1, v28, v24
	s_or_b32 s0, s1, s0
	s_and_b32 s0, s2, s0
	s_xor_b32 s1, s0, -1
	s_and_saveexec_b32 s2, s1
	s_xor_b32 s1, exec_lo, s2
; %bb.65:
	v_lshl_add_u32 v16, v28, 3, v31
	ds_read_b64 v[16:17], v16 offset:8
; %bb.66:
	s_or_saveexec_b32 s1, s1
	v_mov_b32_e32 v19, v15
	v_mov_b32_e32 v18, v14
	s_xor_b32 exec_lo, exec_lo, s1
	s_cbranch_execz .LBB173_68
; %bb.67:
	s_waitcnt lgkmcnt(0)
	v_lshl_add_u32 v16, v33, 3, v31
	ds_read_b64 v[18:19], v16 offset:8
	v_mov_b32_e32 v17, v13
	v_mov_b32_e32 v16, v12
.LBB173_68:
	s_or_b32 exec_lo, exec_lo, s1
	v_add_nc_u32_e32 v20, 1, v28
	v_add_nc_u32_e32 v21, 1, v33
	s_waitcnt lgkmcnt(0)
	v_cmp_lt_i64_e64 s1, v[18:19], v[16:17]
	v_cndmask_b32_e64 v35, v20, v28, s0
	v_cndmask_b32_e64 v34, v33, v21, s0
                                        ; implicit-def: $vgpr20_vgpr21
	v_cmp_ge_i32_e64 s2, v35, v24
	v_cmp_lt_i32_e64 s3, v34, v25
	s_or_b32 s1, s2, s1
	s_and_b32 s1, s3, s1
	s_xor_b32 s2, s1, -1
	s_and_saveexec_b32 s3, s2
	s_xor_b32 s2, exec_lo, s3
; %bb.69:
	v_lshl_add_u32 v20, v35, 3, v31
	ds_read_b64 v[20:21], v20 offset:8
; %bb.70:
	s_or_saveexec_b32 s2, s2
	v_mov_b32_e32 v23, v19
	v_mov_b32_e32 v22, v18
	s_xor_b32 exec_lo, exec_lo, s2
	s_cbranch_execz .LBB173_72
; %bb.71:
	s_waitcnt lgkmcnt(0)
	v_lshl_add_u32 v20, v34, 3, v31
	ds_read_b64 v[22:23], v20 offset:8
	v_mov_b32_e32 v21, v17
	v_mov_b32_e32 v20, v16
.LBB173_72:
	s_or_b32 exec_lo, exec_lo, s2
	v_add_nc_u32_e32 v36, 1, v35
	v_add_nc_u32_e32 v37, 1, v34
	s_waitcnt lgkmcnt(0)
	v_cmp_lt_i64_e64 s2, v[22:23], v[20:21]
	v_cndmask_b32_e64 v28, v28, v33, s0
	v_cndmask_b32_e64 v36, v36, v35, s1
	;; [unrolled: 1-line block ×4, first 2 shown]
	; wave barrier
	ds_write2_b64 v30, v[4:5], v[6:7] offset1:1
	v_cmp_ge_i32_e64 s3, v36, v24
	v_cndmask_b32_e32 v24, v27, v26, vcc_lo
	v_cmp_lt_i32_e64 s4, v34, v25
	ds_write2_b64 v30, v[0:1], v[2:3] offset0:2 offset1:3
	v_lshl_add_u32 v2, v28, 3, v31
	s_or_b32 s2, s3, s2
	v_lshl_add_u32 v0, v24, 3, v31
	s_and_b32 s2, s4, s2
	v_lshl_add_u32 v3, v35, 3, v31
	v_cndmask_b32_e64 v4, v36, v34, s2
	; wave barrier
	v_cndmask_b32_e64 v13, v13, v15, s0
	v_cndmask_b32_e64 v12, v12, v14, s0
	v_lshl_add_u32 v6, v4, 3, v31
	v_cndmask_b32_e32 v11, v9, v11, vcc_lo
	ds_read_b64 v[0:1], v0
	ds_read_b64 v[4:5], v2
	;; [unrolled: 1-line block ×4, first 2 shown]
	v_sub_nc_u32_e64 v24, v32, 64 clamp
	v_min_u32_e32 v9, 64, v32
	v_cndmask_b32_e32 v10, v8, v10, vcc_lo
	v_cndmask_b32_e64 v21, v21, v23, s2
	v_cndmask_b32_e64 v17, v17, v19, s1
	v_cndmask_b32_e64 v16, v16, v18, s1
	v_cndmask_b32_e64 v20, v20, v22, s2
	s_mov_b32 s0, exec_lo
	; wave barrier
	ds_write2_b64 v30, v[10:11], v[12:13] offset1:1
	ds_write2_b64 v30, v[16:17], v[20:21] offset0:2 offset1:3
	; wave barrier
	v_cmpx_lt_u32_e64 v24, v9
	s_cbranch_execz .LBB173_76
; %bb.73:
	s_mov_b32 s1, 0
	.p2align	6
.LBB173_74:                             ; =>This Inner Loop Header: Depth=1
	v_sub_nc_u32_e32 v8, v9, v24
	v_lshrrev_b32_e32 v8, 1, v8
	v_add_nc_u32_e32 v8, v8, v24
	v_not_b32_e32 v10, v8
	v_lshl_add_u32 v11, v8, 3, v31
	v_lshl_add_u32 v12, v10, 3, v30
	ds_read_b64 v[10:11], v11
	ds_read_b64 v[12:13], v12 offset:512
	s_waitcnt lgkmcnt(0)
	v_cmp_lt_i64_e32 vcc_lo, v[12:13], v[10:11]
	v_add_nc_u32_e32 v10, 1, v8
	v_cndmask_b32_e32 v9, v9, v8, vcc_lo
	v_cndmask_b32_e32 v24, v10, v24, vcc_lo
	v_cmp_ge_i32_e32 vcc_lo, v24, v9
	s_or_b32 s1, vcc_lo, s1
	s_andn2_b32 exec_lo, exec_lo, s1
	s_cbranch_execnz .LBB173_74
; %bb.75:
	s_or_b32 exec_lo, exec_lo, s1
.LBB173_76:
	s_or_b32 exec_lo, exec_lo, s0
	v_sub_nc_u32_e32 v12, v32, v24
	v_lshl_add_u32 v14, v24, 3, v31
	v_cmp_lt_i32_e64 s0, 63, v24
	v_lshl_add_u32 v16, v12, 3, v31
	v_add_nc_u32_e32 v25, 64, v12
                                        ; implicit-def: $vgpr12_vgpr13
	ds_read_b64 v[8:9], v14
	ds_read_b64 v[10:11], v16 offset:512
	v_cmp_gt_i32_e64 s1, 0x80, v25
	s_waitcnt lgkmcnt(0)
	v_cmp_lt_i64_e32 vcc_lo, v[10:11], v[8:9]
	s_or_b32 s0, s0, vcc_lo
	s_and_b32 vcc_lo, s1, s0
	s_xor_b32 s0, vcc_lo, -1
	s_and_saveexec_b32 s1, s0
	s_xor_b32 s0, exec_lo, s1
; %bb.77:
	ds_read_b64 v[12:13], v14 offset:8
                                        ; implicit-def: $vgpr16
; %bb.78:
	s_or_saveexec_b32 s0, s0
	v_mov_b32_e32 v15, v11
	v_mov_b32_e32 v14, v10
	s_xor_b32 exec_lo, exec_lo, s0
	s_cbranch_execz .LBB173_80
; %bb.79:
	ds_read_b64 v[14:15], v16 offset:520
	s_waitcnt lgkmcnt(1)
	v_mov_b32_e32 v13, v9
	v_mov_b32_e32 v12, v8
.LBB173_80:
	s_or_b32 exec_lo, exec_lo, s0
	v_add_nc_u32_e32 v16, 1, v24
	v_add_nc_u32_e32 v17, 1, v25
	s_waitcnt lgkmcnt(0)
	v_cmp_lt_i64_e64 s0, v[14:15], v[12:13]
                                        ; implicit-def: $vgpr22_vgpr23
	v_cndmask_b32_e32 v26, v16, v24, vcc_lo
	v_cndmask_b32_e32 v27, v25, v17, vcc_lo
	v_cmp_lt_i32_e64 s1, 63, v26
	v_cmp_gt_i32_e64 s2, 0x80, v27
	s_or_b32 s0, s1, s0
	s_and_b32 s0, s2, s0
	s_xor_b32 s1, s0, -1
	s_and_saveexec_b32 s2, s1
	s_xor_b32 s1, exec_lo, s2
; %bb.81:
	v_lshl_add_u32 v16, v26, 3, v31
	ds_read_b64 v[22:23], v16 offset:8
; %bb.82:
	s_or_saveexec_b32 s1, s1
	v_mov_b32_e32 v17, v15
	v_mov_b32_e32 v16, v14
	s_xor_b32 exec_lo, exec_lo, s1
	s_cbranch_execz .LBB173_84
; %bb.83:
	v_lshl_add_u32 v16, v27, 3, v31
	s_waitcnt lgkmcnt(0)
	v_mov_b32_e32 v23, v13
	v_mov_b32_e32 v22, v12
	ds_read_b64 v[16:17], v16 offset:8
.LBB173_84:
	s_or_b32 exec_lo, exec_lo, s1
	v_add_nc_u32_e32 v18, 1, v26
	v_add_nc_u32_e32 v19, 1, v27
	s_waitcnt lgkmcnt(0)
	v_cmp_ge_i64_e64 s1, v[16:17], v[22:23]
                                        ; implicit-def: $vgpr32
	v_cndmask_b32_e64 v34, v18, v26, s0
	v_cndmask_b32_e64 v28, v27, v19, s0
                                        ; implicit-def: $vgpr18_vgpr19
	v_cmp_gt_i32_e64 s2, 64, v34
	v_cmp_lt_i32_e64 s3, 0x7f, v28
	s_and_b32 s1, s2, s1
	s_or_b32 s1, s3, s1
	s_and_saveexec_b32 s2, s1
	s_xor_b32 s1, exec_lo, s2
; %bb.85:
	v_lshl_add_u32 v18, v34, 3, v31
	v_add_nc_u32_e32 v32, 1, v34
	ds_read_b64 v[18:19], v18 offset:8
; %bb.86:
	s_or_saveexec_b32 s1, s1
	v_mov_b32_e32 v20, v22
	v_mov_b32_e32 v21, v23
	;; [unrolled: 1-line block ×3, first 2 shown]
	s_xor_b32 exec_lo, exec_lo, s1
	s_cbranch_execz .LBB173_88
; %bb.87:
	s_waitcnt lgkmcnt(0)
	v_lshl_add_u32 v18, v28, 3, v31
	v_mov_b32_e32 v21, v17
	v_mov_b32_e32 v20, v16
	;; [unrolled: 1-line block ×4, first 2 shown]
	ds_read_b64 v[35:36], v18 offset:8
	v_add_nc_u32_e32 v18, 1, v28
	v_mov_b32_e32 v28, v18
	v_mov_b32_e32 v18, v22
	;; [unrolled: 1-line block ×3, first 2 shown]
	s_waitcnt lgkmcnt(0)
	v_mov_b32_e32 v16, v35
	v_mov_b32_e32 v17, v36
.LBB173_88:
	s_or_b32 exec_lo, exec_lo, s1
	s_waitcnt lgkmcnt(0)
	v_cmp_lt_i64_e64 s1, v[16:17], v[18:19]
	v_cmp_lt_i32_e64 s2, 63, v32
	v_cmp_gt_i32_e64 s3, 0x80, v28
	v_cndmask_b32_e32 v23, v24, v25, vcc_lo
	v_cndmask_b32_e64 v22, v26, v27, s0
	s_or_b32 s1, s2, s1
	; wave barrier
	s_and_b32 s1, s3, s1
	v_lshl_add_u32 v23, v23, 3, v31
	ds_write2_b64 v30, v[0:1], v[4:5] offset1:1
	ds_write2_b64 v30, v[2:3], v[6:7] offset0:2 offset1:3
	v_cndmask_b32_e64 v4, v32, v28, s1
	v_lshl_add_u32 v2, v22, 3, v31
	; wave barrier
	ds_read_b64 v[0:1], v23
	v_lshl_add_u32 v5, v33, 3, v31
	v_lshl_add_u32 v6, v4, 3, v31
	ds_read_b64 v[2:3], v2
	ds_read_b64 v[4:5], v5
	;; [unrolled: 1-line block ×3, first 2 shown]
	v_cndmask_b32_e32 v8, v8, v10, vcc_lo
	v_cndmask_b32_e64 v10, v12, v14, s0
	v_cndmask_b32_e32 v9, v9, v11, vcc_lo
	v_cndmask_b32_e64 v13, v13, v15, s0
	v_cndmask_b32_e64 v11, v18, v16, s1
	v_cndmask_b32_e64 v17, v19, v17, s1
	s_add_u32 s0, s10, s6
	s_addc_u32 s1, s11, s7
	s_waitcnt lgkmcnt(3)
	v_add_co_u32 v0, vcc_lo, v0, v8
	v_add_co_ci_u32_e64 v1, null, v1, v9, vcc_lo
	s_waitcnt lgkmcnt(2)
	v_add_co_u32 v2, vcc_lo, v2, v10
	v_add_co_ci_u32_e64 v3, null, v3, v13, vcc_lo
	;; [unrolled: 3-line block ×3, first 2 shown]
	s_waitcnt lgkmcnt(0)
	v_add_co_u32 v6, vcc_lo, v6, v11
	v_lshlrev_b32_e32 v8, 3, v29
	v_add_co_ci_u32_e64 v7, null, v7, v17, vcc_lo
	global_store_dwordx4 v8, v[0:3], s[0:1]
	global_store_dwordx4 v8, v[4:7], s[0:1] offset:16
	s_endpgm
	.section	.rodata,"a",@progbits
	.p2align	6, 0x0
	.amdhsa_kernel _Z10sort_pairsILj256ELj32ELj4ExN10test_utils4lessEEvPKT2_PS2_T3_
		.amdhsa_group_segment_fixed_size 8256
		.amdhsa_private_segment_fixed_size 0
		.amdhsa_kernarg_size 20
		.amdhsa_user_sgpr_count 6
		.amdhsa_user_sgpr_private_segment_buffer 1
		.amdhsa_user_sgpr_dispatch_ptr 0
		.amdhsa_user_sgpr_queue_ptr 0
		.amdhsa_user_sgpr_kernarg_segment_ptr 1
		.amdhsa_user_sgpr_dispatch_id 0
		.amdhsa_user_sgpr_flat_scratch_init 0
		.amdhsa_user_sgpr_private_segment_size 0
		.amdhsa_wavefront_size32 1
		.amdhsa_uses_dynamic_stack 0
		.amdhsa_system_sgpr_private_segment_wavefront_offset 0
		.amdhsa_system_sgpr_workgroup_id_x 1
		.amdhsa_system_sgpr_workgroup_id_y 0
		.amdhsa_system_sgpr_workgroup_id_z 0
		.amdhsa_system_sgpr_workgroup_info 0
		.amdhsa_system_vgpr_workitem_id 0
		.amdhsa_next_free_vgpr 41
		.amdhsa_next_free_sgpr 12
		.amdhsa_reserve_vcc 1
		.amdhsa_reserve_flat_scratch 0
		.amdhsa_float_round_mode_32 0
		.amdhsa_float_round_mode_16_64 0
		.amdhsa_float_denorm_mode_32 3
		.amdhsa_float_denorm_mode_16_64 3
		.amdhsa_dx10_clamp 1
		.amdhsa_ieee_mode 1
		.amdhsa_fp16_overflow 0
		.amdhsa_workgroup_processor_mode 1
		.amdhsa_memory_ordered 1
		.amdhsa_forward_progress 1
		.amdhsa_shared_vgpr_count 0
		.amdhsa_exception_fp_ieee_invalid_op 0
		.amdhsa_exception_fp_denorm_src 0
		.amdhsa_exception_fp_ieee_div_zero 0
		.amdhsa_exception_fp_ieee_overflow 0
		.amdhsa_exception_fp_ieee_underflow 0
		.amdhsa_exception_fp_ieee_inexact 0
		.amdhsa_exception_int_div_zero 0
	.end_amdhsa_kernel
	.section	.text._Z10sort_pairsILj256ELj32ELj4ExN10test_utils4lessEEvPKT2_PS2_T3_,"axG",@progbits,_Z10sort_pairsILj256ELj32ELj4ExN10test_utils4lessEEvPKT2_PS2_T3_,comdat
.Lfunc_end173:
	.size	_Z10sort_pairsILj256ELj32ELj4ExN10test_utils4lessEEvPKT2_PS2_T3_, .Lfunc_end173-_Z10sort_pairsILj256ELj32ELj4ExN10test_utils4lessEEvPKT2_PS2_T3_
                                        ; -- End function
	.set _Z10sort_pairsILj256ELj32ELj4ExN10test_utils4lessEEvPKT2_PS2_T3_.num_vgpr, 41
	.set _Z10sort_pairsILj256ELj32ELj4ExN10test_utils4lessEEvPKT2_PS2_T3_.num_agpr, 0
	.set _Z10sort_pairsILj256ELj32ELj4ExN10test_utils4lessEEvPKT2_PS2_T3_.numbered_sgpr, 12
	.set _Z10sort_pairsILj256ELj32ELj4ExN10test_utils4lessEEvPKT2_PS2_T3_.num_named_barrier, 0
	.set _Z10sort_pairsILj256ELj32ELj4ExN10test_utils4lessEEvPKT2_PS2_T3_.private_seg_size, 0
	.set _Z10sort_pairsILj256ELj32ELj4ExN10test_utils4lessEEvPKT2_PS2_T3_.uses_vcc, 1
	.set _Z10sort_pairsILj256ELj32ELj4ExN10test_utils4lessEEvPKT2_PS2_T3_.uses_flat_scratch, 0
	.set _Z10sort_pairsILj256ELj32ELj4ExN10test_utils4lessEEvPKT2_PS2_T3_.has_dyn_sized_stack, 0
	.set _Z10sort_pairsILj256ELj32ELj4ExN10test_utils4lessEEvPKT2_PS2_T3_.has_recursion, 0
	.set _Z10sort_pairsILj256ELj32ELj4ExN10test_utils4lessEEvPKT2_PS2_T3_.has_indirect_call, 0
	.section	.AMDGPU.csdata,"",@progbits
; Kernel info:
; codeLenInByte = 5004
; TotalNumSgprs: 14
; NumVgprs: 41
; ScratchSize: 0
; MemoryBound: 0
; FloatMode: 240
; IeeeMode: 1
; LDSByteSize: 8256 bytes/workgroup (compile time only)
; SGPRBlocks: 0
; VGPRBlocks: 5
; NumSGPRsForWavesPerEU: 14
; NumVGPRsForWavesPerEU: 41
; Occupancy: 16
; WaveLimiterHint : 0
; COMPUTE_PGM_RSRC2:SCRATCH_EN: 0
; COMPUTE_PGM_RSRC2:USER_SGPR: 6
; COMPUTE_PGM_RSRC2:TRAP_HANDLER: 0
; COMPUTE_PGM_RSRC2:TGID_X_EN: 1
; COMPUTE_PGM_RSRC2:TGID_Y_EN: 0
; COMPUTE_PGM_RSRC2:TGID_Z_EN: 0
; COMPUTE_PGM_RSRC2:TIDIG_COMP_CNT: 0
	.section	.text._Z19sort_keys_segmentedILj256ELj32ELj4ExN10test_utils4lessEEvPKT2_PS2_PKjT3_,"axG",@progbits,_Z19sort_keys_segmentedILj256ELj32ELj4ExN10test_utils4lessEEvPKT2_PS2_PKjT3_,comdat
	.protected	_Z19sort_keys_segmentedILj256ELj32ELj4ExN10test_utils4lessEEvPKT2_PS2_PKjT3_ ; -- Begin function _Z19sort_keys_segmentedILj256ELj32ELj4ExN10test_utils4lessEEvPKT2_PS2_PKjT3_
	.globl	_Z19sort_keys_segmentedILj256ELj32ELj4ExN10test_utils4lessEEvPKT2_PS2_PKjT3_
	.p2align	8
	.type	_Z19sort_keys_segmentedILj256ELj32ELj4ExN10test_utils4lessEEvPKT2_PS2_PKjT3_,@function
_Z19sort_keys_segmentedILj256ELj32ELj4ExN10test_utils4lessEEvPKT2_PS2_PKjT3_: ; @_Z19sort_keys_segmentedILj256ELj32ELj4ExN10test_utils4lessEEvPKT2_PS2_PKjT3_
; %bb.0:
	s_clause 0x1
	s_load_dwordx2 s[0:1], s[4:5], 0x10
	s_load_dwordx4 s[8:11], s[4:5], 0x0
	v_lshrrev_b32_e32 v14, 5, v0
	v_mov_b32_e32 v1, 0
	v_lshl_or_b32 v0, s6, 3, v14
	v_mov_b32_e32 v4, v1
	v_mov_b32_e32 v5, v1
	;; [unrolled: 1-line block ×3, first 2 shown]
	v_lshlrev_b64 v[2:3], 2, v[0:1]
	v_lshlrev_b32_e32 v0, 7, v0
	v_lshlrev_b64 v[8:9], 3, v[0:1]
	v_mov_b32_e32 v0, v1
	s_waitcnt lgkmcnt(0)
	v_add_co_u32 v2, vcc_lo, s0, v2
	v_add_co_ci_u32_e64 v3, null, s1, v3, vcc_lo
	v_add_co_u32 v10, vcc_lo, s8, v8
	v_add_co_ci_u32_e64 v11, null, s9, v9, vcc_lo
	global_load_dword v18, v[2:3], off
	v_mbcnt_lo_u32_b32 v2, -1, 0
	v_mov_b32_e32 v3, v1
	v_lshlrev_b32_e32 v7, 5, v2
	v_lshlrev_b32_e32 v19, 2, v2
	v_mov_b32_e32 v2, v1
	v_add_co_u32 v10, vcc_lo, v10, v7
	v_add_co_ci_u32_e64 v11, null, 0, v11, vcc_lo
	v_mov_b32_e32 v7, v1
	s_waitcnt vmcnt(0)
	v_cmp_lt_u32_e32 vcc_lo, v19, v18
	s_and_saveexec_b32 s0, vcc_lo
	s_cbranch_execz .LBB174_2
; %bb.1:
	global_load_dwordx2 v[20:21], v[10:11], off
	v_mov_b32_e32 v22, v1
	v_mov_b32_e32 v23, v1
	v_mov_b32_e32 v24, v1
	v_mov_b32_e32 v25, v1
	v_mov_b32_e32 v26, v1
	v_mov_b32_e32 v27, v1
	s_waitcnt vmcnt(0)
	v_mov_b32_e32 v0, v20
	v_mov_b32_e32 v1, v21
	v_mov_b32_e32 v2, v22
	v_mov_b32_e32 v3, v23
	v_mov_b32_e32 v4, v24
	v_mov_b32_e32 v5, v25
	v_mov_b32_e32 v6, v26
	v_mov_b32_e32 v7, v27
.LBB174_2:
	s_or_b32 exec_lo, exec_lo, s0
	v_or_b32_e32 v12, 1, v19
	v_cmp_lt_u32_e64 s0, v12, v18
	s_and_saveexec_b32 s1, s0
	s_cbranch_execz .LBB174_4
; %bb.3:
	global_load_dwordx2 v[2:3], v[10:11], off offset:8
.LBB174_4:
	s_or_b32 exec_lo, exec_lo, s1
	v_or_b32_e32 v13, 2, v19
	v_cmp_lt_u32_e64 s1, v13, v18
	s_and_saveexec_b32 s2, s1
	s_cbranch_execz .LBB174_6
; %bb.5:
	global_load_dwordx2 v[4:5], v[10:11], off offset:16
.LBB174_6:
	;; [unrolled: 8-line block ×3, first 2 shown]
	s_or_b32 exec_lo, exec_lo, s3
	v_cmp_lt_i32_e64 s3, v13, v18
	v_cmp_lt_i32_e64 s4, v15, v18
	;; [unrolled: 1-line block ×3, first 2 shown]
	s_mov_b32 s6, exec_lo
	s_or_b32 s3, s4, s3
	s_waitcnt vmcnt(0)
	v_cndmask_b32_e64 v7, 0x7fffffff, v7, s4
	v_cndmask_b32_e64 v5, 0x7fffffff, v5, s3
	v_cndmask_b32_e64 v4, -1, v4, s3
	s_or_b32 s3, s3, s5
	v_cndmask_b32_e64 v6, -1, v6, s4
	v_cndmask_b32_e64 v3, 0x7fffffff, v3, s3
	v_cndmask_b32_e64 v2, -1, v2, s3
	v_cmpx_lt_i32_e64 v19, v18
	s_cbranch_execz .LBB174_12
; %bb.9:
	v_cmp_gt_i64_e64 s3, v[2:3], v[0:1]
	v_cmp_lt_i64_e64 s4, v[6:7], v[4:5]
	v_cmp_lt_i64_e64 s5, v[2:3], v[0:1]
	v_cndmask_b32_e64 v11, v1, v3, s3
	v_cndmask_b32_e64 v10, v0, v2, s3
	v_cmp_gt_i64_e64 s3, v[6:7], v[4:5]
	v_cndmask_b32_e64 v13, v5, v7, s4
	v_cndmask_b32_e64 v12, v4, v6, s4
	;; [unrolled: 1-line block ×7, first 2 shown]
	v_cmp_lt_i64_e64 s5, v[12:13], v[10:11]
	v_cndmask_b32_e64 v20, v7, v5, s4
	v_cndmask_b32_e64 v5, v5, v7, s3
	;; [unrolled: 1-line block ×3, first 2 shown]
	v_cmp_gt_i64_e64 s3, v[12:13], v[10:11]
	v_cmp_lt_i64_e64 s4, v[12:13], v[0:1]
	v_cndmask_b32_e64 v3, v15, v13, s5
	v_cndmask_b32_e64 v21, v12, v10, s5
	;; [unrolled: 1-line block ×6, first 2 shown]
	v_cmp_gt_i64_e64 s3, v[10:11], v[4:5]
	v_cndmask_b32_e64 v17, v11, v13, s5
	v_cndmask_b32_e64 v23, v10, v12, s5
	;; [unrolled: 1-line block ×14, first 2 shown]
	s_mov_b32 s3, exec_lo
	v_cmpx_lt_i64_e64 v[12:13], v[10:11]
; %bb.10:
	v_mov_b32_e32 v2, v12
	v_mov_b32_e32 v3, v13
	;; [unrolled: 1-line block ×4, first 2 shown]
; %bb.11:
	s_or_b32 exec_lo, exec_lo, s3
.LBB174_12:
	s_or_b32 exec_lo, exec_lo, s6
	v_and_b32_e32 v10, 0x78, v19
	v_and_b32_e32 v12, 4, v19
	v_lshlrev_b32_e32 v20, 3, v19
	v_mul_u32_u24_e32 v21, 0x408, v14
	v_min_i32_e32 v10, v18, v10
	; wave barrier
	v_mad_u32_u24 v22, 0x408, v14, v20
	s_mov_b32 s5, 0
	s_mov_b32 s4, exec_lo
	v_add_nc_u32_e32 v11, 4, v10
	v_lshlrev_b32_e32 v16, 3, v10
	ds_write2_b64 v22, v[0:1], v[2:3] offset1:1
	ds_write2_b64 v22, v[4:5], v[6:7] offset0:2 offset1:3
	v_min_i32_e32 v26, v18, v11
	v_mad_u32_u24 v0, 0x408, v14, v16
	; wave barrier
	v_add_nc_u32_e32 v11, 4, v26
	v_sub_nc_u32_e32 v15, v26, v10
	v_min_i32_e32 v24, v18, v11
	v_min_i32_e32 v11, v18, v12
	v_sub_nc_u32_e32 v12, v24, v26
	v_sub_nc_u32_e32 v13, v11, v12
	v_cmp_ge_i32_e64 s3, v11, v12
	v_cndmask_b32_e64 v12, 0, v13, s3
	v_min_i32_e32 v13, v11, v15
	v_cmpx_lt_i32_e64 v12, v13
	s_cbranch_execz .LBB174_16
; %bb.13:
	v_lshlrev_b32_e32 v1, 3, v26
	v_lshlrev_b32_e32 v2, 3, v11
	v_add3_u32 v1, v21, v1, v2
	.p2align	6
.LBB174_14:                             ; =>This Inner Loop Header: Depth=1
	v_sub_nc_u32_e32 v2, v13, v12
	v_lshrrev_b32_e32 v2, 1, v2
	v_add_nc_u32_e32 v6, v2, v12
	v_not_b32_e32 v2, v6
	v_lshl_add_u32 v3, v6, 3, v0
	v_lshl_add_u32 v4, v2, 3, v1
	ds_read_b64 v[2:3], v3
	ds_read_b64 v[4:5], v4
	s_waitcnt lgkmcnt(0)
	v_cmp_lt_i64_e64 s3, v[4:5], v[2:3]
	v_add_nc_u32_e32 v2, 1, v6
	v_cndmask_b32_e64 v13, v13, v6, s3
	v_cndmask_b32_e64 v12, v2, v12, s3
	v_cmp_ge_i32_e64 s3, v12, v13
	s_or_b32 s5, s3, s5
	s_andn2_b32 exec_lo, exec_lo, s5
	s_cbranch_execnz .LBB174_14
; %bb.15:
	s_or_b32 exec_lo, exec_lo, s5
.LBB174_16:
	s_or_b32 exec_lo, exec_lo, s4
	v_add_nc_u32_e32 v1, v26, v11
	v_lshl_add_u32 v6, v12, 3, v0
	v_add_nc_u32_e32 v10, v12, v10
                                        ; implicit-def: $vgpr4_vgpr5
	v_sub_nc_u32_e32 v11, v1, v12
	v_cmp_le_i32_e64 s4, v26, v10
	v_lshl_add_u32 v13, v11, 3, v21
	v_cmp_gt_i32_e64 s5, v24, v11
	ds_read_b64 v[0:1], v6
	ds_read_b64 v[2:3], v13
	s_waitcnt lgkmcnt(0)
	v_cmp_lt_i64_e64 s3, v[2:3], v[0:1]
	s_or_b32 s3, s4, s3
	s_and_b32 s3, s5, s3
	s_xor_b32 s4, s3, -1
	s_and_saveexec_b32 s5, s4
	s_xor_b32 s4, exec_lo, s5
; %bb.17:
	ds_read_b64 v[4:5], v6 offset:8
                                        ; implicit-def: $vgpr13
; %bb.18:
	s_or_saveexec_b32 s4, s4
	v_mov_b32_e32 v7, v3
	v_mov_b32_e32 v6, v2
	s_xor_b32 exec_lo, exec_lo, s4
	s_cbranch_execz .LBB174_20
; %bb.19:
	ds_read_b64 v[6:7], v13 offset:8
	s_waitcnt lgkmcnt(1)
	v_mov_b32_e32 v5, v1
	v_mov_b32_e32 v4, v0
.LBB174_20:
	s_or_b32 exec_lo, exec_lo, s4
	v_add_nc_u32_e32 v12, 1, v10
	v_add_nc_u32_e32 v13, 1, v11
	s_waitcnt lgkmcnt(0)
	v_cmp_lt_i64_e64 s4, v[6:7], v[4:5]
	v_cndmask_b32_e64 v15, v12, v10, s3
	v_cndmask_b32_e64 v14, v11, v13, s3
                                        ; implicit-def: $vgpr10_vgpr11
	v_cmp_ge_i32_e64 s5, v15, v26
	v_cmp_lt_i32_e64 s6, v14, v24
	s_or_b32 s4, s5, s4
	s_and_b32 s4, s6, s4
	s_xor_b32 s5, s4, -1
	s_and_saveexec_b32 s6, s5
	s_xor_b32 s5, exec_lo, s6
; %bb.21:
	v_lshl_add_u32 v10, v15, 3, v21
	ds_read_b64 v[10:11], v10 offset:8
; %bb.22:
	s_or_saveexec_b32 s5, s5
	v_mov_b32_e32 v13, v7
	v_mov_b32_e32 v12, v6
	s_xor_b32 exec_lo, exec_lo, s5
	s_cbranch_execz .LBB174_24
; %bb.23:
	s_waitcnt lgkmcnt(0)
	v_lshl_add_u32 v10, v14, 3, v21
	ds_read_b64 v[12:13], v10 offset:8
	v_mov_b32_e32 v11, v5
	v_mov_b32_e32 v10, v4
.LBB174_24:
	s_or_b32 exec_lo, exec_lo, s5
	v_add_nc_u32_e32 v16, 1, v15
	v_add_nc_u32_e32 v17, 1, v14
	s_waitcnt lgkmcnt(0)
	v_cmp_lt_i64_e64 s5, v[12:13], v[10:11]
	v_cndmask_b32_e64 v25, v16, v15, s4
	v_cndmask_b32_e64 v28, v14, v17, s4
                                        ; implicit-def: $vgpr14_vgpr15
	v_cmp_ge_i32_e64 s6, v25, v26
	v_cmp_lt_i32_e64 s7, v28, v24
	s_or_b32 s5, s6, s5
	s_and_b32 s5, s7, s5
	s_xor_b32 s6, s5, -1
	s_and_saveexec_b32 s7, s6
	s_xor_b32 s6, exec_lo, s7
; %bb.25:
	v_lshl_add_u32 v14, v25, 3, v21
	ds_read_b64 v[14:15], v14 offset:8
; %bb.26:
	s_or_saveexec_b32 s6, s6
	v_mov_b32_e32 v17, v13
	v_mov_b32_e32 v16, v12
	s_xor_b32 exec_lo, exec_lo, s6
	s_cbranch_execz .LBB174_28
; %bb.27:
	s_waitcnt lgkmcnt(0)
	v_lshl_add_u32 v14, v28, 3, v21
	ds_read_b64 v[16:17], v14 offset:8
	v_mov_b32_e32 v15, v11
	v_mov_b32_e32 v14, v10
.LBB174_28:
	s_or_b32 exec_lo, exec_lo, s6
	v_and_b32_e32 v23, 0x70, v19
	v_add_nc_u32_e32 v29, 1, v25
	v_cndmask_b32_e64 v10, v10, v12, s5
	v_add_nc_u32_e32 v12, 1, v28
	v_cndmask_b32_e64 v7, v5, v7, s4
	v_min_i32_e32 v27, v18, v23
	v_cndmask_b32_e64 v11, v11, v13, s5
	v_cndmask_b32_e64 v13, v1, v3, s3
	;; [unrolled: 1-line block ×4, first 2 shown]
	v_add_nc_u32_e32 v23, 8, v27
	v_cndmask_b32_e64 v4, v28, v12, s5
	v_and_b32_e32 v3, 12, v19
	s_waitcnt lgkmcnt(0)
	v_cmp_lt_i64_e64 s4, v[16:17], v[14:15]
	v_cmp_ge_i32_e64 s5, v1, v26
	v_min_i32_e32 v23, v18, v23
	v_cmp_lt_i32_e64 s6, v4, v24
	v_min_i32_e32 v1, v18, v3
	v_cndmask_b32_e64 v12, v0, v2, s3
	s_or_b32 s3, s5, s4
	v_add_nc_u32_e32 v5, 8, v23
	s_and_b32 s3, s6, s3
	v_sub_nc_u32_e32 v0, v23, v27
	v_cndmask_b32_e64 v15, v15, v17, s3
	v_cndmask_b32_e64 v14, v14, v16, s3
	v_min_i32_e32 v25, v18, v5
	s_mov_b32 s5, 0
	s_mov_b32 s4, exec_lo
	; wave barrier
	v_sub_nc_u32_e32 v3, v25, v23
	ds_write2_b64 v22, v[12:13], v[6:7] offset1:1
	ds_write2_b64 v22, v[10:11], v[14:15] offset0:2 offset1:3
	; wave barrier
	v_sub_nc_u32_e32 v2, v1, v3
	v_cmp_ge_i32_e64 s3, v1, v3
	v_cndmask_b32_e64 v4, 0, v2, s3
	v_min_i32_e32 v2, v1, v0
	v_lshl_add_u32 v0, v27, 3, v21
	v_cmpx_lt_i32_e64 v4, v2
	s_cbranch_execz .LBB174_32
; %bb.29:
	v_lshlrev_b32_e32 v3, 3, v23
	v_lshlrev_b32_e32 v5, 3, v1
	v_add3_u32 v3, v21, v3, v5
	.p2align	6
.LBB174_30:                             ; =>This Inner Loop Header: Depth=1
	v_sub_nc_u32_e32 v5, v2, v4
	v_lshrrev_b32_e32 v5, 1, v5
	v_add_nc_u32_e32 v7, v5, v4
	v_not_b32_e32 v5, v7
	v_lshl_add_u32 v6, v7, 3, v0
	v_lshl_add_u32 v10, v5, 3, v3
	ds_read_b64 v[5:6], v6
	ds_read_b64 v[10:11], v10
	s_waitcnt lgkmcnt(0)
	v_cmp_lt_i64_e64 s3, v[10:11], v[5:6]
	v_add_nc_u32_e32 v5, 1, v7
	v_cndmask_b32_e64 v2, v2, v7, s3
	v_cndmask_b32_e64 v4, v5, v4, s3
	v_cmp_ge_i32_e64 s3, v4, v2
	s_or_b32 s5, s3, s5
	s_andn2_b32 exec_lo, exec_lo, s5
	s_cbranch_execnz .LBB174_30
; %bb.31:
	s_or_b32 exec_lo, exec_lo, s5
.LBB174_32:
	s_or_b32 exec_lo, exec_lo, s4
	v_add_nc_u32_e32 v1, v23, v1
	v_lshl_add_u32 v6, v4, 3, v0
	v_add_nc_u32_e32 v11, v4, v27
	v_sub_nc_u32_e32 v10, v1, v4
                                        ; implicit-def: $vgpr4_vgpr5
	v_cmp_le_i32_e64 s4, v23, v11
	v_lshl_add_u32 v12, v10, 3, v21
	v_cmp_gt_i32_e64 s5, v25, v10
	ds_read_b64 v[0:1], v6
	ds_read_b64 v[2:3], v12
	s_waitcnt lgkmcnt(0)
	v_cmp_lt_i64_e64 s3, v[2:3], v[0:1]
	s_or_b32 s3, s4, s3
	s_and_b32 s3, s5, s3
	s_xor_b32 s4, s3, -1
	s_and_saveexec_b32 s5, s4
	s_xor_b32 s4, exec_lo, s5
; %bb.33:
	ds_read_b64 v[4:5], v6 offset:8
                                        ; implicit-def: $vgpr12
; %bb.34:
	s_or_saveexec_b32 s4, s4
	v_mov_b32_e32 v7, v3
	v_mov_b32_e32 v6, v2
	s_xor_b32 exec_lo, exec_lo, s4
	s_cbranch_execz .LBB174_36
; %bb.35:
	ds_read_b64 v[6:7], v12 offset:8
	s_waitcnt lgkmcnt(1)
	v_mov_b32_e32 v5, v1
	v_mov_b32_e32 v4, v0
.LBB174_36:
	s_or_b32 exec_lo, exec_lo, s4
	v_add_nc_u32_e32 v12, 1, v11
	v_add_nc_u32_e32 v13, 1, v10
	s_waitcnt lgkmcnt(0)
	v_cmp_lt_i64_e64 s4, v[6:7], v[4:5]
	v_cndmask_b32_e64 v15, v12, v11, s3
	v_cndmask_b32_e64 v14, v10, v13, s3
                                        ; implicit-def: $vgpr10_vgpr11
	v_cmp_ge_i32_e64 s5, v15, v23
	v_cmp_lt_i32_e64 s6, v14, v25
	s_or_b32 s4, s5, s4
	s_and_b32 s4, s6, s4
	s_xor_b32 s5, s4, -1
	s_and_saveexec_b32 s6, s5
	s_xor_b32 s5, exec_lo, s6
; %bb.37:
	v_lshl_add_u32 v10, v15, 3, v21
	ds_read_b64 v[10:11], v10 offset:8
; %bb.38:
	s_or_saveexec_b32 s5, s5
	v_mov_b32_e32 v13, v7
	v_mov_b32_e32 v12, v6
	s_xor_b32 exec_lo, exec_lo, s5
	s_cbranch_execz .LBB174_40
; %bb.39:
	s_waitcnt lgkmcnt(0)
	v_lshl_add_u32 v10, v14, 3, v21
	ds_read_b64 v[12:13], v10 offset:8
	v_mov_b32_e32 v11, v5
	v_mov_b32_e32 v10, v4
.LBB174_40:
	s_or_b32 exec_lo, exec_lo, s5
	v_add_nc_u32_e32 v16, 1, v15
	v_add_nc_u32_e32 v17, 1, v14
	s_waitcnt lgkmcnt(0)
	v_cmp_lt_i64_e64 s5, v[12:13], v[10:11]
	v_cndmask_b32_e64 v26, v16, v15, s4
	v_cndmask_b32_e64 v28, v14, v17, s4
                                        ; implicit-def: $vgpr14_vgpr15
	v_cmp_ge_i32_e64 s6, v26, v23
	v_cmp_lt_i32_e64 s7, v28, v25
	s_or_b32 s5, s6, s5
	s_and_b32 s5, s7, s5
	s_xor_b32 s6, s5, -1
	s_and_saveexec_b32 s7, s6
	s_xor_b32 s6, exec_lo, s7
; %bb.41:
	v_lshl_add_u32 v14, v26, 3, v21
	ds_read_b64 v[14:15], v14 offset:8
; %bb.42:
	s_or_saveexec_b32 s6, s6
	v_mov_b32_e32 v17, v13
	v_mov_b32_e32 v16, v12
	s_xor_b32 exec_lo, exec_lo, s6
	s_cbranch_execz .LBB174_44
; %bb.43:
	s_waitcnt lgkmcnt(0)
	v_lshl_add_u32 v14, v28, 3, v21
	ds_read_b64 v[16:17], v14 offset:8
	v_mov_b32_e32 v15, v11
	v_mov_b32_e32 v14, v10
.LBB174_44:
	s_or_b32 exec_lo, exec_lo, s6
	v_and_b32_e32 v24, 0x60, v19
	v_add_nc_u32_e32 v29, 1, v26
	v_cndmask_b32_e64 v10, v10, v12, s5
	v_add_nc_u32_e32 v12, 1, v28
	v_cndmask_b32_e64 v7, v5, v7, s4
	v_min_i32_e32 v27, v18, v24
	v_cndmask_b32_e64 v11, v11, v13, s5
	v_cndmask_b32_e64 v13, v1, v3, s3
	;; [unrolled: 1-line block ×4, first 2 shown]
	v_add_nc_u32_e32 v24, 16, v27
	v_cndmask_b32_e64 v4, v28, v12, s5
	v_and_b32_e32 v3, 28, v19
	s_waitcnt lgkmcnt(0)
	v_cmp_lt_i64_e64 s4, v[16:17], v[14:15]
	v_cmp_ge_i32_e64 s5, v1, v23
	v_min_i32_e32 v24, v18, v24
	v_cmp_lt_i32_e64 s6, v4, v25
	v_min_i32_e32 v1, v18, v3
	v_cndmask_b32_e64 v12, v0, v2, s3
	s_or_b32 s3, s5, s4
	v_add_nc_u32_e32 v5, 16, v24
	s_and_b32 s3, s6, s3
	v_sub_nc_u32_e32 v0, v24, v27
	v_cndmask_b32_e64 v15, v15, v17, s3
	v_cndmask_b32_e64 v14, v14, v16, s3
	v_min_i32_e32 v26, v18, v5
	s_mov_b32 s5, 0
	s_mov_b32 s4, exec_lo
	; wave barrier
	v_sub_nc_u32_e32 v3, v26, v24
	ds_write2_b64 v22, v[12:13], v[6:7] offset1:1
	ds_write2_b64 v22, v[10:11], v[14:15] offset0:2 offset1:3
	; wave barrier
	v_sub_nc_u32_e32 v2, v1, v3
	v_cmp_ge_i32_e64 s3, v1, v3
	v_cndmask_b32_e64 v4, 0, v2, s3
	v_min_i32_e32 v2, v1, v0
	v_lshl_add_u32 v0, v27, 3, v21
	v_cmpx_lt_i32_e64 v4, v2
	s_cbranch_execz .LBB174_48
; %bb.45:
	v_lshlrev_b32_e32 v3, 3, v24
	v_lshlrev_b32_e32 v5, 3, v1
	v_add3_u32 v3, v21, v3, v5
	.p2align	6
.LBB174_46:                             ; =>This Inner Loop Header: Depth=1
	v_sub_nc_u32_e32 v5, v2, v4
	v_lshrrev_b32_e32 v5, 1, v5
	v_add_nc_u32_e32 v7, v5, v4
	v_not_b32_e32 v5, v7
	v_lshl_add_u32 v6, v7, 3, v0
	v_lshl_add_u32 v10, v5, 3, v3
	ds_read_b64 v[5:6], v6
	ds_read_b64 v[10:11], v10
	s_waitcnt lgkmcnt(0)
	v_cmp_lt_i64_e64 s3, v[10:11], v[5:6]
	v_add_nc_u32_e32 v5, 1, v7
	v_cndmask_b32_e64 v2, v2, v7, s3
	v_cndmask_b32_e64 v4, v5, v4, s3
	v_cmp_ge_i32_e64 s3, v4, v2
	s_or_b32 s5, s3, s5
	s_andn2_b32 exec_lo, exec_lo, s5
	s_cbranch_execnz .LBB174_46
; %bb.47:
	s_or_b32 exec_lo, exec_lo, s5
.LBB174_48:
	s_or_b32 exec_lo, exec_lo, s4
	v_add_nc_u32_e32 v1, v24, v1
	v_lshl_add_u32 v6, v4, 3, v0
	v_add_nc_u32_e32 v11, v4, v27
	v_sub_nc_u32_e32 v10, v1, v4
                                        ; implicit-def: $vgpr4_vgpr5
	v_cmp_le_i32_e64 s4, v24, v11
	v_lshl_add_u32 v12, v10, 3, v21
	v_cmp_gt_i32_e64 s5, v26, v10
	ds_read_b64 v[0:1], v6
	ds_read_b64 v[2:3], v12
	s_waitcnt lgkmcnt(0)
	v_cmp_lt_i64_e64 s3, v[2:3], v[0:1]
	s_or_b32 s3, s4, s3
	s_and_b32 s3, s5, s3
	s_xor_b32 s4, s3, -1
	s_and_saveexec_b32 s5, s4
	s_xor_b32 s4, exec_lo, s5
; %bb.49:
	ds_read_b64 v[4:5], v6 offset:8
                                        ; implicit-def: $vgpr12
; %bb.50:
	s_or_saveexec_b32 s4, s4
	v_mov_b32_e32 v7, v3
	v_mov_b32_e32 v6, v2
	s_xor_b32 exec_lo, exec_lo, s4
	s_cbranch_execz .LBB174_52
; %bb.51:
	ds_read_b64 v[6:7], v12 offset:8
	s_waitcnt lgkmcnt(1)
	v_mov_b32_e32 v5, v1
	v_mov_b32_e32 v4, v0
.LBB174_52:
	s_or_b32 exec_lo, exec_lo, s4
	v_add_nc_u32_e32 v12, 1, v11
	v_add_nc_u32_e32 v13, 1, v10
	s_waitcnt lgkmcnt(0)
	v_cmp_lt_i64_e64 s4, v[6:7], v[4:5]
	v_cndmask_b32_e64 v15, v12, v11, s3
	v_cndmask_b32_e64 v14, v10, v13, s3
                                        ; implicit-def: $vgpr10_vgpr11
	v_cmp_ge_i32_e64 s5, v15, v24
	v_cmp_lt_i32_e64 s6, v14, v26
	s_or_b32 s4, s5, s4
	s_and_b32 s4, s6, s4
	s_xor_b32 s5, s4, -1
	s_and_saveexec_b32 s6, s5
	s_xor_b32 s5, exec_lo, s6
; %bb.53:
	v_lshl_add_u32 v10, v15, 3, v21
	ds_read_b64 v[10:11], v10 offset:8
; %bb.54:
	s_or_saveexec_b32 s5, s5
	v_mov_b32_e32 v13, v7
	v_mov_b32_e32 v12, v6
	s_xor_b32 exec_lo, exec_lo, s5
	s_cbranch_execz .LBB174_56
; %bb.55:
	s_waitcnt lgkmcnt(0)
	v_lshl_add_u32 v10, v14, 3, v21
	ds_read_b64 v[12:13], v10 offset:8
	v_mov_b32_e32 v11, v5
	v_mov_b32_e32 v10, v4
.LBB174_56:
	s_or_b32 exec_lo, exec_lo, s5
	v_add_nc_u32_e32 v16, 1, v15
	v_add_nc_u32_e32 v17, 1, v14
	s_waitcnt lgkmcnt(0)
	v_cmp_lt_i64_e64 s5, v[12:13], v[10:11]
	v_cndmask_b32_e64 v27, v16, v15, s4
	v_cndmask_b32_e64 v28, v14, v17, s4
                                        ; implicit-def: $vgpr14_vgpr15
	v_cmp_ge_i32_e64 s6, v27, v24
	v_cmp_lt_i32_e64 s7, v28, v26
	s_or_b32 s5, s6, s5
	s_and_b32 s5, s7, s5
	s_xor_b32 s6, s5, -1
	s_and_saveexec_b32 s7, s6
	s_xor_b32 s6, exec_lo, s7
; %bb.57:
	v_lshl_add_u32 v14, v27, 3, v21
	ds_read_b64 v[14:15], v14 offset:8
; %bb.58:
	s_or_saveexec_b32 s6, s6
	v_mov_b32_e32 v17, v13
	v_mov_b32_e32 v16, v12
	s_xor_b32 exec_lo, exec_lo, s6
	s_cbranch_execz .LBB174_60
; %bb.59:
	s_waitcnt lgkmcnt(0)
	v_lshl_add_u32 v14, v28, 3, v21
	ds_read_b64 v[16:17], v14 offset:8
	v_mov_b32_e32 v15, v11
	v_mov_b32_e32 v14, v10
.LBB174_60:
	s_or_b32 exec_lo, exec_lo, s6
	v_and_b32_e32 v23, 64, v19
	v_add_nc_u32_e32 v29, 1, v27
	v_cndmask_b32_e64 v10, v10, v12, s5
	v_add_nc_u32_e32 v12, 1, v28
	v_cndmask_b32_e64 v7, v5, v7, s4
	v_min_i32_e32 v23, v18, v23
	v_cndmask_b32_e64 v11, v11, v13, s5
	v_cndmask_b32_e64 v13, v1, v3, s3
	v_cndmask_b32_e64 v1, v29, v27, s5
	v_cndmask_b32_e64 v6, v4, v6, s4
	v_add_nc_u32_e32 v25, 32, v23
	v_cndmask_b32_e64 v4, v28, v12, s5
	v_and_b32_e32 v3, 60, v19
	s_waitcnt lgkmcnt(0)
	v_cmp_lt_i64_e64 s4, v[16:17], v[14:15]
	v_cmp_ge_i32_e64 s5, v1, v24
	v_min_i32_e32 v25, v18, v25
	v_cmp_lt_i32_e64 s6, v4, v26
	v_min_i32_e32 v1, v18, v3
	v_cndmask_b32_e64 v12, v0, v2, s3
	s_or_b32 s3, s5, s4
	v_add_nc_u32_e32 v5, 32, v25
	s_and_b32 s3, s6, s3
	v_sub_nc_u32_e32 v0, v25, v23
	v_cndmask_b32_e64 v15, v15, v17, s3
	v_cndmask_b32_e64 v14, v14, v16, s3
	v_min_i32_e32 v27, v18, v5
	s_mov_b32 s5, 0
	s_mov_b32 s4, exec_lo
	; wave barrier
	v_sub_nc_u32_e32 v3, v27, v25
	ds_write2_b64 v22, v[12:13], v[6:7] offset1:1
	ds_write2_b64 v22, v[10:11], v[14:15] offset0:2 offset1:3
	; wave barrier
	v_sub_nc_u32_e32 v2, v1, v3
	v_cmp_ge_i32_e64 s3, v1, v3
	v_cndmask_b32_e64 v4, 0, v2, s3
	v_min_i32_e32 v2, v1, v0
	v_lshl_add_u32 v0, v23, 3, v21
	v_cmpx_lt_i32_e64 v4, v2
	s_cbranch_execz .LBB174_64
; %bb.61:
	v_lshlrev_b32_e32 v3, 3, v25
	v_lshlrev_b32_e32 v5, 3, v1
	v_add3_u32 v3, v21, v3, v5
	.p2align	6
.LBB174_62:                             ; =>This Inner Loop Header: Depth=1
	v_sub_nc_u32_e32 v5, v2, v4
	v_lshrrev_b32_e32 v5, 1, v5
	v_add_nc_u32_e32 v7, v5, v4
	v_not_b32_e32 v5, v7
	v_lshl_add_u32 v6, v7, 3, v0
	v_lshl_add_u32 v10, v5, 3, v3
	ds_read_b64 v[5:6], v6
	ds_read_b64 v[10:11], v10
	s_waitcnt lgkmcnt(0)
	v_cmp_lt_i64_e64 s3, v[10:11], v[5:6]
	v_add_nc_u32_e32 v5, 1, v7
	v_cndmask_b32_e64 v2, v2, v7, s3
	v_cndmask_b32_e64 v4, v5, v4, s3
	v_cmp_ge_i32_e64 s3, v4, v2
	s_or_b32 s5, s3, s5
	s_andn2_b32 exec_lo, exec_lo, s5
	s_cbranch_execnz .LBB174_62
; %bb.63:
	s_or_b32 exec_lo, exec_lo, s5
.LBB174_64:
	s_or_b32 exec_lo, exec_lo, s4
	v_add_nc_u32_e32 v1, v25, v1
	v_lshl_add_u32 v6, v4, 3, v0
	v_add_nc_u32_e32 v11, v4, v23
	v_sub_nc_u32_e32 v10, v1, v4
                                        ; implicit-def: $vgpr4_vgpr5
	v_cmp_le_i32_e64 s4, v25, v11
	v_lshl_add_u32 v12, v10, 3, v21
	v_cmp_gt_i32_e64 s5, v27, v10
	ds_read_b64 v[0:1], v6
	ds_read_b64 v[2:3], v12
	s_waitcnt lgkmcnt(0)
	v_cmp_lt_i64_e64 s3, v[2:3], v[0:1]
	s_or_b32 s3, s4, s3
	s_and_b32 s3, s5, s3
	s_xor_b32 s4, s3, -1
	s_and_saveexec_b32 s5, s4
	s_xor_b32 s4, exec_lo, s5
; %bb.65:
	ds_read_b64 v[4:5], v6 offset:8
                                        ; implicit-def: $vgpr12
; %bb.66:
	s_or_saveexec_b32 s4, s4
	v_mov_b32_e32 v7, v3
	v_mov_b32_e32 v6, v2
	s_xor_b32 exec_lo, exec_lo, s4
	s_cbranch_execz .LBB174_68
; %bb.67:
	ds_read_b64 v[6:7], v12 offset:8
	s_waitcnt lgkmcnt(1)
	v_mov_b32_e32 v5, v1
	v_mov_b32_e32 v4, v0
.LBB174_68:
	s_or_b32 exec_lo, exec_lo, s4
	v_add_nc_u32_e32 v12, 1, v11
	v_add_nc_u32_e32 v13, 1, v10
	s_waitcnt lgkmcnt(0)
	v_cmp_lt_i64_e64 s4, v[6:7], v[4:5]
	v_cndmask_b32_e64 v15, v12, v11, s3
	v_cndmask_b32_e64 v14, v10, v13, s3
                                        ; implicit-def: $vgpr10_vgpr11
	v_cmp_ge_i32_e64 s5, v15, v25
	v_cmp_lt_i32_e64 s6, v14, v27
	s_or_b32 s4, s5, s4
	s_and_b32 s4, s6, s4
	s_xor_b32 s5, s4, -1
	s_and_saveexec_b32 s6, s5
	s_xor_b32 s5, exec_lo, s6
; %bb.69:
	v_lshl_add_u32 v10, v15, 3, v21
	ds_read_b64 v[10:11], v10 offset:8
; %bb.70:
	s_or_saveexec_b32 s5, s5
	v_mov_b32_e32 v13, v7
	v_mov_b32_e32 v12, v6
	s_xor_b32 exec_lo, exec_lo, s5
	s_cbranch_execz .LBB174_72
; %bb.71:
	s_waitcnt lgkmcnt(0)
	v_lshl_add_u32 v10, v14, 3, v21
	ds_read_b64 v[12:13], v10 offset:8
	v_mov_b32_e32 v11, v5
	v_mov_b32_e32 v10, v4
.LBB174_72:
	s_or_b32 exec_lo, exec_lo, s5
	v_add_nc_u32_e32 v16, 1, v15
	v_add_nc_u32_e32 v17, 1, v14
	s_waitcnt lgkmcnt(0)
	v_cmp_lt_i64_e64 s5, v[12:13], v[10:11]
	v_cndmask_b32_e64 v24, v16, v15, s4
	v_cndmask_b32_e64 v28, v14, v17, s4
                                        ; implicit-def: $vgpr14_vgpr15
	v_cmp_ge_i32_e64 s6, v24, v25
	v_cmp_lt_i32_e64 s7, v28, v27
	s_or_b32 s5, s6, s5
	s_and_b32 s5, s7, s5
	s_xor_b32 s6, s5, -1
	s_and_saveexec_b32 s7, s6
	s_xor_b32 s6, exec_lo, s7
; %bb.73:
	v_lshl_add_u32 v14, v24, 3, v21
	ds_read_b64 v[14:15], v14 offset:8
; %bb.74:
	s_or_saveexec_b32 s6, s6
	v_mov_b32_e32 v17, v13
	v_mov_b32_e32 v16, v12
	s_xor_b32 exec_lo, exec_lo, s6
	s_cbranch_execz .LBB174_76
; %bb.75:
	s_waitcnt lgkmcnt(0)
	v_lshl_add_u32 v14, v28, 3, v21
	ds_read_b64 v[16:17], v14 offset:8
	v_mov_b32_e32 v15, v11
	v_mov_b32_e32 v14, v10
.LBB174_76:
	s_or_b32 exec_lo, exec_lo, s6
	v_min_i32_e32 v26, 0, v18
	v_cndmask_b32_e64 v10, v10, v12, s5
	v_add_nc_u32_e32 v12, 1, v24
	v_add_nc_u32_e32 v29, 1, v28
	v_cndmask_b32_e64 v6, v4, v6, s4
	v_add_nc_u32_e32 v23, 64, v26
	v_cndmask_b32_e64 v11, v11, v13, s5
	v_cndmask_b32_e64 v4, v12, v24, s5
	;; [unrolled: 1-line block ×4, first 2 shown]
	v_min_i32_e32 v23, v18, v23
	v_cndmask_b32_e64 v7, v5, v7, s4
	s_waitcnt lgkmcnt(0)
	v_cmp_lt_i64_e64 s4, v[16:17], v[14:15]
	v_cmp_ge_i32_e64 s5, v4, v25
	v_cmp_lt_i32_e64 s6, v3, v27
	v_add_nc_u32_e32 v30, 64, v23
	v_min_i32_e32 v1, v18, v19
	v_cndmask_b32_e64 v12, v0, v2, s3
	s_or_b32 s3, s5, s4
	v_sub_nc_u32_e32 v0, v23, v26
	v_min_i32_e32 v24, v18, v30
	s_and_b32 s3, s6, s3
	s_mov_b32 s5, 0
	v_cndmask_b32_e64 v15, v15, v17, s3
	v_cndmask_b32_e64 v14, v14, v16, s3
	v_sub_nc_u32_e32 v4, v24, v23
	s_mov_b32 s4, exec_lo
	; wave barrier
	ds_write2_b64 v22, v[12:13], v[6:7] offset1:1
	v_sub_nc_u32_e32 v2, v1, v4
	v_cmp_ge_i32_e64 s3, v1, v4
	ds_write2_b64 v22, v[10:11], v[14:15] offset0:2 offset1:3
	; wave barrier
	v_cndmask_b32_e64 v4, 0, v2, s3
	v_min_i32_e32 v2, v1, v0
	v_lshl_add_u32 v0, v26, 3, v21
	v_cmpx_lt_i32_e64 v4, v2
	s_cbranch_execz .LBB174_80
; %bb.77:
	v_lshlrev_b32_e32 v3, 3, v23
	v_lshlrev_b32_e32 v5, 3, v1
	v_add3_u32 v3, v21, v3, v5
	.p2align	6
.LBB174_78:                             ; =>This Inner Loop Header: Depth=1
	v_sub_nc_u32_e32 v5, v2, v4
	v_lshrrev_b32_e32 v5, 1, v5
	v_add_nc_u32_e32 v7, v5, v4
	v_not_b32_e32 v5, v7
	v_lshl_add_u32 v6, v7, 3, v0
	v_lshl_add_u32 v10, v5, 3, v3
	ds_read_b64 v[5:6], v6
	ds_read_b64 v[10:11], v10
	s_waitcnt lgkmcnt(0)
	v_cmp_lt_i64_e64 s3, v[10:11], v[5:6]
	v_add_nc_u32_e32 v5, 1, v7
	v_cndmask_b32_e64 v2, v2, v7, s3
	v_cndmask_b32_e64 v4, v5, v4, s3
	v_cmp_ge_i32_e64 s3, v4, v2
	s_or_b32 s5, s3, s5
	s_andn2_b32 exec_lo, exec_lo, s5
	s_cbranch_execnz .LBB174_78
; %bb.79:
	s_or_b32 exec_lo, exec_lo, s5
.LBB174_80:
	s_or_b32 exec_lo, exec_lo, s4
	v_add_nc_u32_e32 v1, v23, v1
	v_lshl_add_u32 v6, v4, 3, v0
	v_add_nc_u32_e32 v11, v4, v26
	v_sub_nc_u32_e32 v10, v1, v4
                                        ; implicit-def: $vgpr4_vgpr5
	v_cmp_le_i32_e64 s4, v23, v11
	v_lshl_add_u32 v12, v10, 3, v21
	v_cmp_gt_i32_e64 s5, v24, v10
	ds_read_b64 v[0:1], v6
	ds_read_b64 v[2:3], v12
	s_waitcnt lgkmcnt(0)
	v_cmp_lt_i64_e64 s3, v[2:3], v[0:1]
	s_or_b32 s3, s4, s3
	s_and_b32 s3, s5, s3
	s_xor_b32 s4, s3, -1
	s_and_saveexec_b32 s5, s4
	s_xor_b32 s4, exec_lo, s5
; %bb.81:
	ds_read_b64 v[4:5], v6 offset:8
                                        ; implicit-def: $vgpr12
; %bb.82:
	s_or_saveexec_b32 s4, s4
	v_mov_b32_e32 v7, v3
	v_mov_b32_e32 v6, v2
	s_xor_b32 exec_lo, exec_lo, s4
	s_cbranch_execz .LBB174_84
; %bb.83:
	ds_read_b64 v[6:7], v12 offset:8
	s_waitcnt lgkmcnt(1)
	v_mov_b32_e32 v5, v1
	v_mov_b32_e32 v4, v0
.LBB174_84:
	s_or_b32 exec_lo, exec_lo, s4
	v_add_nc_u32_e32 v12, 1, v11
	v_add_nc_u32_e32 v13, 1, v10
	s_waitcnt lgkmcnt(0)
	v_cmp_lt_i64_e64 s4, v[6:7], v[4:5]
	v_cndmask_b32_e64 v15, v12, v11, s3
	v_cndmask_b32_e64 v14, v10, v13, s3
                                        ; implicit-def: $vgpr10_vgpr11
	v_cmp_ge_i32_e64 s5, v15, v23
	v_cmp_lt_i32_e64 s6, v14, v24
	s_or_b32 s4, s5, s4
	s_and_b32 s4, s6, s4
	s_xor_b32 s5, s4, -1
	s_and_saveexec_b32 s6, s5
	s_xor_b32 s5, exec_lo, s6
; %bb.85:
	v_lshl_add_u32 v10, v15, 3, v21
	ds_read_b64 v[10:11], v10 offset:8
; %bb.86:
	s_or_saveexec_b32 s5, s5
	v_mov_b32_e32 v13, v7
	v_mov_b32_e32 v12, v6
	s_xor_b32 exec_lo, exec_lo, s5
	s_cbranch_execz .LBB174_88
; %bb.87:
	s_waitcnt lgkmcnt(0)
	v_lshl_add_u32 v10, v14, 3, v21
	ds_read_b64 v[12:13], v10 offset:8
	v_mov_b32_e32 v11, v5
	v_mov_b32_e32 v10, v4
.LBB174_88:
	s_or_b32 exec_lo, exec_lo, s5
	v_add_nc_u32_e32 v16, 1, v15
	v_add_nc_u32_e32 v17, 1, v14
	s_waitcnt lgkmcnt(0)
	v_cmp_lt_i64_e64 s5, v[12:13], v[10:11]
                                        ; implicit-def: $vgpr19
	v_cndmask_b32_e64 v22, v16, v15, s4
	v_cndmask_b32_e64 v18, v14, v17, s4
                                        ; implicit-def: $vgpr14_vgpr15
	v_cmp_ge_i32_e64 s6, v22, v23
	v_cmp_lt_i32_e64 s7, v18, v24
	s_or_b32 s5, s6, s5
	s_and_b32 s5, s7, s5
	s_xor_b32 s6, s5, -1
	s_and_saveexec_b32 s7, s6
	s_xor_b32 s6, exec_lo, s7
; %bb.89:
	v_lshl_add_u32 v14, v22, 3, v21
	v_add_nc_u32_e32 v19, 1, v22
                                        ; implicit-def: $vgpr21
                                        ; implicit-def: $vgpr22
	ds_read_b64 v[14:15], v14 offset:8
; %bb.90:
	s_or_saveexec_b32 s6, s6
	v_mov_b32_e32 v17, v13
	v_mov_b32_e32 v16, v12
	s_xor_b32 exec_lo, exec_lo, s6
	s_cbranch_execz .LBB174_92
; %bb.91:
	s_waitcnt lgkmcnt(0)
	v_lshl_add_u32 v14, v18, 3, v21
	v_add_nc_u32_e32 v18, 1, v18
	v_mov_b32_e32 v19, v22
	ds_read_b64 v[16:17], v14 offset:8
	v_mov_b32_e32 v15, v11
	v_mov_b32_e32 v14, v10
.LBB174_92:
	s_or_b32 exec_lo, exec_lo, s6
	v_add_co_u32 v8, s6, s10, v8
	v_add_co_ci_u32_e64 v9, null, s11, v9, s6
	v_add_co_u32 v8, s6, v8, v20
	v_add_co_ci_u32_e64 v9, null, 0, v9, s6
	s_and_saveexec_b32 s6, vcc_lo
	s_cbranch_execnz .LBB174_97
; %bb.93:
	s_or_b32 exec_lo, exec_lo, s6
	s_and_saveexec_b32 s3, s0
	s_cbranch_execnz .LBB174_98
.LBB174_94:
	s_or_b32 exec_lo, exec_lo, s3
	s_and_saveexec_b32 s0, s1
	s_cbranch_execnz .LBB174_99
.LBB174_95:
	s_or_b32 exec_lo, exec_lo, s0
	s_and_saveexec_b32 s0, s2
	s_cbranch_execnz .LBB174_100
.LBB174_96:
	s_endpgm
.LBB174_97:
	v_cndmask_b32_e64 v1, v1, v3, s3
	v_cndmask_b32_e64 v0, v0, v2, s3
	global_store_dwordx2 v[8:9], v[0:1], off
	s_or_b32 exec_lo, exec_lo, s6
	s_and_saveexec_b32 s3, s0
	s_cbranch_execz .LBB174_94
.LBB174_98:
	v_cndmask_b32_e64 v1, v5, v7, s4
	v_cndmask_b32_e64 v0, v4, v6, s4
	global_store_dwordx2 v[8:9], v[0:1], off offset:8
	s_or_b32 exec_lo, exec_lo, s3
	s_and_saveexec_b32 s0, s1
	s_cbranch_execz .LBB174_95
.LBB174_99:
	v_cndmask_b32_e64 v1, v11, v13, s5
	v_cndmask_b32_e64 v0, v10, v12, s5
	global_store_dwordx2 v[8:9], v[0:1], off offset:16
	s_or_b32 exec_lo, exec_lo, s0
	s_and_saveexec_b32 s0, s2
	s_cbranch_execz .LBB174_96
.LBB174_100:
	s_waitcnt lgkmcnt(0)
	v_cmp_lt_i64_e32 vcc_lo, v[16:17], v[14:15]
	v_cmp_ge_i32_e64 s0, v19, v23
	v_cmp_lt_i32_e64 s1, v18, v24
	s_or_b32 s0, s0, vcc_lo
	s_and_b32 vcc_lo, s1, s0
	v_cndmask_b32_e32 v1, v15, v17, vcc_lo
	v_cndmask_b32_e32 v0, v14, v16, vcc_lo
	global_store_dwordx2 v[8:9], v[0:1], off offset:24
	s_endpgm
	.section	.rodata,"a",@progbits
	.p2align	6, 0x0
	.amdhsa_kernel _Z19sort_keys_segmentedILj256ELj32ELj4ExN10test_utils4lessEEvPKT2_PS2_PKjT3_
		.amdhsa_group_segment_fixed_size 8256
		.amdhsa_private_segment_fixed_size 0
		.amdhsa_kernarg_size 28
		.amdhsa_user_sgpr_count 6
		.amdhsa_user_sgpr_private_segment_buffer 1
		.amdhsa_user_sgpr_dispatch_ptr 0
		.amdhsa_user_sgpr_queue_ptr 0
		.amdhsa_user_sgpr_kernarg_segment_ptr 1
		.amdhsa_user_sgpr_dispatch_id 0
		.amdhsa_user_sgpr_flat_scratch_init 0
		.amdhsa_user_sgpr_private_segment_size 0
		.amdhsa_wavefront_size32 1
		.amdhsa_uses_dynamic_stack 0
		.amdhsa_system_sgpr_private_segment_wavefront_offset 0
		.amdhsa_system_sgpr_workgroup_id_x 1
		.amdhsa_system_sgpr_workgroup_id_y 0
		.amdhsa_system_sgpr_workgroup_id_z 0
		.amdhsa_system_sgpr_workgroup_info 0
		.amdhsa_system_vgpr_workitem_id 0
		.amdhsa_next_free_vgpr 31
		.amdhsa_next_free_sgpr 12
		.amdhsa_reserve_vcc 1
		.amdhsa_reserve_flat_scratch 0
		.amdhsa_float_round_mode_32 0
		.amdhsa_float_round_mode_16_64 0
		.amdhsa_float_denorm_mode_32 3
		.amdhsa_float_denorm_mode_16_64 3
		.amdhsa_dx10_clamp 1
		.amdhsa_ieee_mode 1
		.amdhsa_fp16_overflow 0
		.amdhsa_workgroup_processor_mode 1
		.amdhsa_memory_ordered 1
		.amdhsa_forward_progress 1
		.amdhsa_shared_vgpr_count 0
		.amdhsa_exception_fp_ieee_invalid_op 0
		.amdhsa_exception_fp_denorm_src 0
		.amdhsa_exception_fp_ieee_div_zero 0
		.amdhsa_exception_fp_ieee_overflow 0
		.amdhsa_exception_fp_ieee_underflow 0
		.amdhsa_exception_fp_ieee_inexact 0
		.amdhsa_exception_int_div_zero 0
	.end_amdhsa_kernel
	.section	.text._Z19sort_keys_segmentedILj256ELj32ELj4ExN10test_utils4lessEEvPKT2_PS2_PKjT3_,"axG",@progbits,_Z19sort_keys_segmentedILj256ELj32ELj4ExN10test_utils4lessEEvPKT2_PS2_PKjT3_,comdat
.Lfunc_end174:
	.size	_Z19sort_keys_segmentedILj256ELj32ELj4ExN10test_utils4lessEEvPKT2_PS2_PKjT3_, .Lfunc_end174-_Z19sort_keys_segmentedILj256ELj32ELj4ExN10test_utils4lessEEvPKT2_PS2_PKjT3_
                                        ; -- End function
	.set _Z19sort_keys_segmentedILj256ELj32ELj4ExN10test_utils4lessEEvPKT2_PS2_PKjT3_.num_vgpr, 31
	.set _Z19sort_keys_segmentedILj256ELj32ELj4ExN10test_utils4lessEEvPKT2_PS2_PKjT3_.num_agpr, 0
	.set _Z19sort_keys_segmentedILj256ELj32ELj4ExN10test_utils4lessEEvPKT2_PS2_PKjT3_.numbered_sgpr, 12
	.set _Z19sort_keys_segmentedILj256ELj32ELj4ExN10test_utils4lessEEvPKT2_PS2_PKjT3_.num_named_barrier, 0
	.set _Z19sort_keys_segmentedILj256ELj32ELj4ExN10test_utils4lessEEvPKT2_PS2_PKjT3_.private_seg_size, 0
	.set _Z19sort_keys_segmentedILj256ELj32ELj4ExN10test_utils4lessEEvPKT2_PS2_PKjT3_.uses_vcc, 1
	.set _Z19sort_keys_segmentedILj256ELj32ELj4ExN10test_utils4lessEEvPKT2_PS2_PKjT3_.uses_flat_scratch, 0
	.set _Z19sort_keys_segmentedILj256ELj32ELj4ExN10test_utils4lessEEvPKT2_PS2_PKjT3_.has_dyn_sized_stack, 0
	.set _Z19sort_keys_segmentedILj256ELj32ELj4ExN10test_utils4lessEEvPKT2_PS2_PKjT3_.has_recursion, 0
	.set _Z19sort_keys_segmentedILj256ELj32ELj4ExN10test_utils4lessEEvPKT2_PS2_PKjT3_.has_indirect_call, 0
	.section	.AMDGPU.csdata,"",@progbits
; Kernel info:
; codeLenInByte = 5136
; TotalNumSgprs: 14
; NumVgprs: 31
; ScratchSize: 0
; MemoryBound: 1
; FloatMode: 240
; IeeeMode: 1
; LDSByteSize: 8256 bytes/workgroup (compile time only)
; SGPRBlocks: 0
; VGPRBlocks: 3
; NumSGPRsForWavesPerEU: 14
; NumVGPRsForWavesPerEU: 31
; Occupancy: 16
; WaveLimiterHint : 0
; COMPUTE_PGM_RSRC2:SCRATCH_EN: 0
; COMPUTE_PGM_RSRC2:USER_SGPR: 6
; COMPUTE_PGM_RSRC2:TRAP_HANDLER: 0
; COMPUTE_PGM_RSRC2:TGID_X_EN: 1
; COMPUTE_PGM_RSRC2:TGID_Y_EN: 0
; COMPUTE_PGM_RSRC2:TGID_Z_EN: 0
; COMPUTE_PGM_RSRC2:TIDIG_COMP_CNT: 0
	.section	.text._Z20sort_pairs_segmentedILj256ELj32ELj4ExN10test_utils4lessEEvPKT2_PS2_PKjT3_,"axG",@progbits,_Z20sort_pairs_segmentedILj256ELj32ELj4ExN10test_utils4lessEEvPKT2_PS2_PKjT3_,comdat
	.protected	_Z20sort_pairs_segmentedILj256ELj32ELj4ExN10test_utils4lessEEvPKT2_PS2_PKjT3_ ; -- Begin function _Z20sort_pairs_segmentedILj256ELj32ELj4ExN10test_utils4lessEEvPKT2_PS2_PKjT3_
	.globl	_Z20sort_pairs_segmentedILj256ELj32ELj4ExN10test_utils4lessEEvPKT2_PS2_PKjT3_
	.p2align	8
	.type	_Z20sort_pairs_segmentedILj256ELj32ELj4ExN10test_utils4lessEEvPKT2_PS2_PKjT3_,@function
_Z20sort_pairs_segmentedILj256ELj32ELj4ExN10test_utils4lessEEvPKT2_PS2_PKjT3_: ; @_Z20sort_pairs_segmentedILj256ELj32ELj4ExN10test_utils4lessEEvPKT2_PS2_PKjT3_
; %bb.0:
	s_clause 0x1
	s_load_dwordx2 s[0:1], s[4:5], 0x10
	s_load_dwordx4 s[8:11], s[4:5], 0x0
	v_lshrrev_b32_e32 v35, 5, v0
	v_mov_b32_e32 v1, 0
	v_lshl_or_b32 v0, s6, 3, v35
	v_mov_b32_e32 v4, v1
	v_mov_b32_e32 v5, v1
	;; [unrolled: 1-line block ×3, first 2 shown]
	v_lshlrev_b64 v[2:3], 2, v[0:1]
	v_lshlrev_b32_e32 v0, 7, v0
	v_lshlrev_b64 v[18:19], 3, v[0:1]
	v_mov_b32_e32 v0, v1
	s_waitcnt lgkmcnt(0)
	v_add_co_u32 v2, vcc_lo, s0, v2
	v_add_co_ci_u32_e64 v3, null, s1, v3, vcc_lo
	v_add_co_u32 v8, vcc_lo, s8, v18
	v_add_co_ci_u32_e64 v9, null, s9, v19, vcc_lo
	global_load_dword v32, v[2:3], off
	v_mbcnt_lo_u32_b32 v2, -1, 0
	v_mov_b32_e32 v3, v1
	v_lshlrev_b32_e32 v7, 5, v2
	v_lshlrev_b32_e32 v33, 2, v2
	v_mov_b32_e32 v2, v1
	v_add_co_u32 v8, vcc_lo, v8, v7
	v_add_co_ci_u32_e64 v9, null, 0, v9, vcc_lo
	v_mov_b32_e32 v7, v1
	s_waitcnt vmcnt(0)
	v_cmp_lt_u32_e32 vcc_lo, v33, v32
	s_and_saveexec_b32 s0, vcc_lo
	s_cbranch_execz .LBB175_2
; %bb.1:
	global_load_dwordx2 v[10:11], v[8:9], off
	v_mov_b32_e32 v12, v1
	v_mov_b32_e32 v13, v1
	;; [unrolled: 1-line block ×6, first 2 shown]
	s_waitcnt vmcnt(0)
	v_mov_b32_e32 v0, v10
	v_mov_b32_e32 v1, v11
	;; [unrolled: 1-line block ×8, first 2 shown]
.LBB175_2:
	s_or_b32 exec_lo, exec_lo, s0
	v_or_b32_e32 v12, 1, v33
	v_cmp_lt_u32_e64 s0, v12, v32
	s_and_saveexec_b32 s1, s0
	s_cbranch_execz .LBB175_4
; %bb.3:
	global_load_dwordx2 v[2:3], v[8:9], off offset:8
.LBB175_4:
	s_or_b32 exec_lo, exec_lo, s1
	v_or_b32_e32 v10, 2, v33
	v_cmp_lt_u32_e64 s1, v10, v32
	s_and_saveexec_b32 s2, s1
	s_cbranch_execz .LBB175_6
; %bb.5:
	global_load_dwordx2 v[4:5], v[8:9], off offset:16
.LBB175_6:
	;; [unrolled: 8-line block ×3, first 2 shown]
	s_or_b32 exec_lo, exec_lo, s3
	v_add_co_u32 v20, s3, v0, 1
	v_add_co_ci_u32_e64 v21, null, 0, v1, s3
	s_waitcnt vmcnt(0)
	v_add_co_u32 v22, s3, v2, 1
	v_add_co_ci_u32_e64 v23, null, 0, v3, s3
	v_add_co_u32 v24, s3, v4, 1
	v_add_co_ci_u32_e64 v25, null, 0, v5, s3
	v_cmp_lt_i32_e64 s3, v10, v32
	v_cmp_lt_i32_e64 s4, v11, v32
	v_add_co_u32 v10, s5, v6, 1
	v_add_co_ci_u32_e64 v11, null, 0, v7, s5
	v_cmp_lt_i32_e64 s5, v12, v32
	s_or_b32 s3, s4, s3
	v_cndmask_b32_e64 v9, 0x7fffffff, v7, s4
	v_cndmask_b32_e64 v27, 0x7fffffff, v5, s3
	v_cndmask_b32_e64 v26, -1, v4, s3
	s_or_b32 s3, s3, s5
	v_cndmask_b32_e64 v8, -1, v6, s4
	v_cndmask_b32_e64 v3, 0x7fffffff, v3, s3
	v_cndmask_b32_e64 v2, -1, v2, s3
	s_mov_b32 s6, exec_lo
	v_cmpx_lt_i32_e64 v33, v32
	s_cbranch_execz .LBB175_18
; %bb.9:
	v_cmp_lt_i64_e64 s3, v[2:3], v[0:1]
	v_mov_b32_e32 v29, v11
	v_mov_b32_e32 v6, v26
	;; [unrolled: 1-line block ×4, first 2 shown]
	s_mov_b32 s5, exec_lo
	v_cndmask_b32_e64 v5, v3, v1, s3
	v_cndmask_b32_e64 v4, v2, v0, s3
	;; [unrolled: 1-line block ×4, first 2 shown]
	v_cmpx_lt_i64_e64 v[8:9], v[26:27]
	s_cbranch_execz .LBB175_11
; %bb.10:
	v_mov_b32_e32 v0, v26
	v_mov_b32_e32 v1, v27
	;; [unrolled: 1-line block ×12, first 2 shown]
.LBB175_11:
	s_or_b32 exec_lo, exec_lo, s5
	v_mov_b32_e32 v17, v9
	v_cmp_lt_i64_e64 s4, v[26:27], v[4:5]
	v_mov_b32_e32 v16, v8
	v_mov_b32_e32 v15, v7
	;; [unrolled: 1-line block ×8, first 2 shown]
	v_cndmask_b32_e64 v31, v23, v21, s3
	v_cndmask_b32_e64 v30, v22, v20, s3
	v_mov_b32_e32 v7, v25
	s_and_saveexec_b32 s5, s4
	s_xor_b32 s4, exec_lo, s5
	s_cbranch_execz .LBB175_13
; %bb.12:
	v_mov_b32_e32 v17, v9
	v_mov_b32_e32 v16, v8
	;; [unrolled: 1-line block ×20, first 2 shown]
.LBB175_13:
	s_or_b32 exec_lo, exec_lo, s4
	v_cmp_lt_i64_e64 s4, v[4:5], v[2:3]
	v_mov_b32_e32 v27, v15
	v_mov_b32_e32 v8, v16
	;; [unrolled: 1-line block ×4, first 2 shown]
	s_mov_b32 s7, exec_lo
	v_cndmask_b32_e64 v3, v13, v11, s4
	v_cndmask_b32_e64 v2, v12, v10, s4
	;; [unrolled: 1-line block ×4, first 2 shown]
	v_mov_b32_e32 v10, v28
	v_mov_b32_e32 v11, v29
	v_cmpx_lt_i64_e64 v[8:9], v[14:15]
	s_cbranch_execz .LBB175_15
; %bb.14:
	v_mov_b32_e32 v4, v14
	v_mov_b32_e32 v5, v15
	v_mov_b32_e32 v11, v7
	v_mov_b32_e32 v15, v9
	v_mov_b32_e32 v27, v9
	v_mov_b32_e32 v10, v6
	v_mov_b32_e32 v6, v28
	v_mov_b32_e32 v14, v8
	v_mov_b32_e32 v26, v8
	v_mov_b32_e32 v9, v5
	v_mov_b32_e32 v7, v29
	v_mov_b32_e32 v8, v4
.LBB175_15:
	s_or_b32 exec_lo, exec_lo, s7
	v_cndmask_b32_e64 v12, v21, v23, s3
	v_cndmask_b32_e64 v13, v20, v22, s3
	;; [unrolled: 1-line block ×6, first 2 shown]
	s_mov_b32 s4, exec_lo
	v_mov_b32_e32 v23, v5
	v_mov_b32_e32 v22, v4
	v_cmpx_lt_i64_e64 v[14:15], v[2:3]
	s_cbranch_execz .LBB175_17
; %bb.16:
	v_mov_b32_e32 v27, v3
	v_mov_b32_e32 v23, v7
	;; [unrolled: 1-line block ×8, first 2 shown]
.LBB175_17:
	s_or_b32 exec_lo, exec_lo, s4
	v_mov_b32_e32 v25, v7
	v_mov_b32_e32 v24, v6
.LBB175_18:
	s_or_b32 exec_lo, exec_lo, s6
	v_and_b32_e32 v4, 0x78, v33
	v_and_b32_e32 v6, 4, v33
	v_lshlrev_b32_e32 v30, 3, v33
	v_mov_b32_e32 v12, v8
	v_mul_u32_u24_e32 v31, 0x408, v35
	v_min_i32_e32 v7, v32, v4
	v_min_i32_e32 v6, v32, v6
	v_mad_u32_u24 v34, 0x408, v35, v30
	; wave barrier
	v_add_nc_u32_e32 v4, 4, v7
	v_lshlrev_b32_e32 v16, 3, v7
	ds_write2_b64 v34, v[0:1], v[2:3] offset1:1
	s_mov_b32 s5, 0
	s_mov_b32 s4, exec_lo
	v_min_i32_e32 v4, v32, v4
	v_mad_u32_u24 v0, 0x408, v35, v16
	v_add_nc_u32_e32 v5, 4, v4
	v_sub_nc_u32_e32 v15, v4, v7
	v_min_i32_e32 v5, v32, v5
	v_sub_nc_u32_e32 v13, v5, v4
	v_sub_nc_u32_e32 v8, v6, v13
	v_cmp_ge_i32_e64 s3, v6, v13
	v_mov_b32_e32 v13, v9
	v_cndmask_b32_e64 v14, 0, v8, s3
	v_min_i32_e32 v8, v6, v15
	ds_write2_b64 v34, v[26:27], v[12:13] offset0:2 offset1:3
	; wave barrier
	v_cmpx_lt_i32_e64 v14, v8
	s_cbranch_execz .LBB175_22
; %bb.19:
	v_lshlrev_b32_e32 v1, 3, v4
	v_lshlrev_b32_e32 v2, 3, v6
	v_add3_u32 v1, v31, v1, v2
	.p2align	6
.LBB175_20:                             ; =>This Inner Loop Header: Depth=1
	v_sub_nc_u32_e32 v2, v8, v14
	v_lshrrev_b32_e32 v2, 1, v2
	v_add_nc_u32_e32 v9, v2, v14
	v_not_b32_e32 v2, v9
	v_lshl_add_u32 v3, v9, 3, v0
	v_lshl_add_u32 v12, v2, 3, v1
	ds_read_b64 v[2:3], v3
	ds_read_b64 v[12:13], v12
	s_waitcnt lgkmcnt(0)
	v_cmp_lt_i64_e64 s3, v[12:13], v[2:3]
	v_add_nc_u32_e32 v2, 1, v9
	v_cndmask_b32_e64 v8, v8, v9, s3
	v_cndmask_b32_e64 v14, v2, v14, s3
	v_cmp_ge_i32_e64 s3, v14, v8
	s_or_b32 s5, s3, s5
	s_andn2_b32 exec_lo, exec_lo, s5
	s_cbranch_execnz .LBB175_20
; %bb.21:
	s_or_b32 exec_lo, exec_lo, s5
.LBB175_22:
	s_or_b32 exec_lo, exec_lo, s4
	v_add_nc_u32_e32 v1, v4, v6
	v_add_nc_u32_e32 v7, v14, v7
	v_sub_nc_u32_e32 v6, v1, v14
	v_lshl_add_u32 v1, v14, 3, v0
	v_cmp_le_i32_e64 s4, v4, v7
                                        ; implicit-def: $vgpr14_vgpr15
	v_lshl_add_u32 v0, v6, 3, v31
	v_cmp_gt_i32_e64 s5, v5, v6
	ds_read_b64 v[8:9], v1
	ds_read_b64 v[12:13], v0
	s_waitcnt lgkmcnt(0)
	v_cmp_lt_i64_e64 s3, v[12:13], v[8:9]
	s_or_b32 s3, s4, s3
	s_and_b32 s3, s5, s3
	s_xor_b32 s4, s3, -1
	s_and_saveexec_b32 s5, s4
	s_xor_b32 s4, exec_lo, s5
; %bb.23:
	ds_read_b64 v[14:15], v1 offset:8
                                        ; implicit-def: $vgpr0
; %bb.24:
	s_or_saveexec_b32 s4, s4
	v_mov_b32_e32 v17, v13
	v_mov_b32_e32 v16, v12
	s_xor_b32 exec_lo, exec_lo, s4
	s_cbranch_execz .LBB175_26
; %bb.25:
	ds_read_b64 v[16:17], v0 offset:8
	s_waitcnt lgkmcnt(1)
	v_mov_b32_e32 v15, v9
	v_mov_b32_e32 v14, v8
.LBB175_26:
	s_or_b32 exec_lo, exec_lo, s4
	v_add_nc_u32_e32 v0, 1, v7
	v_add_nc_u32_e32 v1, 1, v6
	s_waitcnt lgkmcnt(0)
	v_cmp_lt_i64_e64 s4, v[16:17], v[14:15]
	v_cndmask_b32_e64 v35, v0, v7, s3
	v_cndmask_b32_e64 v36, v6, v1, s3
                                        ; implicit-def: $vgpr0_vgpr1
	v_cmp_ge_i32_e64 s5, v35, v4
	v_cmp_lt_i32_e64 s6, v36, v5
	s_or_b32 s4, s5, s4
	s_and_b32 s4, s6, s4
	s_xor_b32 s5, s4, -1
	s_and_saveexec_b32 s6, s5
	s_xor_b32 s5, exec_lo, s6
; %bb.27:
	v_lshl_add_u32 v0, v35, 3, v31
	ds_read_b64 v[0:1], v0 offset:8
; %bb.28:
	s_or_saveexec_b32 s5, s5
	v_mov_b32_e32 v2, v16
	v_mov_b32_e32 v3, v17
	s_xor_b32 exec_lo, exec_lo, s5
	s_cbranch_execz .LBB175_30
; %bb.29:
	s_waitcnt lgkmcnt(0)
	v_lshl_add_u32 v0, v36, 3, v31
	ds_read_b64 v[2:3], v0 offset:8
	v_mov_b32_e32 v0, v14
	v_mov_b32_e32 v1, v15
.LBB175_30:
	s_or_b32 exec_lo, exec_lo, s5
	v_add_nc_u32_e32 v26, 1, v35
	v_add_nc_u32_e32 v27, 1, v36
	s_waitcnt lgkmcnt(0)
	v_cmp_lt_i64_e64 s5, v[2:3], v[0:1]
	v_cndmask_b32_e64 v38, v26, v35, s4
	v_cndmask_b32_e64 v39, v36, v27, s4
                                        ; implicit-def: $vgpr26_vgpr27
	v_cmp_ge_i32_e64 s6, v38, v4
	v_cmp_lt_i32_e64 s7, v39, v5
	s_or_b32 s5, s6, s5
	s_and_b32 s5, s7, s5
	s_xor_b32 s6, s5, -1
	s_and_saveexec_b32 s7, s6
	s_xor_b32 s6, exec_lo, s7
; %bb.31:
	v_lshl_add_u32 v26, v38, 3, v31
	ds_read_b64 v[26:27], v26 offset:8
; %bb.32:
	s_or_saveexec_b32 s6, s6
	v_mov_b32_e32 v29, v3
	v_mov_b32_e32 v28, v2
	s_xor_b32 exec_lo, exec_lo, s6
	s_cbranch_execz .LBB175_34
; %bb.33:
	s_waitcnt lgkmcnt(0)
	v_lshl_add_u32 v26, v39, 3, v31
	ds_read_b64 v[28:29], v26 offset:8
	v_mov_b32_e32 v27, v1
	v_mov_b32_e32 v26, v0
.LBB175_34:
	s_or_b32 exec_lo, exec_lo, s6
	v_add_nc_u32_e32 v37, 1, v38
	v_and_b32_e32 v42, 0x70, v33
	v_add_nc_u32_e32 v43, 1, v39
	v_cndmask_b32_e64 v40, v0, v2, s5
	v_cndmask_b32_e64 v41, v1, v3, s5
	;; [unrolled: 1-line block ×3, first 2 shown]
	v_min_i32_e32 v37, v32, v42
	v_cndmask_b32_e64 v1, v39, v43, s5
	v_cndmask_b32_e64 v2, v38, v39, s5
	s_waitcnt lgkmcnt(0)
	v_cmp_lt_i64_e64 s5, v[28:29], v[26:27]
	v_cmp_ge_i32_e64 s6, v0, v4
	v_add_nc_u32_e32 v3, 8, v37
	v_cmp_lt_i32_e64 s7, v1, v5
	v_cndmask_b32_e64 v4, v35, v36, s4
	v_cndmask_b32_e64 v5, v7, v6, s3
	s_or_b32 s5, s6, s5
	v_min_i32_e32 v35, v32, v3
	s_and_b32 s5, s7, s5
	v_lshl_add_u32 v4, v4, 3, v31
	v_cndmask_b32_e64 v0, v0, v1, s5
	v_lshl_add_u32 v3, v5, 3, v31
	v_add_nc_u32_e32 v1, 8, v35
	v_and_b32_e32 v5, 12, v33
	v_lshl_add_u32 v2, v2, 3, v31
	v_lshl_add_u32 v6, v0, 3, v31
	v_cndmask_b32_e64 v29, v27, v29, s5
	; wave barrier
	ds_write2_b64 v34, v[20:21], v[22:23] offset1:1
	ds_write2_b64 v34, v[24:25], v[10:11] offset0:2 offset1:3
	; wave barrier
	v_min_i32_e32 v27, v32, v1
	v_min_i32_e32 v10, v32, v5
	ds_read_b64 v[0:1], v3
	ds_read_b64 v[4:5], v4
	ds_read_b64 v[2:3], v2
	ds_read_b64 v[6:7], v6
	v_cndmask_b32_e64 v15, v15, v17, s4
	v_cndmask_b32_e64 v14, v14, v16, s4
	v_sub_nc_u32_e32 v11, v27, v35
	v_cndmask_b32_e64 v17, v9, v13, s3
	v_sub_nc_u32_e32 v13, v35, v37
	v_cndmask_b32_e64 v16, v8, v12, s3
	v_cndmask_b32_e64 v28, v26, v28, s5
	v_sub_nc_u32_e32 v9, v10, v11
	v_cmp_ge_i32_e64 s3, v10, v11
	v_lshl_add_u32 v8, v37, 3, v31
	s_mov_b32 s5, 0
	s_mov_b32 s4, exec_lo
	v_cndmask_b32_e64 v12, 0, v9, s3
	v_min_i32_e32 v9, v10, v13
	; wave barrier
	ds_write2_b64 v34, v[16:17], v[14:15] offset1:1
	ds_write2_b64 v34, v[40:41], v[28:29] offset0:2 offset1:3
	; wave barrier
	v_cmpx_lt_i32_e64 v12, v9
	s_cbranch_execz .LBB175_38
; %bb.35:
	v_lshlrev_b32_e32 v11, 3, v35
	v_lshlrev_b32_e32 v13, 3, v10
	v_add3_u32 v11, v31, v11, v13
	.p2align	6
.LBB175_36:                             ; =>This Inner Loop Header: Depth=1
	v_sub_nc_u32_e32 v13, v9, v12
	v_lshrrev_b32_e32 v13, 1, v13
	v_add_nc_u32_e32 v17, v13, v12
	v_not_b32_e32 v13, v17
	v_lshl_add_u32 v14, v17, 3, v8
	v_lshl_add_u32 v15, v13, 3, v11
	ds_read_b64 v[13:14], v14
	ds_read_b64 v[15:16], v15
	s_waitcnt lgkmcnt(0)
	v_cmp_lt_i64_e64 s3, v[15:16], v[13:14]
	v_add_nc_u32_e32 v13, 1, v17
	v_cndmask_b32_e64 v9, v9, v17, s3
	v_cndmask_b32_e64 v12, v13, v12, s3
	v_cmp_ge_i32_e64 s3, v12, v9
	s_or_b32 s5, s3, s5
	s_andn2_b32 exec_lo, exec_lo, s5
	s_cbranch_execnz .LBB175_36
; %bb.37:
	s_or_b32 exec_lo, exec_lo, s5
.LBB175_38:
	s_or_b32 exec_lo, exec_lo, s4
	v_add_nc_u32_e32 v9, v35, v10
	v_lshl_add_u32 v14, v12, 3, v8
	v_add_nc_u32_e32 v28, v12, v37
	v_sub_nc_u32_e32 v26, v9, v12
                                        ; implicit-def: $vgpr12_vgpr13
	v_cmp_le_i32_e64 s4, v35, v28
	v_lshl_add_u32 v16, v26, 3, v31
	v_cmp_gt_i32_e64 s5, v27, v26
	ds_read_b64 v[8:9], v14
	ds_read_b64 v[10:11], v16
	s_waitcnt lgkmcnt(0)
	v_cmp_lt_i64_e64 s3, v[10:11], v[8:9]
	s_or_b32 s3, s4, s3
	s_and_b32 s3, s5, s3
	s_xor_b32 s4, s3, -1
	s_and_saveexec_b32 s5, s4
	s_xor_b32 s4, exec_lo, s5
; %bb.39:
	ds_read_b64 v[12:13], v14 offset:8
                                        ; implicit-def: $vgpr16
; %bb.40:
	s_or_saveexec_b32 s4, s4
	v_mov_b32_e32 v15, v11
	v_mov_b32_e32 v14, v10
	s_xor_b32 exec_lo, exec_lo, s4
	s_cbranch_execz .LBB175_42
; %bb.41:
	ds_read_b64 v[14:15], v16 offset:8
	s_waitcnt lgkmcnt(1)
	v_mov_b32_e32 v13, v9
	v_mov_b32_e32 v12, v8
.LBB175_42:
	s_or_b32 exec_lo, exec_lo, s4
	v_add_nc_u32_e32 v16, 1, v28
	v_add_nc_u32_e32 v17, 1, v26
	s_waitcnt lgkmcnt(0)
	v_cmp_lt_i64_e64 s4, v[14:15], v[12:13]
                                        ; implicit-def: $vgpr20_vgpr21
	v_cndmask_b32_e64 v29, v16, v28, s3
	v_cndmask_b32_e64 v36, v26, v17, s3
	v_cmp_ge_i32_e64 s5, v29, v35
	v_cmp_lt_i32_e64 s6, v36, v27
	s_or_b32 s4, s5, s4
	s_and_b32 s4, s6, s4
	s_xor_b32 s5, s4, -1
	s_and_saveexec_b32 s6, s5
	s_xor_b32 s5, exec_lo, s6
; %bb.43:
	v_lshl_add_u32 v16, v29, 3, v31
	ds_read_b64 v[20:21], v16 offset:8
; %bb.44:
	s_or_saveexec_b32 s5, s5
	v_mov_b32_e32 v25, v15
	v_mov_b32_e32 v24, v14
	s_xor_b32 exec_lo, exec_lo, s5
	s_cbranch_execz .LBB175_46
; %bb.45:
	v_lshl_add_u32 v16, v36, 3, v31
	s_waitcnt lgkmcnt(0)
	v_mov_b32_e32 v21, v13
	v_mov_b32_e32 v20, v12
	ds_read_b64 v[24:25], v16 offset:8
.LBB175_46:
	s_or_b32 exec_lo, exec_lo, s5
	v_add_nc_u32_e32 v16, 1, v29
	v_add_nc_u32_e32 v17, 1, v36
	s_waitcnt lgkmcnt(0)
	v_cmp_lt_i64_e64 s5, v[24:25], v[20:21]
	v_cndmask_b32_e64 v37, v16, v29, s4
	v_cndmask_b32_e64 v38, v36, v17, s4
                                        ; implicit-def: $vgpr16_vgpr17
	v_cmp_ge_i32_e64 s6, v37, v35
	v_cmp_lt_i32_e64 s7, v38, v27
	s_or_b32 s5, s6, s5
	s_and_b32 s5, s7, s5
	s_xor_b32 s6, s5, -1
	s_and_saveexec_b32 s7, s6
	s_xor_b32 s6, exec_lo, s7
; %bb.47:
	v_lshl_add_u32 v16, v37, 3, v31
	ds_read_b64 v[16:17], v16 offset:8
; %bb.48:
	s_or_saveexec_b32 s6, s6
	v_mov_b32_e32 v22, v24
	v_mov_b32_e32 v23, v25
	s_xor_b32 exec_lo, exec_lo, s6
	s_cbranch_execz .LBB175_50
; %bb.49:
	s_waitcnt lgkmcnt(0)
	v_lshl_add_u32 v16, v38, 3, v31
	ds_read_b64 v[22:23], v16 offset:8
	v_mov_b32_e32 v16, v20
	v_mov_b32_e32 v17, v21
.LBB175_50:
	s_or_b32 exec_lo, exec_lo, s6
	v_add_nc_u32_e32 v39, 1, v37
	v_and_b32_e32 v40, 0x60, v33
	v_add_nc_u32_e32 v41, 1, v38
	v_cndmask_b32_e64 v25, v21, v25, s5
	v_cndmask_b32_e64 v24, v20, v24, s5
	;; [unrolled: 1-line block ×3, first 2 shown]
	v_min_i32_e32 v20, v32, v40
	v_cndmask_b32_e64 v39, v38, v41, s5
	v_cndmask_b32_e64 v37, v37, v38, s5
	s_waitcnt lgkmcnt(0)
	v_cmp_lt_i64_e64 s5, v[22:23], v[16:17]
	v_cmp_ge_i32_e64 s6, v21, v35
	v_add_nc_u32_e32 v35, 16, v20
	v_cmp_lt_i32_e64 s7, v39, v27
	v_cndmask_b32_e64 v27, v28, v26, s3
	v_cndmask_b32_e64 v29, v29, v36, s4
	s_or_b32 s5, s6, s5
	v_min_i32_e32 v26, v32, v35
	s_and_b32 s5, s7, s5
	v_cndmask_b32_e64 v23, v17, v23, s5
	v_cndmask_b32_e64 v17, v21, v39, s5
	; wave barrier
	ds_write2_b64 v34, v[0:1], v[4:5] offset1:1
	ds_write2_b64 v34, v[2:3], v[6:7] offset0:2 offset1:3
	v_add_nc_u32_e32 v0, 16, v26
	v_lshl_add_u32 v1, v27, 3, v31
	v_and_b32_e32 v2, 28, v33
	v_lshl_add_u32 v3, v29, 3, v31
	v_lshl_add_u32 v6, v37, 3, v31
	;; [unrolled: 1-line block ×3, first 2 shown]
	; wave barrier
	v_min_i32_e32 v27, v32, v0
	v_min_i32_e32 v17, v32, v2
	ds_read_b64 v[0:1], v1
	ds_read_b64 v[4:5], v3
	;; [unrolled: 1-line block ×4, first 2 shown]
	v_cndmask_b32_e64 v15, v13, v15, s4
	v_cndmask_b32_e64 v11, v9, v11, s3
	v_sub_nc_u32_e32 v21, v27, v26
	v_sub_nc_u32_e32 v13, v26, v20
	v_cndmask_b32_e64 v10, v8, v10, s3
	v_cndmask_b32_e64 v14, v12, v14, s4
	;; [unrolled: 1-line block ×3, first 2 shown]
	v_sub_nc_u32_e32 v9, v17, v21
	v_cmp_ge_i32_e64 s3, v17, v21
	v_lshl_add_u32 v8, v20, 3, v31
	s_mov_b32 s5, 0
	s_mov_b32 s4, exec_lo
	v_cndmask_b32_e64 v12, 0, v9, s3
	v_min_i32_e32 v9, v17, v13
	; wave barrier
	ds_write2_b64 v34, v[10:11], v[14:15] offset1:1
	ds_write2_b64 v34, v[24:25], v[22:23] offset0:2 offset1:3
	; wave barrier
	v_cmpx_lt_i32_e64 v12, v9
	s_cbranch_execz .LBB175_54
; %bb.51:
	v_lshlrev_b32_e32 v10, 3, v26
	v_lshlrev_b32_e32 v11, 3, v17
	v_add3_u32 v10, v31, v10, v11
	.p2align	6
.LBB175_52:                             ; =>This Inner Loop Header: Depth=1
	v_sub_nc_u32_e32 v11, v9, v12
	v_lshrrev_b32_e32 v11, 1, v11
	v_add_nc_u32_e32 v11, v11, v12
	v_not_b32_e32 v13, v11
	v_lshl_add_u32 v14, v11, 3, v8
	v_lshl_add_u32 v15, v13, 3, v10
	ds_read_b64 v[13:14], v14
	ds_read_b64 v[15:16], v15
	s_waitcnt lgkmcnt(0)
	v_cmp_lt_i64_e64 s3, v[15:16], v[13:14]
	v_add_nc_u32_e32 v13, 1, v11
	v_cndmask_b32_e64 v9, v9, v11, s3
	v_cndmask_b32_e64 v12, v13, v12, s3
	v_cmp_ge_i32_e64 s3, v12, v9
	s_or_b32 s5, s3, s5
	s_andn2_b32 exec_lo, exec_lo, s5
	s_cbranch_execnz .LBB175_52
; %bb.53:
	s_or_b32 exec_lo, exec_lo, s5
.LBB175_54:
	s_or_b32 exec_lo, exec_lo, s4
	v_add_nc_u32_e32 v9, v26, v17
	v_lshl_add_u32 v14, v12, 3, v8
	v_add_nc_u32_e32 v29, v12, v20
	v_sub_nc_u32_e32 v28, v9, v12
                                        ; implicit-def: $vgpr12_vgpr13
	v_cmp_le_i32_e64 s4, v26, v29
	v_lshl_add_u32 v16, v28, 3, v31
	v_cmp_gt_i32_e64 s5, v27, v28
	ds_read_b64 v[8:9], v14
	ds_read_b64 v[10:11], v16
	s_waitcnt lgkmcnt(0)
	v_cmp_lt_i64_e64 s3, v[10:11], v[8:9]
	s_or_b32 s3, s4, s3
	s_and_b32 s3, s5, s3
	s_xor_b32 s4, s3, -1
	s_and_saveexec_b32 s5, s4
	s_xor_b32 s4, exec_lo, s5
; %bb.55:
	ds_read_b64 v[12:13], v14 offset:8
                                        ; implicit-def: $vgpr16
; %bb.56:
	s_or_saveexec_b32 s4, s4
	v_mov_b32_e32 v15, v11
	v_mov_b32_e32 v14, v10
	s_xor_b32 exec_lo, exec_lo, s4
	s_cbranch_execz .LBB175_58
; %bb.57:
	ds_read_b64 v[14:15], v16 offset:8
	s_waitcnt lgkmcnt(1)
	v_mov_b32_e32 v13, v9
	v_mov_b32_e32 v12, v8
.LBB175_58:
	s_or_b32 exec_lo, exec_lo, s4
	v_add_nc_u32_e32 v16, 1, v29
	v_add_nc_u32_e32 v17, 1, v28
	s_waitcnt lgkmcnt(0)
	v_cmp_lt_i64_e64 s4, v[14:15], v[12:13]
                                        ; implicit-def: $vgpr20_vgpr21
	v_cndmask_b32_e64 v35, v16, v29, s3
	v_cndmask_b32_e64 v36, v28, v17, s3
	v_cmp_ge_i32_e64 s5, v35, v26
	v_cmp_lt_i32_e64 s6, v36, v27
	s_or_b32 s4, s5, s4
	s_and_b32 s4, s6, s4
	s_xor_b32 s5, s4, -1
	s_and_saveexec_b32 s6, s5
	s_xor_b32 s5, exec_lo, s6
; %bb.59:
	v_lshl_add_u32 v16, v35, 3, v31
	ds_read_b64 v[20:21], v16 offset:8
; %bb.60:
	s_or_saveexec_b32 s5, s5
	v_mov_b32_e32 v25, v15
	v_mov_b32_e32 v24, v14
	s_xor_b32 exec_lo, exec_lo, s5
	s_cbranch_execz .LBB175_62
; %bb.61:
	v_lshl_add_u32 v16, v36, 3, v31
	s_waitcnt lgkmcnt(0)
	v_mov_b32_e32 v21, v13
	v_mov_b32_e32 v20, v12
	ds_read_b64 v[24:25], v16 offset:8
.LBB175_62:
	s_or_b32 exec_lo, exec_lo, s5
	v_add_nc_u32_e32 v16, 1, v35
	v_add_nc_u32_e32 v17, 1, v36
	s_waitcnt lgkmcnt(0)
	v_cmp_lt_i64_e64 s5, v[24:25], v[20:21]
	v_cndmask_b32_e64 v37, v16, v35, s4
	v_cndmask_b32_e64 v38, v36, v17, s4
                                        ; implicit-def: $vgpr16_vgpr17
	v_cmp_ge_i32_e64 s6, v37, v26
	v_cmp_lt_i32_e64 s7, v38, v27
	s_or_b32 s5, s6, s5
	s_and_b32 s5, s7, s5
	s_xor_b32 s6, s5, -1
	s_and_saveexec_b32 s7, s6
	s_xor_b32 s6, exec_lo, s7
; %bb.63:
	v_lshl_add_u32 v16, v37, 3, v31
	ds_read_b64 v[16:17], v16 offset:8
; %bb.64:
	s_or_saveexec_b32 s6, s6
	v_mov_b32_e32 v22, v24
	v_mov_b32_e32 v23, v25
	s_xor_b32 exec_lo, exec_lo, s6
	s_cbranch_execz .LBB175_66
; %bb.65:
	s_waitcnt lgkmcnt(0)
	v_lshl_add_u32 v16, v38, 3, v31
	ds_read_b64 v[22:23], v16 offset:8
	v_mov_b32_e32 v16, v20
	v_mov_b32_e32 v17, v21
.LBB175_66:
	s_or_b32 exec_lo, exec_lo, s6
	v_add_nc_u32_e32 v39, 1, v37
	v_and_b32_e32 v40, 64, v33
	v_add_nc_u32_e32 v41, 1, v38
	v_cndmask_b32_e64 v25, v21, v25, s5
	v_cndmask_b32_e64 v24, v20, v24, s5
	;; [unrolled: 1-line block ×3, first 2 shown]
	v_min_i32_e32 v20, v32, v40
	v_cndmask_b32_e64 v39, v38, v41, s5
	v_cndmask_b32_e64 v37, v37, v38, s5
	s_waitcnt lgkmcnt(0)
	v_cmp_lt_i64_e64 s5, v[22:23], v[16:17]
	v_cmp_ge_i32_e64 s6, v21, v26
	v_add_nc_u32_e32 v26, 32, v20
	v_cmp_lt_i32_e64 s7, v39, v27
	v_cndmask_b32_e64 v27, v29, v28, s3
	v_cndmask_b32_e64 v35, v35, v36, s4
	s_or_b32 s5, s6, s5
	v_min_i32_e32 v26, v32, v26
	s_and_b32 s5, s7, s5
	; wave barrier
	ds_write2_b64 v34, v[0:1], v[4:5] offset1:1
	ds_write2_b64 v34, v[2:3], v[6:7] offset0:2 offset1:3
	v_add_nc_u32_e32 v0, 32, v26
	v_cndmask_b32_e64 v23, v17, v23, s5
	v_cndmask_b32_e64 v17, v21, v39, s5
	v_lshl_add_u32 v1, v27, 3, v31
	v_and_b32_e32 v2, 60, v33
	v_min_i32_e32 v27, v32, v0
	v_lshl_add_u32 v0, v35, 3, v31
	v_lshl_add_u32 v4, v37, 3, v31
	;; [unrolled: 1-line block ×3, first 2 shown]
	; wave barrier
	v_min_i32_e32 v17, v32, v2
	ds_read_b64 v[2:3], v1
	ds_read_b64 v[6:7], v0
	;; [unrolled: 1-line block ×4, first 2 shown]
	v_sub_nc_u32_e32 v21, v27, v26
	v_cndmask_b32_e64 v15, v13, v15, s4
	v_cndmask_b32_e64 v11, v9, v11, s3
	v_sub_nc_u32_e32 v13, v26, v20
	v_cndmask_b32_e64 v10, v8, v10, s3
	v_sub_nc_u32_e32 v9, v17, v21
	v_cmp_ge_i32_e64 s3, v17, v21
	v_cndmask_b32_e64 v14, v12, v14, s4
	v_cndmask_b32_e64 v22, v16, v22, s5
	v_lshl_add_u32 v8, v20, 3, v31
	s_mov_b32 s5, 0
	v_cndmask_b32_e64 v12, 0, v9, s3
	v_min_i32_e32 v9, v17, v13
	s_mov_b32 s4, exec_lo
	; wave barrier
	ds_write2_b64 v34, v[10:11], v[14:15] offset1:1
	ds_write2_b64 v34, v[24:25], v[22:23] offset0:2 offset1:3
	; wave barrier
	v_cmpx_lt_i32_e64 v12, v9
	s_cbranch_execz .LBB175_70
; %bb.67:
	v_lshlrev_b32_e32 v10, 3, v26
	v_lshlrev_b32_e32 v11, 3, v17
	v_add3_u32 v10, v31, v10, v11
	.p2align	6
.LBB175_68:                             ; =>This Inner Loop Header: Depth=1
	v_sub_nc_u32_e32 v11, v9, v12
	v_lshrrev_b32_e32 v11, 1, v11
	v_add_nc_u32_e32 v11, v11, v12
	v_not_b32_e32 v13, v11
	v_lshl_add_u32 v14, v11, 3, v8
	v_lshl_add_u32 v15, v13, 3, v10
	ds_read_b64 v[13:14], v14
	ds_read_b64 v[15:16], v15
	s_waitcnt lgkmcnt(0)
	v_cmp_lt_i64_e64 s3, v[15:16], v[13:14]
	v_add_nc_u32_e32 v13, 1, v11
	v_cndmask_b32_e64 v9, v9, v11, s3
	v_cndmask_b32_e64 v12, v13, v12, s3
	v_cmp_ge_i32_e64 s3, v12, v9
	s_or_b32 s5, s3, s5
	s_andn2_b32 exec_lo, exec_lo, s5
	s_cbranch_execnz .LBB175_68
; %bb.69:
	s_or_b32 exec_lo, exec_lo, s5
.LBB175_70:
	s_or_b32 exec_lo, exec_lo, s4
	v_add_nc_u32_e32 v9, v26, v17
	v_lshl_add_u32 v14, v12, 3, v8
	v_add_nc_u32_e32 v29, v12, v20
	v_sub_nc_u32_e32 v28, v9, v12
                                        ; implicit-def: $vgpr12_vgpr13
	v_cmp_le_i32_e64 s4, v26, v29
	v_lshl_add_u32 v16, v28, 3, v31
	v_cmp_gt_i32_e64 s5, v27, v28
	ds_read_b64 v[8:9], v14
	ds_read_b64 v[10:11], v16
	s_waitcnt lgkmcnt(0)
	v_cmp_lt_i64_e64 s3, v[10:11], v[8:9]
	s_or_b32 s3, s4, s3
	s_and_b32 s3, s5, s3
	s_xor_b32 s4, s3, -1
	s_and_saveexec_b32 s5, s4
	s_xor_b32 s4, exec_lo, s5
; %bb.71:
	ds_read_b64 v[12:13], v14 offset:8
                                        ; implicit-def: $vgpr16
; %bb.72:
	s_or_saveexec_b32 s4, s4
	v_mov_b32_e32 v15, v11
	v_mov_b32_e32 v14, v10
	s_xor_b32 exec_lo, exec_lo, s4
	s_cbranch_execz .LBB175_74
; %bb.73:
	ds_read_b64 v[14:15], v16 offset:8
	s_waitcnt lgkmcnt(1)
	v_mov_b32_e32 v13, v9
	v_mov_b32_e32 v12, v8
.LBB175_74:
	s_or_b32 exec_lo, exec_lo, s4
	v_add_nc_u32_e32 v16, 1, v29
	v_add_nc_u32_e32 v17, 1, v28
	s_waitcnt lgkmcnt(0)
	v_cmp_lt_i64_e64 s4, v[14:15], v[12:13]
                                        ; implicit-def: $vgpr22_vgpr23
	v_cndmask_b32_e64 v35, v16, v29, s3
	v_cndmask_b32_e64 v36, v28, v17, s3
	v_cmp_ge_i32_e64 s5, v35, v26
	v_cmp_lt_i32_e64 s6, v36, v27
	s_or_b32 s4, s5, s4
	s_and_b32 s4, s6, s4
	s_xor_b32 s5, s4, -1
	s_and_saveexec_b32 s6, s5
	s_xor_b32 s5, exec_lo, s6
; %bb.75:
	v_lshl_add_u32 v16, v35, 3, v31
	ds_read_b64 v[22:23], v16 offset:8
; %bb.76:
	s_or_saveexec_b32 s5, s5
	v_mov_b32_e32 v25, v15
	v_mov_b32_e32 v24, v14
	s_xor_b32 exec_lo, exec_lo, s5
	s_cbranch_execz .LBB175_78
; %bb.77:
	v_lshl_add_u32 v16, v36, 3, v31
	s_waitcnt lgkmcnt(0)
	v_mov_b32_e32 v23, v13
	v_mov_b32_e32 v22, v12
	ds_read_b64 v[24:25], v16 offset:8
.LBB175_78:
	s_or_b32 exec_lo, exec_lo, s5
	v_add_nc_u32_e32 v16, 1, v35
	v_add_nc_u32_e32 v17, 1, v36
	s_waitcnt lgkmcnt(0)
	v_cmp_lt_i64_e64 s5, v[24:25], v[22:23]
	v_cndmask_b32_e64 v38, v16, v35, s4
	v_cndmask_b32_e64 v37, v36, v17, s4
                                        ; implicit-def: $vgpr16_vgpr17
	v_cmp_ge_i32_e64 s6, v38, v26
	v_cmp_lt_i32_e64 s7, v37, v27
	s_or_b32 s5, s6, s5
	s_and_b32 s5, s7, s5
	s_xor_b32 s6, s5, -1
	s_and_saveexec_b32 s7, s6
	s_xor_b32 s6, exec_lo, s7
; %bb.79:
	v_lshl_add_u32 v16, v38, 3, v31
	ds_read_b64 v[16:17], v16 offset:8
; %bb.80:
	s_or_saveexec_b32 s6, s6
	v_mov_b32_e32 v20, v24
	v_mov_b32_e32 v21, v25
	s_xor_b32 exec_lo, exec_lo, s6
	s_cbranch_execz .LBB175_82
; %bb.81:
	s_waitcnt lgkmcnt(0)
	v_lshl_add_u32 v16, v37, 3, v31
	ds_read_b64 v[20:21], v16 offset:8
	v_mov_b32_e32 v16, v22
	v_mov_b32_e32 v17, v23
.LBB175_82:
	s_or_b32 exec_lo, exec_lo, s6
	v_add_nc_u32_e32 v39, 1, v38
	v_cndmask_b32_e64 v25, v23, v25, s5
	v_add_nc_u32_e32 v23, 1, v37
	v_cndmask_b32_e64 v24, v22, v24, s5
	v_cndmask_b32_e64 v40, v38, v37, s5
	;; [unrolled: 1-line block ×3, first 2 shown]
	v_min_i32_e32 v22, 0, v32
	v_cndmask_b32_e64 v23, v37, v23, s5
	s_waitcnt lgkmcnt(0)
	v_cmp_lt_i64_e64 s5, v[20:21], v[16:17]
	v_cndmask_b32_e64 v35, v35, v36, s4
	v_cmp_ge_i32_e64 s6, v38, v26
	v_add_nc_u32_e32 v26, 64, v22
	v_cmp_lt_i32_e64 s7, v23, v27
	v_cndmask_b32_e64 v27, v29, v28, s3
	s_or_b32 s5, s6, s5
	v_min_i32_e32 v26, v32, v26
	s_and_b32 s5, s7, s5
	; wave barrier
	ds_write2_b64 v34, v[2:3], v[6:7] offset1:1
	v_cndmask_b32_e64 v21, v17, v21, s5
	v_add_nc_u32_e32 v2, 64, v26
	v_cndmask_b32_e64 v17, v38, v23, s5
	ds_write2_b64 v34, v[0:1], v[4:5] offset0:2 offset1:3
	v_lshl_add_u32 v0, v27, 3, v31
	v_lshl_add_u32 v1, v35, 3, v31
	v_min_i32_e32 v27, v32, v2
	v_lshl_add_u32 v2, v40, 3, v31
	v_lshl_add_u32 v3, v17, 3, v31
	; wave barrier
	ds_read_b64 v[4:5], v0
	ds_read_b64 v[6:7], v1
	;; [unrolled: 1-line block ×4, first 2 shown]
	v_min_i32_e32 v17, v32, v33
	v_sub_nc_u32_e32 v23, v27, v26
	v_cndmask_b32_e64 v15, v13, v15, s4
	v_cndmask_b32_e64 v11, v9, v11, s3
	v_sub_nc_u32_e32 v13, v26, v22
	v_cndmask_b32_e64 v10, v8, v10, s3
	v_sub_nc_u32_e32 v9, v17, v23
	v_cmp_ge_i32_e64 s3, v17, v23
	v_cndmask_b32_e64 v14, v12, v14, s4
	v_cndmask_b32_e64 v20, v16, v20, s5
	v_lshl_add_u32 v8, v22, 3, v31
	s_mov_b32 s5, 0
	v_cndmask_b32_e64 v12, 0, v9, s3
	v_min_i32_e32 v9, v17, v13
	s_mov_b32 s4, exec_lo
	; wave barrier
	ds_write2_b64 v34, v[10:11], v[14:15] offset1:1
	ds_write2_b64 v34, v[24:25], v[20:21] offset0:2 offset1:3
	; wave barrier
	v_cmpx_lt_i32_e64 v12, v9
	s_cbranch_execz .LBB175_86
; %bb.83:
	v_lshlrev_b32_e32 v10, 3, v26
	v_lshlrev_b32_e32 v11, 3, v17
	v_add3_u32 v10, v31, v10, v11
	.p2align	6
.LBB175_84:                             ; =>This Inner Loop Header: Depth=1
	v_sub_nc_u32_e32 v11, v9, v12
	v_lshrrev_b32_e32 v11, 1, v11
	v_add_nc_u32_e32 v11, v11, v12
	v_not_b32_e32 v13, v11
	v_lshl_add_u32 v14, v11, 3, v8
	v_lshl_add_u32 v15, v13, 3, v10
	ds_read_b64 v[13:14], v14
	ds_read_b64 v[15:16], v15
	s_waitcnt lgkmcnt(0)
	v_cmp_lt_i64_e64 s3, v[15:16], v[13:14]
	v_add_nc_u32_e32 v13, 1, v11
	v_cndmask_b32_e64 v9, v9, v11, s3
	v_cndmask_b32_e64 v12, v13, v12, s3
	v_cmp_ge_i32_e64 s3, v12, v9
	s_or_b32 s5, s3, s5
	s_andn2_b32 exec_lo, exec_lo, s5
	s_cbranch_execnz .LBB175_84
; %bb.85:
	s_or_b32 exec_lo, exec_lo, s5
.LBB175_86:
	s_or_b32 exec_lo, exec_lo, s4
	v_add_nc_u32_e32 v9, v26, v17
	v_lshl_add_u32 v14, v12, 3, v8
	v_add_nc_u32_e32 v29, v12, v22
	v_sub_nc_u32_e32 v28, v9, v12
                                        ; implicit-def: $vgpr12_vgpr13
	v_cmp_le_i32_e64 s4, v26, v29
	v_lshl_add_u32 v16, v28, 3, v31
	v_cmp_gt_i32_e64 s5, v27, v28
	ds_read_b64 v[8:9], v14
	ds_read_b64 v[10:11], v16
	s_waitcnt lgkmcnt(0)
	v_cmp_lt_i64_e64 s3, v[10:11], v[8:9]
	s_or_b32 s3, s4, s3
	s_and_b32 s3, s5, s3
	s_xor_b32 s4, s3, -1
	s_and_saveexec_b32 s5, s4
	s_xor_b32 s4, exec_lo, s5
; %bb.87:
	ds_read_b64 v[12:13], v14 offset:8
                                        ; implicit-def: $vgpr16
; %bb.88:
	s_or_saveexec_b32 s4, s4
	v_mov_b32_e32 v15, v11
	v_mov_b32_e32 v14, v10
	s_xor_b32 exec_lo, exec_lo, s4
	s_cbranch_execz .LBB175_90
; %bb.89:
	ds_read_b64 v[14:15], v16 offset:8
	s_waitcnt lgkmcnt(1)
	v_mov_b32_e32 v13, v9
	v_mov_b32_e32 v12, v8
.LBB175_90:
	s_or_b32 exec_lo, exec_lo, s4
	v_add_nc_u32_e32 v16, 1, v29
	v_add_nc_u32_e32 v17, 1, v28
	s_waitcnt lgkmcnt(0)
	v_cmp_lt_i64_e64 s4, v[14:15], v[12:13]
	v_cndmask_b32_e64 v32, v16, v29, s3
	v_cndmask_b32_e64 v33, v28, v17, s3
                                        ; implicit-def: $vgpr16_vgpr17
	v_cmp_ge_i32_e64 s5, v32, v26
	v_cmp_lt_i32_e64 s6, v33, v27
	s_or_b32 s4, s5, s4
	s_and_b32 s4, s6, s4
	s_xor_b32 s5, s4, -1
	s_and_saveexec_b32 s6, s5
	s_xor_b32 s5, exec_lo, s6
; %bb.91:
	v_lshl_add_u32 v16, v32, 3, v31
	ds_read_b64 v[16:17], v16 offset:8
; %bb.92:
	s_or_saveexec_b32 s5, s5
	v_mov_b32_e32 v21, v15
	v_mov_b32_e32 v20, v14
	s_xor_b32 exec_lo, exec_lo, s5
	s_cbranch_execz .LBB175_94
; %bb.93:
	s_waitcnt lgkmcnt(0)
	v_lshl_add_u32 v16, v33, 3, v31
	ds_read_b64 v[20:21], v16 offset:8
	v_mov_b32_e32 v17, v13
	v_mov_b32_e32 v16, v12
.LBB175_94:
	s_or_b32 exec_lo, exec_lo, s5
	v_add_nc_u32_e32 v22, 1, v32
	v_add_nc_u32_e32 v23, 1, v33
	s_waitcnt lgkmcnt(0)
	v_cmp_lt_i64_e64 s5, v[20:21], v[16:17]
                                        ; implicit-def: $vgpr37
	v_cndmask_b32_e64 v38, v22, v32, s4
	v_cndmask_b32_e64 v35, v33, v23, s4
                                        ; implicit-def: $vgpr22_vgpr23
	v_cmp_ge_i32_e64 s6, v38, v26
	v_cmp_lt_i32_e64 s7, v35, v27
	s_or_b32 s5, s6, s5
	s_and_b32 s5, s7, s5
	s_xor_b32 s6, s5, -1
	s_and_saveexec_b32 s7, s6
	s_xor_b32 s6, exec_lo, s7
; %bb.95:
	v_lshl_add_u32 v22, v38, 3, v31
	v_add_nc_u32_e32 v37, 1, v38
	ds_read_b64 v[22:23], v22 offset:8
; %bb.96:
	s_or_saveexec_b32 s6, s6
	v_mov_b32_e32 v25, v21
	v_mov_b32_e32 v36, v38
	;; [unrolled: 1-line block ×3, first 2 shown]
	s_xor_b32 exec_lo, exec_lo, s6
	s_cbranch_execz .LBB175_98
; %bb.97:
	s_waitcnt lgkmcnt(0)
	v_lshl_add_u32 v22, v35, 3, v31
	v_mov_b32_e32 v36, v35
	v_mov_b32_e32 v37, v38
	ds_read_b64 v[24:25], v22 offset:8
	v_add_nc_u32_e32 v22, 1, v35
	v_mov_b32_e32 v35, v22
	v_mov_b32_e32 v23, v17
	;; [unrolled: 1-line block ×3, first 2 shown]
.LBB175_98:
	s_or_b32 exec_lo, exec_lo, s6
	s_waitcnt lgkmcnt(0)
	v_cmp_lt_i64_e64 s6, v[24:25], v[22:23]
	v_cmp_ge_i32_e64 s7, v37, v26
	v_cmp_lt_i32_e64 s8, v35, v27
	v_cndmask_b32_e64 v26, v32, v33, s4
	; wave barrier
	s_or_b32 s6, s7, s6
	ds_write2_b64 v34, v[4:5], v[6:7] offset1:1
	ds_write2_b64 v34, v[0:1], v[2:3] offset0:2 offset1:3
	s_and_b32 s6, s8, s6
	v_lshl_add_u32 v0, v26, 3, v31
	v_cndmask_b32_e64 v23, v23, v25, s6
	v_cndmask_b32_e64 v25, v37, v35, s6
	v_lshl_add_u32 v1, v36, 3, v31
	; wave barrier
	v_lshl_add_u32 v2, v25, 3, v31
	ds_read_b64 v[6:7], v0
	ds_read_b64 v[4:5], v1
	;; [unrolled: 1-line block ×3, first 2 shown]
	v_cndmask_b32_e64 v1, v9, v11, s3
	v_cndmask_b32_e64 v0, v8, v10, s3
	;; [unrolled: 1-line block ×7, first 2 shown]
	s_and_saveexec_b32 s4, vcc_lo
	s_cbranch_execz .LBB175_100
; %bb.99:
	v_cndmask_b32_e64 v13, v29, v28, s3
	v_lshl_add_u32 v13, v13, 3, v31
	ds_read_b64 v[13:14], v13
	s_waitcnt lgkmcnt(0)
	v_add_co_u32 v0, s3, v13, v0
	v_add_co_ci_u32_e64 v1, null, v14, v1, s3
.LBB175_100:
	s_or_b32 exec_lo, exec_lo, s4
	s_waitcnt lgkmcnt(2)
	v_add_co_u32 v6, s3, v8, v6
	v_add_co_ci_u32_e64 v7, null, v9, v7, s3
	s_waitcnt lgkmcnt(1)
	v_add_co_u32 v4, s3, v11, v4
	v_add_co_ci_u32_e64 v5, null, v12, v5, s3
	;; [unrolled: 3-line block ×3, first 2 shown]
	v_cndmask_b32_e64 v8, v8, v6, s0
	v_cndmask_b32_e64 v6, v11, v4, s1
	v_add_co_u32 v4, s3, s10, v18
	v_cndmask_b32_e64 v9, v9, v7, s0
	v_cndmask_b32_e64 v7, v12, v5, s1
	v_add_co_ci_u32_e64 v5, null, s11, v19, s3
	v_add_co_u32 v4, s3, v4, v30
	v_cndmask_b32_e64 v3, v23, v3, s2
	v_cndmask_b32_e64 v2, v10, v2, s2
	v_add_co_ci_u32_e64 v5, null, 0, v5, s3
	s_and_saveexec_b32 s3, vcc_lo
	s_xor_b32 s3, exec_lo, s3
	s_cbranch_execnz .LBB175_105
; %bb.101:
	s_or_b32 exec_lo, exec_lo, s3
	s_and_saveexec_b32 s3, s0
	s_cbranch_execnz .LBB175_106
.LBB175_102:
	s_or_b32 exec_lo, exec_lo, s3
	s_and_saveexec_b32 s0, s1
	s_cbranch_execnz .LBB175_107
.LBB175_103:
	s_or_b32 exec_lo, exec_lo, s0
	s_and_saveexec_b32 s0, s2
	s_cbranch_execnz .LBB175_108
.LBB175_104:
	s_endpgm
.LBB175_105:
	global_store_dwordx2 v[4:5], v[0:1], off
	s_or_b32 exec_lo, exec_lo, s3
	s_and_saveexec_b32 s3, s0
	s_cbranch_execz .LBB175_102
.LBB175_106:
	global_store_dwordx2 v[4:5], v[8:9], off offset:8
	s_or_b32 exec_lo, exec_lo, s3
	s_and_saveexec_b32 s0, s1
	s_cbranch_execz .LBB175_103
.LBB175_107:
	global_store_dwordx2 v[4:5], v[6:7], off offset:16
	s_or_b32 exec_lo, exec_lo, s0
	s_and_saveexec_b32 s0, s2
	s_cbranch_execz .LBB175_104
.LBB175_108:
	global_store_dwordx2 v[4:5], v[2:3], off offset:24
	s_endpgm
	.section	.rodata,"a",@progbits
	.p2align	6, 0x0
	.amdhsa_kernel _Z20sort_pairs_segmentedILj256ELj32ELj4ExN10test_utils4lessEEvPKT2_PS2_PKjT3_
		.amdhsa_group_segment_fixed_size 8256
		.amdhsa_private_segment_fixed_size 0
		.amdhsa_kernarg_size 28
		.amdhsa_user_sgpr_count 6
		.amdhsa_user_sgpr_private_segment_buffer 1
		.amdhsa_user_sgpr_dispatch_ptr 0
		.amdhsa_user_sgpr_queue_ptr 0
		.amdhsa_user_sgpr_kernarg_segment_ptr 1
		.amdhsa_user_sgpr_dispatch_id 0
		.amdhsa_user_sgpr_flat_scratch_init 0
		.amdhsa_user_sgpr_private_segment_size 0
		.amdhsa_wavefront_size32 1
		.amdhsa_uses_dynamic_stack 0
		.amdhsa_system_sgpr_private_segment_wavefront_offset 0
		.amdhsa_system_sgpr_workgroup_id_x 1
		.amdhsa_system_sgpr_workgroup_id_y 0
		.amdhsa_system_sgpr_workgroup_id_z 0
		.amdhsa_system_sgpr_workgroup_info 0
		.amdhsa_system_vgpr_workitem_id 0
		.amdhsa_next_free_vgpr 44
		.amdhsa_next_free_sgpr 12
		.amdhsa_reserve_vcc 1
		.amdhsa_reserve_flat_scratch 0
		.amdhsa_float_round_mode_32 0
		.amdhsa_float_round_mode_16_64 0
		.amdhsa_float_denorm_mode_32 3
		.amdhsa_float_denorm_mode_16_64 3
		.amdhsa_dx10_clamp 1
		.amdhsa_ieee_mode 1
		.amdhsa_fp16_overflow 0
		.amdhsa_workgroup_processor_mode 1
		.amdhsa_memory_ordered 1
		.amdhsa_forward_progress 1
		.amdhsa_shared_vgpr_count 0
		.amdhsa_exception_fp_ieee_invalid_op 0
		.amdhsa_exception_fp_denorm_src 0
		.amdhsa_exception_fp_ieee_div_zero 0
		.amdhsa_exception_fp_ieee_overflow 0
		.amdhsa_exception_fp_ieee_underflow 0
		.amdhsa_exception_fp_ieee_inexact 0
		.amdhsa_exception_int_div_zero 0
	.end_amdhsa_kernel
	.section	.text._Z20sort_pairs_segmentedILj256ELj32ELj4ExN10test_utils4lessEEvPKT2_PS2_PKjT3_,"axG",@progbits,_Z20sort_pairs_segmentedILj256ELj32ELj4ExN10test_utils4lessEEvPKT2_PS2_PKjT3_,comdat
.Lfunc_end175:
	.size	_Z20sort_pairs_segmentedILj256ELj32ELj4ExN10test_utils4lessEEvPKT2_PS2_PKjT3_, .Lfunc_end175-_Z20sort_pairs_segmentedILj256ELj32ELj4ExN10test_utils4lessEEvPKT2_PS2_PKjT3_
                                        ; -- End function
	.set _Z20sort_pairs_segmentedILj256ELj32ELj4ExN10test_utils4lessEEvPKT2_PS2_PKjT3_.num_vgpr, 44
	.set _Z20sort_pairs_segmentedILj256ELj32ELj4ExN10test_utils4lessEEvPKT2_PS2_PKjT3_.num_agpr, 0
	.set _Z20sort_pairs_segmentedILj256ELj32ELj4ExN10test_utils4lessEEvPKT2_PS2_PKjT3_.numbered_sgpr, 12
	.set _Z20sort_pairs_segmentedILj256ELj32ELj4ExN10test_utils4lessEEvPKT2_PS2_PKjT3_.num_named_barrier, 0
	.set _Z20sort_pairs_segmentedILj256ELj32ELj4ExN10test_utils4lessEEvPKT2_PS2_PKjT3_.private_seg_size, 0
	.set _Z20sort_pairs_segmentedILj256ELj32ELj4ExN10test_utils4lessEEvPKT2_PS2_PKjT3_.uses_vcc, 1
	.set _Z20sort_pairs_segmentedILj256ELj32ELj4ExN10test_utils4lessEEvPKT2_PS2_PKjT3_.uses_flat_scratch, 0
	.set _Z20sort_pairs_segmentedILj256ELj32ELj4ExN10test_utils4lessEEvPKT2_PS2_PKjT3_.has_dyn_sized_stack, 0
	.set _Z20sort_pairs_segmentedILj256ELj32ELj4ExN10test_utils4lessEEvPKT2_PS2_PKjT3_.has_recursion, 0
	.set _Z20sort_pairs_segmentedILj256ELj32ELj4ExN10test_utils4lessEEvPKT2_PS2_PKjT3_.has_indirect_call, 0
	.section	.AMDGPU.csdata,"",@progbits
; Kernel info:
; codeLenInByte = 5920
; TotalNumSgprs: 14
; NumVgprs: 44
; ScratchSize: 0
; MemoryBound: 1
; FloatMode: 240
; IeeeMode: 1
; LDSByteSize: 8256 bytes/workgroup (compile time only)
; SGPRBlocks: 0
; VGPRBlocks: 5
; NumSGPRsForWavesPerEU: 14
; NumVGPRsForWavesPerEU: 44
; Occupancy: 16
; WaveLimiterHint : 0
; COMPUTE_PGM_RSRC2:SCRATCH_EN: 0
; COMPUTE_PGM_RSRC2:USER_SGPR: 6
; COMPUTE_PGM_RSRC2:TRAP_HANDLER: 0
; COMPUTE_PGM_RSRC2:TGID_X_EN: 1
; COMPUTE_PGM_RSRC2:TGID_Y_EN: 0
; COMPUTE_PGM_RSRC2:TGID_Z_EN: 0
; COMPUTE_PGM_RSRC2:TIDIG_COMP_CNT: 0
	.section	.text._Z9sort_keysILj256ELj32ELj8ExN10test_utils4lessEEvPKT2_PS2_T3_,"axG",@progbits,_Z9sort_keysILj256ELj32ELj8ExN10test_utils4lessEEvPKT2_PS2_T3_,comdat
	.protected	_Z9sort_keysILj256ELj32ELj8ExN10test_utils4lessEEvPKT2_PS2_T3_ ; -- Begin function _Z9sort_keysILj256ELj32ELj8ExN10test_utils4lessEEvPKT2_PS2_T3_
	.globl	_Z9sort_keysILj256ELj32ELj8ExN10test_utils4lessEEvPKT2_PS2_T3_
	.p2align	8
	.type	_Z9sort_keysILj256ELj32ELj8ExN10test_utils4lessEEvPKT2_PS2_T3_,@function
_Z9sort_keysILj256ELj32ELj8ExN10test_utils4lessEEvPKT2_PS2_T3_: ; @_Z9sort_keysILj256ELj32ELj8ExN10test_utils4lessEEvPKT2_PS2_T3_
; %bb.0:
	s_load_dwordx4 s[8:11], s[4:5], 0x0
	s_mov_b32 s7, 0
	s_lshl_b32 s6, s6, 11
	v_lshlrev_b32_e32 v1, 6, v0
	s_lshl_b64 s[12:13], s[6:7], 3
	v_mbcnt_lo_u32_b32 v2, -1, 0
	v_lshlrev_b32_e32 v32, 3, v0
	v_mov_b32_e32 v9, 0
	v_lshlrev_b32_e32 v34, 3, v2
	v_lshlrev_b32_e32 v2, 6, v2
	v_and_b32_e32 v8, 0xf0, v34
	v_and_b32_e32 v4, 8, v34
	v_or_b32_e32 v36, 8, v8
	s_waitcnt lgkmcnt(0)
	s_add_u32 s0, s8, s12
	s_addc_u32 s1, s9, s13
	s_clause 0x3
	global_load_dwordx4 v[10:13], v1, s[0:1]
	global_load_dwordx4 v[14:17], v1, s[0:1] offset:16
	global_load_dwordx4 v[18:21], v1, s[0:1] offset:32
	;; [unrolled: 1-line block ×3, first 2 shown]
	v_lshrrev_b32_e32 v1, 5, v0
	v_sub_nc_u32_e32 v5, v36, v8
	v_lshlrev_b32_e32 v3, 3, v8
	; wave barrier
	v_mad_u32_u24 v35, 0x808, v1, v2
	v_min_i32_e32 v2, v4, v5
	v_mad_u32_u24 v0, 0x808, v1, v3
	s_waitcnt vmcnt(3)
	v_cmp_gt_i64_e32 vcc_lo, v[12:13], v[10:11]
	v_cmp_lt_i64_e64 s0, v[12:13], v[10:11]
	s_waitcnt vmcnt(2)
	v_cmp_gt_i64_e64 s1, v[16:17], v[14:15]
	v_cmp_lt_i64_e64 s2, v[16:17], v[14:15]
	s_waitcnt vmcnt(1)
	v_cmp_lt_i64_e64 s3, v[20:21], v[18:19]
	v_cmp_gt_i64_e64 s4, v[20:21], v[18:19]
	s_waitcnt vmcnt(0)
	v_cmp_lt_i64_e64 s5, v[24:25], v[22:23]
	v_cndmask_b32_e32 v6, v11, v13, vcc_lo
	v_cndmask_b32_e64 v11, v11, v13, s0
	v_cndmask_b32_e64 v13, v15, v17, s1
	;; [unrolled: 1-line block ×6, first 2 shown]
	v_cndmask_b32_e32 v5, v10, v12, vcc_lo
	v_cndmask_b32_e64 v10, v10, v12, s0
	v_cndmask_b32_e64 v12, v14, v16, s1
	;; [unrolled: 1-line block ×6, first 2 shown]
	v_cmp_gt_i64_e64 s6, v[24:25], v[22:23]
	v_cmp_gt_i64_e32 vcc_lo, v[14:15], v[5:6]
	v_cmp_lt_i64_e64 s0, v[14:15], v[5:6]
	v_cmp_lt_i64_e64 s1, v[16:17], v[12:13]
	v_cmp_gt_i64_e64 s2, v[16:17], v[12:13]
	v_cmp_lt_i64_e64 s3, v[20:21], v[18:19]
	v_cmp_gt_i64_e64 s4, v[20:21], v[18:19]
	v_cndmask_b32_e64 v23, v23, v25, s6
	v_cndmask_b32_e64 v22, v22, v24, s6
	v_cndmask_b32_e32 v25, v6, v15, vcc_lo
	v_cndmask_b32_e64 v3, v5, v14, s0
	v_cndmask_b32_e64 v7, v13, v17, s1
	;; [unrolled: 1-line block ×4, first 2 shown]
	v_cndmask_b32_e32 v24, v5, v14, vcc_lo
	v_cndmask_b32_e64 v5, v6, v15, s0
	v_cndmask_b32_e64 v6, v12, v16, s1
	;; [unrolled: 1-line block ×6, first 2 shown]
	v_cmp_gt_i64_e32 vcc_lo, v[18:19], v[22:23]
	v_cmp_lt_i64_e64 s0, v[14:15], v[10:11]
	v_cmp_gt_i64_e64 s1, v[6:7], v[24:25]
	v_cmp_lt_i64_e64 s2, v[6:7], v[24:25]
	v_cmp_lt_i64_e64 s3, v[16:17], v[12:13]
	v_cmp_gt_i64_e64 s4, v[16:17], v[12:13]
	v_cndmask_b32_e32 v27, v21, v23, vcc_lo
	v_cndmask_b32_e64 v14, v5, v11, s0
	v_cndmask_b32_e64 v18, v25, v7, s1
	;; [unrolled: 1-line block ×6, first 2 shown]
	v_cndmask_b32_e32 v26, v28, v22, vcc_lo
	v_cndmask_b32_e64 v19, v24, v6, s2
	v_cndmask_b32_e64 v17, v24, v6, s1
	;; [unrolled: 1-line block ×6, first 2 shown]
	v_cndmask_b32_e32 v23, v23, v21, vcc_lo
	v_cndmask_b32_e32 v22, v22, v28, vcc_lo
	v_cmp_gt_i64_e32 vcc_lo, v[19:20], v[13:14]
	v_cmp_lt_i64_e64 s0, v[19:20], v[13:14]
	v_cmp_lt_i64_e64 s1, v[6:7], v[17:18]
	v_cmp_gt_i64_e64 s2, v[6:7], v[17:18]
	v_cmp_lt_i64_e64 s3, v[26:27], v[24:25]
	v_cmp_gt_i64_e64 s4, v[26:27], v[24:25]
	v_cndmask_b32_e32 v15, v14, v20, vcc_lo
	v_cndmask_b32_e64 v20, v14, v20, s0
	v_cndmask_b32_e64 v28, v18, v7, s1
	;; [unrolled: 1-line block ×5, first 2 shown]
	v_cndmask_b32_e32 v14, v13, v19, vcc_lo
	v_cndmask_b32_e64 v19, v13, v19, s0
	v_cndmask_b32_e64 v27, v17, v6, s1
	;; [unrolled: 1-line block ×5, first 2 shown]
	v_cmp_gt_i64_e32 vcc_lo, v[19:20], v[10:11]
	v_cmp_lt_i64_e64 s0, v[19:20], v[10:11]
	v_cmp_gt_i64_e64 s1, v[27:28], v[14:15]
	v_cmp_lt_i64_e64 s2, v[27:28], v[14:15]
	v_cmp_lt_i64_e64 s3, v[17:18], v[6:7]
	v_cmp_gt_i64_e64 s4, v[17:18], v[6:7]
	v_cmp_lt_i64_e64 s5, v[22:23], v[24:25]
	v_cmp_gt_i64_e64 s6, v[22:23], v[24:25]
	v_cndmask_b32_e32 v12, v11, v20, vcc_lo
	v_cndmask_b32_e64 v16, v11, v20, s0
	v_cndmask_b32_e64 v20, v15, v28, s1
	;; [unrolled: 1-line block ×7, first 2 shown]
	v_cndmask_b32_e32 v11, v10, v19, vcc_lo
	v_cndmask_b32_e64 v15, v10, v19, s0
	v_cndmask_b32_e64 v19, v14, v27, s1
	;; [unrolled: 1-line block ×7, first 2 shown]
	v_cmp_gt_i64_e32 vcc_lo, v[25:26], v[11:12]
	v_cmp_lt_i64_e64 s0, v[25:26], v[11:12]
	v_cmp_lt_i64_e64 s1, v[27:28], v[19:20]
	v_cmp_gt_i64_e64 s2, v[27:28], v[19:20]
	v_cmp_lt_i64_e64 s3, v[17:18], v[6:7]
	v_cmp_gt_i64_e64 s4, v[17:18], v[6:7]
	v_cndmask_b32_e32 v13, v12, v26, vcc_lo
	v_cndmask_b32_e64 v21, v12, v26, s0
	v_cndmask_b32_e64 v29, v20, v28, s1
	;; [unrolled: 1-line block ×4, first 2 shown]
	v_cndmask_b32_e32 v12, v11, v25, vcc_lo
	v_cndmask_b32_e64 v20, v11, v25, s0
	v_cndmask_b32_e64 v28, v19, v27, s1
	;; [unrolled: 1-line block ×6, first 2 shown]
	v_cmp_lt_i64_e64 s0, v[25:26], v[15:16]
	v_cmp_lt_i64_e64 s1, v[20:21], v[15:16]
	v_cmp_gt_i64_e64 s2, v[20:21], v[15:16]
	v_cmp_gt_i64_e64 s3, v[28:29], v[12:13]
	v_cmp_lt_i64_e64 s4, v[28:29], v[12:13]
	v_cmp_lt_i64_e64 s5, v[37:38], v[30:31]
	v_cmp_gt_i64_e32 vcc_lo, v[6:7], v[22:23]
	v_cmp_gt_i64_e64 s6, v[37:38], v[30:31]
	v_cndmask_b32_e64 v6, v16, v21, s1
	v_cndmask_b32_e64 v11, v16, v21, s2
	;; [unrolled: 1-line block ×11, first 2 shown]
	v_cndmask_b32_e32 v26, v5, v23, vcc_lo
	v_cndmask_b32_e32 v25, v3, v22, vcc_lo
	;; [unrolled: 1-line block ×3, first 2 shown]
	v_cndmask_b32_e64 v23, v30, v37, s6
	v_cndmask_b32_e64 v7, v20, v15, s0
	v_cndmask_b32_e32 v38, v22, v3, vcc_lo
	v_cndmask_b32_e64 v5, v15, v20, s1
	v_cmp_gt_i64_e32 vcc_lo, v[16:17], v[10:11]
	v_cmp_lt_i64_e64 s0, v[16:17], v[10:11]
	v_cmp_lt_i64_e64 s1, v[18:19], v[13:14]
	v_cmp_gt_i64_e64 s2, v[18:19], v[13:14]
	v_cmp_lt_i64_e64 s3, v[25:26], v[23:24]
	v_cmp_gt_i64_e64 s4, v[25:26], v[23:24]
	v_cndmask_b32_e32 v12, v11, v17, vcc_lo
	v_cndmask_b32_e64 v15, v21, v17, s0
	v_cndmask_b32_e64 v17, v14, v19, s1
	;; [unrolled: 1-line block ×4, first 2 shown]
	v_cndmask_b32_e32 v11, v10, v16, vcc_lo
	v_cndmask_b32_e64 v16, v13, v18, s1
	v_cndmask_b32_e64 v21, v24, v26, s3
	;; [unrolled: 1-line block ×6, first 2 shown]
	s_mov_b32 s0, exec_lo
	ds_write2_b64 v35, v[5:6], v[14:15] offset1:1
	ds_write2_b64 v35, v[11:12], v[16:17] offset0:2 offset1:3
	ds_write2_b64 v35, v[18:19], v[20:21] offset0:4 offset1:5
	;; [unrolled: 1-line block ×3, first 2 shown]
	; wave barrier
	v_cmpx_lt_i32_e32 0, v2
	s_cbranch_execz .LBB176_4
; %bb.1:
	v_lshl_add_u32 v3, v4, 3, v0
	v_mov_b32_e32 v9, 0
	.p2align	6
.LBB176_2:                              ; =>This Inner Loop Header: Depth=1
	v_sub_nc_u32_e32 v5, v2, v9
	v_lshrrev_b32_e32 v5, 1, v5
	v_add_nc_u32_e32 v7, v5, v9
	v_not_b32_e32 v5, v7
	v_lshl_add_u32 v6, v7, 3, v0
	v_lshl_add_u32 v10, v5, 3, v3
	ds_read_b64 v[5:6], v6
	ds_read_b64 v[10:11], v10 offset:64
	s_waitcnt lgkmcnt(0)
	v_cmp_lt_i64_e32 vcc_lo, v[10:11], v[5:6]
	v_add_nc_u32_e32 v5, 1, v7
	v_cndmask_b32_e32 v2, v2, v7, vcc_lo
	v_cndmask_b32_e32 v9, v5, v9, vcc_lo
	v_cmp_ge_i32_e32 vcc_lo, v9, v2
	s_or_b32 s7, vcc_lo, s7
	s_andn2_b32 exec_lo, exec_lo, s7
	s_cbranch_execnz .LBB176_2
; %bb.3:
	s_or_b32 exec_lo, exec_lo, s7
.LBB176_4:
	s_or_b32 exec_lo, exec_lo, s0
	v_mul_u32_u24_e32 v33, 0x808, v1
	v_add_nc_u32_e32 v1, v8, v4
	v_lshl_add_u32 v6, v9, 3, v0
	v_add_nc_u32_e32 v4, v36, v4
	v_add_nc_u32_e32 v37, 16, v8
	v_cmp_lt_i32_e64 s0, 7, v9
	v_sub_nc_u32_e32 v1, v1, v9
	v_sub_nc_u32_e32 v10, v4, v9
                                        ; implicit-def: $vgpr4_vgpr5
	v_lshl_add_u32 v11, v1, 3, v33
	ds_read_b64 v[0:1], v6
	ds_read_b64 v[2:3], v11 offset:64
	v_cmp_gt_i32_e64 s1, v37, v10
	s_waitcnt lgkmcnt(0)
	v_cmp_lt_i64_e32 vcc_lo, v[2:3], v[0:1]
	s_or_b32 s0, s0, vcc_lo
	s_and_b32 vcc_lo, s1, s0
	s_xor_b32 s0, vcc_lo, -1
	s_and_saveexec_b32 s1, s0
	s_xor_b32 s0, exec_lo, s1
; %bb.5:
	ds_read_b64 v[4:5], v6 offset:8
                                        ; implicit-def: $vgpr11
; %bb.6:
	s_or_saveexec_b32 s0, s0
	v_mov_b32_e32 v7, v3
	v_mov_b32_e32 v6, v2
	s_xor_b32 exec_lo, exec_lo, s0
	s_cbranch_execz .LBB176_8
; %bb.7:
	ds_read_b64 v[6:7], v11 offset:72
	s_waitcnt lgkmcnt(1)
	v_mov_b32_e32 v5, v1
	v_mov_b32_e32 v4, v0
.LBB176_8:
	s_or_b32 exec_lo, exec_lo, s0
	v_add_nc_u32_e32 v8, v9, v8
	v_add_nc_u32_e32 v11, 1, v10
	s_waitcnt lgkmcnt(0)
	v_cmp_lt_i64_e64 s0, v[6:7], v[4:5]
	v_add_nc_u32_e32 v9, 1, v8
	v_cndmask_b32_e32 v12, v10, v11, vcc_lo
	v_cndmask_b32_e32 v13, v9, v8, vcc_lo
	v_cmp_lt_i32_e64 s2, v12, v37
                                        ; implicit-def: $vgpr8_vgpr9
	v_cmp_ge_i32_e64 s1, v13, v36
	s_or_b32 s0, s1, s0
	s_and_b32 s0, s2, s0
	s_xor_b32 s1, s0, -1
	s_and_saveexec_b32 s2, s1
	s_xor_b32 s1, exec_lo, s2
; %bb.9:
	v_lshl_add_u32 v8, v13, 3, v33
	ds_read_b64 v[8:9], v8 offset:8
; %bb.10:
	s_or_saveexec_b32 s1, s1
	v_mov_b32_e32 v11, v7
	v_mov_b32_e32 v10, v6
	s_xor_b32 exec_lo, exec_lo, s1
	s_cbranch_execz .LBB176_12
; %bb.11:
	s_waitcnt lgkmcnt(0)
	v_lshl_add_u32 v8, v12, 3, v33
	ds_read_b64 v[10:11], v8 offset:8
	v_mov_b32_e32 v9, v5
	v_mov_b32_e32 v8, v4
.LBB176_12:
	s_or_b32 exec_lo, exec_lo, s1
	v_add_nc_u32_e32 v14, 1, v13
	v_add_nc_u32_e32 v15, 1, v12
	s_waitcnt lgkmcnt(0)
	v_cmp_lt_i64_e64 s1, v[10:11], v[8:9]
	v_cndmask_b32_e64 v17, v14, v13, s0
	v_cndmask_b32_e64 v16, v12, v15, s0
                                        ; implicit-def: $vgpr12_vgpr13
	v_cmp_ge_i32_e64 s2, v17, v36
	v_cmp_lt_i32_e64 s3, v16, v37
	s_or_b32 s1, s2, s1
	s_and_b32 s1, s3, s1
	s_xor_b32 s2, s1, -1
	s_and_saveexec_b32 s3, s2
	s_xor_b32 s2, exec_lo, s3
; %bb.13:
	v_lshl_add_u32 v12, v17, 3, v33
	ds_read_b64 v[12:13], v12 offset:8
; %bb.14:
	s_or_saveexec_b32 s2, s2
	v_mov_b32_e32 v15, v11
	v_mov_b32_e32 v14, v10
	s_xor_b32 exec_lo, exec_lo, s2
	s_cbranch_execz .LBB176_16
; %bb.15:
	s_waitcnt lgkmcnt(0)
	v_lshl_add_u32 v12, v16, 3, v33
	ds_read_b64 v[14:15], v12 offset:8
	v_mov_b32_e32 v13, v9
	v_mov_b32_e32 v12, v8
.LBB176_16:
	s_or_b32 exec_lo, exec_lo, s2
	v_add_nc_u32_e32 v18, 1, v17
	v_add_nc_u32_e32 v19, 1, v16
	s_waitcnt lgkmcnt(0)
	v_cmp_lt_i64_e64 s2, v[14:15], v[12:13]
	v_cndmask_b32_e64 v21, v18, v17, s1
	v_cndmask_b32_e64 v20, v16, v19, s1
                                        ; implicit-def: $vgpr16_vgpr17
	v_cmp_ge_i32_e64 s3, v21, v36
	v_cmp_lt_i32_e64 s4, v20, v37
	s_or_b32 s2, s3, s2
	s_and_b32 s2, s4, s2
	s_xor_b32 s3, s2, -1
	s_and_saveexec_b32 s4, s3
	s_xor_b32 s3, exec_lo, s4
; %bb.17:
	v_lshl_add_u32 v16, v21, 3, v33
	ds_read_b64 v[16:17], v16 offset:8
; %bb.18:
	s_or_saveexec_b32 s3, s3
	v_mov_b32_e32 v19, v15
	v_mov_b32_e32 v18, v14
	s_xor_b32 exec_lo, exec_lo, s3
	s_cbranch_execz .LBB176_20
; %bb.19:
	s_waitcnt lgkmcnt(0)
	v_lshl_add_u32 v16, v20, 3, v33
	ds_read_b64 v[18:19], v16 offset:8
	v_mov_b32_e32 v17, v13
	v_mov_b32_e32 v16, v12
.LBB176_20:
	s_or_b32 exec_lo, exec_lo, s3
	v_add_nc_u32_e32 v22, 1, v21
	v_add_nc_u32_e32 v23, 1, v20
	s_waitcnt lgkmcnt(0)
	v_cmp_lt_i64_e64 s3, v[18:19], v[16:17]
	v_cndmask_b32_e64 v25, v22, v21, s2
	v_cndmask_b32_e64 v24, v20, v23, s2
                                        ; implicit-def: $vgpr20_vgpr21
	v_cmp_ge_i32_e64 s4, v25, v36
	v_cmp_lt_i32_e64 s5, v24, v37
	s_or_b32 s3, s4, s3
	s_and_b32 s3, s5, s3
	s_xor_b32 s4, s3, -1
	s_and_saveexec_b32 s5, s4
	s_xor_b32 s4, exec_lo, s5
; %bb.21:
	v_lshl_add_u32 v20, v25, 3, v33
	ds_read_b64 v[20:21], v20 offset:8
; %bb.22:
	s_or_saveexec_b32 s4, s4
	v_mov_b32_e32 v23, v19
	v_mov_b32_e32 v22, v18
	s_xor_b32 exec_lo, exec_lo, s4
	s_cbranch_execz .LBB176_24
; %bb.23:
	s_waitcnt lgkmcnt(0)
	v_lshl_add_u32 v20, v24, 3, v33
	ds_read_b64 v[22:23], v20 offset:8
	v_mov_b32_e32 v21, v17
	v_mov_b32_e32 v20, v16
.LBB176_24:
	s_or_b32 exec_lo, exec_lo, s4
	v_add_nc_u32_e32 v26, 1, v25
	v_add_nc_u32_e32 v27, 1, v24
	s_waitcnt lgkmcnt(0)
	v_cmp_lt_i64_e64 s4, v[22:23], v[20:21]
                                        ; implicit-def: $vgpr28_vgpr29
	v_cndmask_b32_e64 v25, v26, v25, s3
	v_cndmask_b32_e64 v24, v24, v27, s3
	v_cmp_ge_i32_e64 s5, v25, v36
	v_cmp_lt_i32_e64 s6, v24, v37
	s_or_b32 s4, s5, s4
	s_and_b32 s4, s6, s4
	s_xor_b32 s5, s4, -1
	s_and_saveexec_b32 s6, s5
	s_xor_b32 s5, exec_lo, s6
; %bb.25:
	v_lshl_add_u32 v26, v25, 3, v33
	ds_read_b64 v[28:29], v26 offset:8
; %bb.26:
	s_or_saveexec_b32 s5, s5
	v_mov_b32_e32 v31, v23
	v_mov_b32_e32 v30, v22
	s_xor_b32 exec_lo, exec_lo, s5
	s_cbranch_execz .LBB176_28
; %bb.27:
	v_lshl_add_u32 v26, v24, 3, v33
	s_waitcnt lgkmcnt(0)
	v_mov_b32_e32 v29, v21
	v_mov_b32_e32 v28, v20
	ds_read_b64 v[30:31], v26 offset:8
.LBB176_28:
	s_or_b32 exec_lo, exec_lo, s5
	v_add_nc_u32_e32 v26, 1, v25
	v_add_nc_u32_e32 v27, 1, v24
	s_waitcnt lgkmcnt(0)
	v_cmp_lt_i64_e64 s5, v[30:31], v[28:29]
	v_cndmask_b32_e64 v38, v26, v25, s4
	v_cndmask_b32_e64 v39, v24, v27, s4
                                        ; implicit-def: $vgpr24_vgpr25
	v_cmp_ge_i32_e64 s6, v38, v36
	v_cmp_lt_i32_e64 s7, v39, v37
	s_or_b32 s5, s6, s5
	s_and_b32 s5, s7, s5
	s_xor_b32 s6, s5, -1
	s_and_saveexec_b32 s7, s6
	s_xor_b32 s6, exec_lo, s7
; %bb.29:
	v_lshl_add_u32 v24, v38, 3, v33
	ds_read_b64 v[24:25], v24 offset:8
; %bb.30:
	s_or_saveexec_b32 s6, s6
	v_mov_b32_e32 v26, v30
	v_mov_b32_e32 v27, v31
	s_xor_b32 exec_lo, exec_lo, s6
	s_cbranch_execz .LBB176_32
; %bb.31:
	s_waitcnt lgkmcnt(0)
	v_lshl_add_u32 v24, v39, 3, v33
	ds_read_b64 v[26:27], v24 offset:8
	v_mov_b32_e32 v24, v28
	v_mov_b32_e32 v25, v29
.LBB176_32:
	s_or_b32 exec_lo, exec_lo, s6
	v_add_nc_u32_e32 v41, 1, v38
	v_add_nc_u32_e32 v40, 1, v39
	v_cndmask_b32_e64 v29, v29, v31, s5
	v_cndmask_b32_e64 v10, v8, v10, s1
	v_and_b32_e32 v8, 0xe0, v34
	v_cndmask_b32_e64 v31, v41, v38, s5
	v_cndmask_b32_e64 v28, v28, v30, s5
	;; [unrolled: 1-line block ×5, first 2 shown]
	v_cmp_ge_i32_e64 s1, v31, v36
	v_or_b32_e32 v36, 16, v8
	v_cndmask_b32_e64 v6, v4, v6, s0
	s_waitcnt lgkmcnt(0)
	v_cmp_lt_i64_e64 s0, v[26:27], v[24:25]
	v_cndmask_b32_e64 v13, v13, v15, s2
	v_cndmask_b32_e64 v12, v12, v14, s2
	v_cmp_lt_i32_e64 s2, v30, v37
	v_cndmask_b32_e32 v2, v0, v2, vcc_lo
	v_and_b32_e32 v4, 24, v34
	v_sub_nc_u32_e32 v0, v36, v8
	s_or_b32 s0, s1, s0
	v_cndmask_b32_e32 v3, v1, v3, vcc_lo
	s_and_b32 vcc_lo, s2, s0
	v_cndmask_b32_e64 v21, v21, v23, s4
	v_cndmask_b32_e64 v20, v20, v22, s4
	;; [unrolled: 1-line block ×4, first 2 shown]
	v_sub_nc_u32_e64 v9, v4, 16 clamp
	v_min_i32_e32 v1, v4, v0
	v_lshl_add_u32 v0, v8, 3, v33
	v_cndmask_b32_e32 v15, v25, v27, vcc_lo
	v_cndmask_b32_e32 v14, v24, v26, vcc_lo
	s_mov_b32 s0, exec_lo
	; wave barrier
	ds_write2_b64 v35, v[2:3], v[6:7] offset1:1
	ds_write2_b64 v35, v[10:11], v[12:13] offset0:2 offset1:3
	ds_write2_b64 v35, v[16:17], v[20:21] offset0:4 offset1:5
	;; [unrolled: 1-line block ×3, first 2 shown]
	; wave barrier
	v_cmpx_lt_i32_e64 v9, v1
	s_cbranch_execz .LBB176_36
; %bb.33:
	v_lshl_add_u32 v2, v4, 3, v0
	s_mov_b32 s1, 0
	.p2align	6
.LBB176_34:                             ; =>This Inner Loop Header: Depth=1
	v_sub_nc_u32_e32 v3, v1, v9
	v_lshrrev_b32_e32 v3, 1, v3
	v_add_nc_u32_e32 v3, v3, v9
	v_not_b32_e32 v5, v3
	v_lshl_add_u32 v6, v3, 3, v0
	v_lshl_add_u32 v7, v5, 3, v2
	ds_read_b64 v[5:6], v6
	ds_read_b64 v[10:11], v7 offset:128
	s_waitcnt lgkmcnt(0)
	v_cmp_lt_i64_e32 vcc_lo, v[10:11], v[5:6]
	v_add_nc_u32_e32 v5, 1, v3
	v_cndmask_b32_e32 v1, v1, v3, vcc_lo
	v_cndmask_b32_e32 v9, v5, v9, vcc_lo
	v_cmp_ge_i32_e32 vcc_lo, v9, v1
	s_or_b32 s1, vcc_lo, s1
	s_andn2_b32 exec_lo, exec_lo, s1
	s_cbranch_execnz .LBB176_34
; %bb.35:
	s_or_b32 exec_lo, exec_lo, s1
.LBB176_36:
	s_or_b32 exec_lo, exec_lo, s0
	v_add_nc_u32_e32 v1, v8, v4
	v_lshl_add_u32 v6, v9, 3, v0
	v_add_nc_u32_e32 v4, v36, v4
	v_add_nc_u32_e32 v37, 32, v8
	v_cmp_lt_i32_e64 s0, 15, v9
	v_sub_nc_u32_e32 v1, v1, v9
	v_sub_nc_u32_e32 v10, v4, v9
                                        ; implicit-def: $vgpr4_vgpr5
	v_lshl_add_u32 v11, v1, 3, v33
	ds_read_b64 v[0:1], v6
	ds_read_b64 v[2:3], v11 offset:128
	v_cmp_gt_i32_e64 s1, v37, v10
	s_waitcnt lgkmcnt(0)
	v_cmp_lt_i64_e32 vcc_lo, v[2:3], v[0:1]
	s_or_b32 s0, s0, vcc_lo
	s_and_b32 vcc_lo, s1, s0
	s_xor_b32 s0, vcc_lo, -1
	s_and_saveexec_b32 s1, s0
	s_xor_b32 s0, exec_lo, s1
; %bb.37:
	ds_read_b64 v[4:5], v6 offset:8
                                        ; implicit-def: $vgpr11
; %bb.38:
	s_or_saveexec_b32 s0, s0
	v_mov_b32_e32 v7, v3
	v_mov_b32_e32 v6, v2
	s_xor_b32 exec_lo, exec_lo, s0
	s_cbranch_execz .LBB176_40
; %bb.39:
	ds_read_b64 v[6:7], v11 offset:136
	s_waitcnt lgkmcnt(1)
	v_mov_b32_e32 v5, v1
	v_mov_b32_e32 v4, v0
.LBB176_40:
	s_or_b32 exec_lo, exec_lo, s0
	v_add_nc_u32_e32 v8, v9, v8
	v_add_nc_u32_e32 v11, 1, v10
	s_waitcnt lgkmcnt(0)
	v_cmp_lt_i64_e64 s0, v[6:7], v[4:5]
	v_add_nc_u32_e32 v9, 1, v8
	v_cndmask_b32_e32 v12, v10, v11, vcc_lo
	v_cndmask_b32_e32 v13, v9, v8, vcc_lo
	v_cmp_lt_i32_e64 s2, v12, v37
                                        ; implicit-def: $vgpr8_vgpr9
	v_cmp_ge_i32_e64 s1, v13, v36
	s_or_b32 s0, s1, s0
	s_and_b32 s0, s2, s0
	s_xor_b32 s1, s0, -1
	s_and_saveexec_b32 s2, s1
	s_xor_b32 s1, exec_lo, s2
; %bb.41:
	v_lshl_add_u32 v8, v13, 3, v33
	ds_read_b64 v[8:9], v8 offset:8
; %bb.42:
	s_or_saveexec_b32 s1, s1
	v_mov_b32_e32 v11, v7
	v_mov_b32_e32 v10, v6
	s_xor_b32 exec_lo, exec_lo, s1
	s_cbranch_execz .LBB176_44
; %bb.43:
	s_waitcnt lgkmcnt(0)
	v_lshl_add_u32 v8, v12, 3, v33
	ds_read_b64 v[10:11], v8 offset:8
	v_mov_b32_e32 v9, v5
	v_mov_b32_e32 v8, v4
.LBB176_44:
	s_or_b32 exec_lo, exec_lo, s1
	v_add_nc_u32_e32 v14, 1, v13
	v_add_nc_u32_e32 v15, 1, v12
	s_waitcnt lgkmcnt(0)
	v_cmp_lt_i64_e64 s1, v[10:11], v[8:9]
	v_cndmask_b32_e64 v17, v14, v13, s0
	v_cndmask_b32_e64 v16, v12, v15, s0
                                        ; implicit-def: $vgpr12_vgpr13
	v_cmp_ge_i32_e64 s2, v17, v36
	v_cmp_lt_i32_e64 s3, v16, v37
	s_or_b32 s1, s2, s1
	s_and_b32 s1, s3, s1
	s_xor_b32 s2, s1, -1
	s_and_saveexec_b32 s3, s2
	s_xor_b32 s2, exec_lo, s3
; %bb.45:
	v_lshl_add_u32 v12, v17, 3, v33
	ds_read_b64 v[12:13], v12 offset:8
; %bb.46:
	s_or_saveexec_b32 s2, s2
	v_mov_b32_e32 v15, v11
	v_mov_b32_e32 v14, v10
	s_xor_b32 exec_lo, exec_lo, s2
	s_cbranch_execz .LBB176_48
; %bb.47:
	s_waitcnt lgkmcnt(0)
	v_lshl_add_u32 v12, v16, 3, v33
	ds_read_b64 v[14:15], v12 offset:8
	v_mov_b32_e32 v13, v9
	v_mov_b32_e32 v12, v8
.LBB176_48:
	s_or_b32 exec_lo, exec_lo, s2
	v_add_nc_u32_e32 v18, 1, v17
	v_add_nc_u32_e32 v19, 1, v16
	s_waitcnt lgkmcnt(0)
	v_cmp_lt_i64_e64 s2, v[14:15], v[12:13]
	v_cndmask_b32_e64 v21, v18, v17, s1
	v_cndmask_b32_e64 v20, v16, v19, s1
                                        ; implicit-def: $vgpr16_vgpr17
	v_cmp_ge_i32_e64 s3, v21, v36
	v_cmp_lt_i32_e64 s4, v20, v37
	s_or_b32 s2, s3, s2
	s_and_b32 s2, s4, s2
	s_xor_b32 s3, s2, -1
	s_and_saveexec_b32 s4, s3
	s_xor_b32 s3, exec_lo, s4
; %bb.49:
	v_lshl_add_u32 v16, v21, 3, v33
	ds_read_b64 v[16:17], v16 offset:8
; %bb.50:
	s_or_saveexec_b32 s3, s3
	v_mov_b32_e32 v19, v15
	v_mov_b32_e32 v18, v14
	s_xor_b32 exec_lo, exec_lo, s3
	s_cbranch_execz .LBB176_52
; %bb.51:
	s_waitcnt lgkmcnt(0)
	v_lshl_add_u32 v16, v20, 3, v33
	ds_read_b64 v[18:19], v16 offset:8
	v_mov_b32_e32 v17, v13
	v_mov_b32_e32 v16, v12
.LBB176_52:
	s_or_b32 exec_lo, exec_lo, s3
	v_add_nc_u32_e32 v22, 1, v21
	v_add_nc_u32_e32 v23, 1, v20
	s_waitcnt lgkmcnt(0)
	v_cmp_lt_i64_e64 s3, v[18:19], v[16:17]
	v_cndmask_b32_e64 v25, v22, v21, s2
	v_cndmask_b32_e64 v24, v20, v23, s2
                                        ; implicit-def: $vgpr20_vgpr21
	v_cmp_ge_i32_e64 s4, v25, v36
	v_cmp_lt_i32_e64 s5, v24, v37
	s_or_b32 s3, s4, s3
	s_and_b32 s3, s5, s3
	s_xor_b32 s4, s3, -1
	s_and_saveexec_b32 s5, s4
	s_xor_b32 s4, exec_lo, s5
; %bb.53:
	v_lshl_add_u32 v20, v25, 3, v33
	ds_read_b64 v[20:21], v20 offset:8
; %bb.54:
	s_or_saveexec_b32 s4, s4
	v_mov_b32_e32 v23, v19
	v_mov_b32_e32 v22, v18
	s_xor_b32 exec_lo, exec_lo, s4
	s_cbranch_execz .LBB176_56
; %bb.55:
	s_waitcnt lgkmcnt(0)
	v_lshl_add_u32 v20, v24, 3, v33
	ds_read_b64 v[22:23], v20 offset:8
	v_mov_b32_e32 v21, v17
	v_mov_b32_e32 v20, v16
.LBB176_56:
	s_or_b32 exec_lo, exec_lo, s4
	v_add_nc_u32_e32 v26, 1, v25
	v_add_nc_u32_e32 v27, 1, v24
	s_waitcnt lgkmcnt(0)
	v_cmp_lt_i64_e64 s4, v[22:23], v[20:21]
                                        ; implicit-def: $vgpr28_vgpr29
	v_cndmask_b32_e64 v25, v26, v25, s3
	v_cndmask_b32_e64 v24, v24, v27, s3
	v_cmp_ge_i32_e64 s5, v25, v36
	v_cmp_lt_i32_e64 s6, v24, v37
	s_or_b32 s4, s5, s4
	s_and_b32 s4, s6, s4
	s_xor_b32 s5, s4, -1
	s_and_saveexec_b32 s6, s5
	s_xor_b32 s5, exec_lo, s6
; %bb.57:
	v_lshl_add_u32 v26, v25, 3, v33
	ds_read_b64 v[28:29], v26 offset:8
; %bb.58:
	s_or_saveexec_b32 s5, s5
	v_mov_b32_e32 v31, v23
	v_mov_b32_e32 v30, v22
	s_xor_b32 exec_lo, exec_lo, s5
	s_cbranch_execz .LBB176_60
; %bb.59:
	v_lshl_add_u32 v26, v24, 3, v33
	s_waitcnt lgkmcnt(0)
	v_mov_b32_e32 v29, v21
	v_mov_b32_e32 v28, v20
	ds_read_b64 v[30:31], v26 offset:8
.LBB176_60:
	s_or_b32 exec_lo, exec_lo, s5
	v_add_nc_u32_e32 v26, 1, v25
	v_add_nc_u32_e32 v27, 1, v24
	s_waitcnt lgkmcnt(0)
	v_cmp_lt_i64_e64 s5, v[30:31], v[28:29]
	v_cndmask_b32_e64 v38, v26, v25, s4
	v_cndmask_b32_e64 v39, v24, v27, s4
                                        ; implicit-def: $vgpr24_vgpr25
	v_cmp_ge_i32_e64 s6, v38, v36
	v_cmp_lt_i32_e64 s7, v39, v37
	s_or_b32 s5, s6, s5
	s_and_b32 s5, s7, s5
	s_xor_b32 s6, s5, -1
	s_and_saveexec_b32 s7, s6
	s_xor_b32 s6, exec_lo, s7
; %bb.61:
	v_lshl_add_u32 v24, v38, 3, v33
	ds_read_b64 v[24:25], v24 offset:8
; %bb.62:
	s_or_saveexec_b32 s6, s6
	v_mov_b32_e32 v26, v30
	v_mov_b32_e32 v27, v31
	s_xor_b32 exec_lo, exec_lo, s6
	s_cbranch_execz .LBB176_64
; %bb.63:
	s_waitcnt lgkmcnt(0)
	v_lshl_add_u32 v24, v39, 3, v33
	ds_read_b64 v[26:27], v24 offset:8
	v_mov_b32_e32 v24, v28
	v_mov_b32_e32 v25, v29
.LBB176_64:
	s_or_b32 exec_lo, exec_lo, s6
	v_add_nc_u32_e32 v41, 1, v38
	v_add_nc_u32_e32 v40, 1, v39
	v_cndmask_b32_e64 v29, v29, v31, s5
	v_cndmask_b32_e64 v10, v8, v10, s1
	v_and_b32_e32 v8, 0xc0, v34
	v_cndmask_b32_e64 v31, v41, v38, s5
	v_cndmask_b32_e64 v28, v28, v30, s5
	;; [unrolled: 1-line block ×5, first 2 shown]
	v_cmp_ge_i32_e64 s1, v31, v36
	v_or_b32_e32 v36, 32, v8
	v_cndmask_b32_e64 v6, v4, v6, s0
	s_waitcnt lgkmcnt(0)
	v_cmp_lt_i64_e64 s0, v[26:27], v[24:25]
	v_cndmask_b32_e64 v13, v13, v15, s2
	v_cndmask_b32_e64 v12, v12, v14, s2
	v_cmp_lt_i32_e64 s2, v30, v37
	v_cndmask_b32_e32 v2, v0, v2, vcc_lo
	v_and_b32_e32 v4, 56, v34
	v_sub_nc_u32_e32 v0, v36, v8
	s_or_b32 s0, s1, s0
	v_cndmask_b32_e32 v3, v1, v3, vcc_lo
	s_and_b32 vcc_lo, s2, s0
	v_cndmask_b32_e64 v21, v21, v23, s4
	v_cndmask_b32_e64 v20, v20, v22, s4
	;; [unrolled: 1-line block ×4, first 2 shown]
	v_sub_nc_u32_e64 v9, v4, 32 clamp
	v_min_i32_e32 v1, v4, v0
	v_lshl_add_u32 v0, v8, 3, v33
	v_cndmask_b32_e32 v15, v25, v27, vcc_lo
	v_cndmask_b32_e32 v14, v24, v26, vcc_lo
	s_mov_b32 s0, exec_lo
	; wave barrier
	ds_write2_b64 v35, v[2:3], v[6:7] offset1:1
	ds_write2_b64 v35, v[10:11], v[12:13] offset0:2 offset1:3
	ds_write2_b64 v35, v[16:17], v[20:21] offset0:4 offset1:5
	;; [unrolled: 1-line block ×3, first 2 shown]
	; wave barrier
	v_cmpx_lt_i32_e64 v9, v1
	s_cbranch_execz .LBB176_68
; %bb.65:
	v_lshl_add_u32 v2, v4, 3, v0
	s_mov_b32 s1, 0
	.p2align	6
.LBB176_66:                             ; =>This Inner Loop Header: Depth=1
	v_sub_nc_u32_e32 v3, v1, v9
	v_lshrrev_b32_e32 v3, 1, v3
	v_add_nc_u32_e32 v3, v3, v9
	v_not_b32_e32 v5, v3
	v_lshl_add_u32 v6, v3, 3, v0
	v_lshl_add_u32 v7, v5, 3, v2
	ds_read_b64 v[5:6], v6
	ds_read_b64 v[10:11], v7 offset:256
	s_waitcnt lgkmcnt(0)
	v_cmp_lt_i64_e32 vcc_lo, v[10:11], v[5:6]
	v_add_nc_u32_e32 v5, 1, v3
	v_cndmask_b32_e32 v1, v1, v3, vcc_lo
	v_cndmask_b32_e32 v9, v5, v9, vcc_lo
	v_cmp_ge_i32_e32 vcc_lo, v9, v1
	s_or_b32 s1, vcc_lo, s1
	s_andn2_b32 exec_lo, exec_lo, s1
	s_cbranch_execnz .LBB176_66
; %bb.67:
	s_or_b32 exec_lo, exec_lo, s1
.LBB176_68:
	s_or_b32 exec_lo, exec_lo, s0
	v_add_nc_u32_e32 v1, v8, v4
	v_lshl_add_u32 v6, v9, 3, v0
	v_add_nc_u32_e32 v4, v36, v4
	v_add_nc_u32_e32 v37, 64, v8
	v_cmp_lt_i32_e64 s0, 31, v9
	v_sub_nc_u32_e32 v1, v1, v9
	v_sub_nc_u32_e32 v10, v4, v9
                                        ; implicit-def: $vgpr4_vgpr5
	v_lshl_add_u32 v11, v1, 3, v33
	ds_read_b64 v[0:1], v6
	ds_read_b64 v[2:3], v11 offset:256
	v_cmp_gt_i32_e64 s1, v37, v10
	s_waitcnt lgkmcnt(0)
	v_cmp_lt_i64_e32 vcc_lo, v[2:3], v[0:1]
	s_or_b32 s0, s0, vcc_lo
	s_and_b32 vcc_lo, s1, s0
	s_xor_b32 s0, vcc_lo, -1
	s_and_saveexec_b32 s1, s0
	s_xor_b32 s0, exec_lo, s1
; %bb.69:
	ds_read_b64 v[4:5], v6 offset:8
                                        ; implicit-def: $vgpr11
; %bb.70:
	s_or_saveexec_b32 s0, s0
	v_mov_b32_e32 v7, v3
	v_mov_b32_e32 v6, v2
	s_xor_b32 exec_lo, exec_lo, s0
	s_cbranch_execz .LBB176_72
; %bb.71:
	ds_read_b64 v[6:7], v11 offset:264
	s_waitcnt lgkmcnt(1)
	v_mov_b32_e32 v5, v1
	v_mov_b32_e32 v4, v0
.LBB176_72:
	s_or_b32 exec_lo, exec_lo, s0
	v_add_nc_u32_e32 v8, v9, v8
	v_add_nc_u32_e32 v11, 1, v10
	s_waitcnt lgkmcnt(0)
	v_cmp_lt_i64_e64 s0, v[6:7], v[4:5]
	v_add_nc_u32_e32 v9, 1, v8
	v_cndmask_b32_e32 v12, v10, v11, vcc_lo
	v_cndmask_b32_e32 v13, v9, v8, vcc_lo
	v_cmp_lt_i32_e64 s2, v12, v37
                                        ; implicit-def: $vgpr8_vgpr9
	v_cmp_ge_i32_e64 s1, v13, v36
	s_or_b32 s0, s1, s0
	s_and_b32 s0, s2, s0
	s_xor_b32 s1, s0, -1
	s_and_saveexec_b32 s2, s1
	s_xor_b32 s1, exec_lo, s2
; %bb.73:
	v_lshl_add_u32 v8, v13, 3, v33
	ds_read_b64 v[8:9], v8 offset:8
; %bb.74:
	s_or_saveexec_b32 s1, s1
	v_mov_b32_e32 v11, v7
	v_mov_b32_e32 v10, v6
	s_xor_b32 exec_lo, exec_lo, s1
	s_cbranch_execz .LBB176_76
; %bb.75:
	s_waitcnt lgkmcnt(0)
	v_lshl_add_u32 v8, v12, 3, v33
	ds_read_b64 v[10:11], v8 offset:8
	v_mov_b32_e32 v9, v5
	v_mov_b32_e32 v8, v4
.LBB176_76:
	s_or_b32 exec_lo, exec_lo, s1
	v_add_nc_u32_e32 v14, 1, v13
	v_add_nc_u32_e32 v15, 1, v12
	s_waitcnt lgkmcnt(0)
	v_cmp_lt_i64_e64 s1, v[10:11], v[8:9]
	v_cndmask_b32_e64 v17, v14, v13, s0
	v_cndmask_b32_e64 v16, v12, v15, s0
                                        ; implicit-def: $vgpr12_vgpr13
	v_cmp_ge_i32_e64 s2, v17, v36
	v_cmp_lt_i32_e64 s3, v16, v37
	s_or_b32 s1, s2, s1
	s_and_b32 s1, s3, s1
	s_xor_b32 s2, s1, -1
	s_and_saveexec_b32 s3, s2
	s_xor_b32 s2, exec_lo, s3
; %bb.77:
	v_lshl_add_u32 v12, v17, 3, v33
	ds_read_b64 v[12:13], v12 offset:8
; %bb.78:
	s_or_saveexec_b32 s2, s2
	v_mov_b32_e32 v15, v11
	v_mov_b32_e32 v14, v10
	s_xor_b32 exec_lo, exec_lo, s2
	s_cbranch_execz .LBB176_80
; %bb.79:
	s_waitcnt lgkmcnt(0)
	v_lshl_add_u32 v12, v16, 3, v33
	ds_read_b64 v[14:15], v12 offset:8
	v_mov_b32_e32 v13, v9
	v_mov_b32_e32 v12, v8
.LBB176_80:
	s_or_b32 exec_lo, exec_lo, s2
	v_add_nc_u32_e32 v18, 1, v17
	v_add_nc_u32_e32 v19, 1, v16
	s_waitcnt lgkmcnt(0)
	v_cmp_lt_i64_e64 s2, v[14:15], v[12:13]
	v_cndmask_b32_e64 v21, v18, v17, s1
	v_cndmask_b32_e64 v20, v16, v19, s1
                                        ; implicit-def: $vgpr16_vgpr17
	v_cmp_ge_i32_e64 s3, v21, v36
	v_cmp_lt_i32_e64 s4, v20, v37
	s_or_b32 s2, s3, s2
	s_and_b32 s2, s4, s2
	s_xor_b32 s3, s2, -1
	s_and_saveexec_b32 s4, s3
	s_xor_b32 s3, exec_lo, s4
; %bb.81:
	v_lshl_add_u32 v16, v21, 3, v33
	ds_read_b64 v[16:17], v16 offset:8
; %bb.82:
	s_or_saveexec_b32 s3, s3
	v_mov_b32_e32 v19, v15
	v_mov_b32_e32 v18, v14
	s_xor_b32 exec_lo, exec_lo, s3
	s_cbranch_execz .LBB176_84
; %bb.83:
	s_waitcnt lgkmcnt(0)
	v_lshl_add_u32 v16, v20, 3, v33
	ds_read_b64 v[18:19], v16 offset:8
	v_mov_b32_e32 v17, v13
	v_mov_b32_e32 v16, v12
.LBB176_84:
	s_or_b32 exec_lo, exec_lo, s3
	v_add_nc_u32_e32 v22, 1, v21
	v_add_nc_u32_e32 v23, 1, v20
	s_waitcnt lgkmcnt(0)
	v_cmp_lt_i64_e64 s3, v[18:19], v[16:17]
	v_cndmask_b32_e64 v25, v22, v21, s2
	v_cndmask_b32_e64 v24, v20, v23, s2
                                        ; implicit-def: $vgpr20_vgpr21
	v_cmp_ge_i32_e64 s4, v25, v36
	v_cmp_lt_i32_e64 s5, v24, v37
	s_or_b32 s3, s4, s3
	s_and_b32 s3, s5, s3
	s_xor_b32 s4, s3, -1
	s_and_saveexec_b32 s5, s4
	s_xor_b32 s4, exec_lo, s5
; %bb.85:
	v_lshl_add_u32 v20, v25, 3, v33
	ds_read_b64 v[20:21], v20 offset:8
; %bb.86:
	s_or_saveexec_b32 s4, s4
	v_mov_b32_e32 v23, v19
	v_mov_b32_e32 v22, v18
	s_xor_b32 exec_lo, exec_lo, s4
	s_cbranch_execz .LBB176_88
; %bb.87:
	s_waitcnt lgkmcnt(0)
	v_lshl_add_u32 v20, v24, 3, v33
	ds_read_b64 v[22:23], v20 offset:8
	v_mov_b32_e32 v21, v17
	v_mov_b32_e32 v20, v16
.LBB176_88:
	s_or_b32 exec_lo, exec_lo, s4
	v_add_nc_u32_e32 v26, 1, v25
	v_add_nc_u32_e32 v27, 1, v24
	s_waitcnt lgkmcnt(0)
	v_cmp_lt_i64_e64 s4, v[22:23], v[20:21]
                                        ; implicit-def: $vgpr28_vgpr29
	v_cndmask_b32_e64 v25, v26, v25, s3
	v_cndmask_b32_e64 v24, v24, v27, s3
	v_cmp_ge_i32_e64 s5, v25, v36
	v_cmp_lt_i32_e64 s6, v24, v37
	s_or_b32 s4, s5, s4
	s_and_b32 s4, s6, s4
	s_xor_b32 s5, s4, -1
	s_and_saveexec_b32 s6, s5
	s_xor_b32 s5, exec_lo, s6
; %bb.89:
	v_lshl_add_u32 v26, v25, 3, v33
	ds_read_b64 v[28:29], v26 offset:8
; %bb.90:
	s_or_saveexec_b32 s5, s5
	v_mov_b32_e32 v31, v23
	v_mov_b32_e32 v30, v22
	s_xor_b32 exec_lo, exec_lo, s5
	s_cbranch_execz .LBB176_92
; %bb.91:
	v_lshl_add_u32 v26, v24, 3, v33
	s_waitcnt lgkmcnt(0)
	v_mov_b32_e32 v29, v21
	v_mov_b32_e32 v28, v20
	ds_read_b64 v[30:31], v26 offset:8
.LBB176_92:
	s_or_b32 exec_lo, exec_lo, s5
	v_add_nc_u32_e32 v26, 1, v25
	v_add_nc_u32_e32 v27, 1, v24
	s_waitcnt lgkmcnt(0)
	v_cmp_lt_i64_e64 s5, v[30:31], v[28:29]
	v_cndmask_b32_e64 v38, v26, v25, s4
	v_cndmask_b32_e64 v39, v24, v27, s4
                                        ; implicit-def: $vgpr24_vgpr25
	v_cmp_ge_i32_e64 s6, v38, v36
	v_cmp_lt_i32_e64 s7, v39, v37
	s_or_b32 s5, s6, s5
	s_and_b32 s5, s7, s5
	s_xor_b32 s6, s5, -1
	s_and_saveexec_b32 s7, s6
	s_xor_b32 s6, exec_lo, s7
; %bb.93:
	v_lshl_add_u32 v24, v38, 3, v33
	ds_read_b64 v[24:25], v24 offset:8
; %bb.94:
	s_or_saveexec_b32 s6, s6
	v_mov_b32_e32 v26, v30
	v_mov_b32_e32 v27, v31
	s_xor_b32 exec_lo, exec_lo, s6
	s_cbranch_execz .LBB176_96
; %bb.95:
	s_waitcnt lgkmcnt(0)
	v_lshl_add_u32 v24, v39, 3, v33
	ds_read_b64 v[26:27], v24 offset:8
	v_mov_b32_e32 v24, v28
	v_mov_b32_e32 v25, v29
.LBB176_96:
	s_or_b32 exec_lo, exec_lo, s6
	v_add_nc_u32_e32 v41, 1, v38
	v_add_nc_u32_e32 v40, 1, v39
	v_cndmask_b32_e64 v29, v29, v31, s5
	v_cndmask_b32_e64 v10, v8, v10, s1
	v_and_b32_e32 v8, 0x80, v34
	v_cndmask_b32_e64 v31, v41, v38, s5
	v_cndmask_b32_e64 v28, v28, v30, s5
	v_cndmask_b32_e64 v30, v39, v40, s5
	v_cndmask_b32_e64 v11, v9, v11, s1
	v_cndmask_b32_e64 v7, v5, v7, s0
	v_cmp_ge_i32_e64 s1, v31, v36
	v_or_b32_e32 v36, 64, v8
	v_cndmask_b32_e64 v6, v4, v6, s0
	s_waitcnt lgkmcnt(0)
	v_cmp_lt_i64_e64 s0, v[26:27], v[24:25]
	v_cndmask_b32_e64 v13, v13, v15, s2
	v_cndmask_b32_e64 v12, v12, v14, s2
	v_cmp_lt_i32_e64 s2, v30, v37
	v_cndmask_b32_e32 v2, v0, v2, vcc_lo
	v_and_b32_e32 v4, 0x78, v34
	v_sub_nc_u32_e32 v0, v36, v8
	s_or_b32 s0, s1, s0
	v_cndmask_b32_e32 v3, v1, v3, vcc_lo
	s_and_b32 vcc_lo, s2, s0
	v_cndmask_b32_e64 v21, v21, v23, s4
	v_cndmask_b32_e64 v20, v20, v22, s4
	;; [unrolled: 1-line block ×4, first 2 shown]
	v_sub_nc_u32_e64 v9, v4, 64 clamp
	v_min_i32_e32 v1, v4, v0
	v_lshl_add_u32 v0, v8, 3, v33
	v_cndmask_b32_e32 v15, v25, v27, vcc_lo
	v_cndmask_b32_e32 v14, v24, v26, vcc_lo
	s_mov_b32 s0, exec_lo
	; wave barrier
	ds_write2_b64 v35, v[2:3], v[6:7] offset1:1
	ds_write2_b64 v35, v[10:11], v[12:13] offset0:2 offset1:3
	ds_write2_b64 v35, v[16:17], v[20:21] offset0:4 offset1:5
	;; [unrolled: 1-line block ×3, first 2 shown]
	; wave barrier
	v_cmpx_lt_i32_e64 v9, v1
	s_cbranch_execz .LBB176_100
; %bb.97:
	v_lshl_add_u32 v2, v4, 3, v0
	s_mov_b32 s1, 0
	.p2align	6
.LBB176_98:                             ; =>This Inner Loop Header: Depth=1
	v_sub_nc_u32_e32 v3, v1, v9
	v_lshrrev_b32_e32 v3, 1, v3
	v_add_nc_u32_e32 v3, v3, v9
	v_not_b32_e32 v5, v3
	v_lshl_add_u32 v6, v3, 3, v0
	v_lshl_add_u32 v7, v5, 3, v2
	ds_read_b64 v[5:6], v6
	ds_read_b64 v[10:11], v7 offset:512
	s_waitcnt lgkmcnt(0)
	v_cmp_lt_i64_e32 vcc_lo, v[10:11], v[5:6]
	v_add_nc_u32_e32 v5, 1, v3
	v_cndmask_b32_e32 v1, v1, v3, vcc_lo
	v_cndmask_b32_e32 v9, v5, v9, vcc_lo
	v_cmp_ge_i32_e32 vcc_lo, v9, v1
	s_or_b32 s1, vcc_lo, s1
	s_andn2_b32 exec_lo, exec_lo, s1
	s_cbranch_execnz .LBB176_98
; %bb.99:
	s_or_b32 exec_lo, exec_lo, s1
.LBB176_100:
	s_or_b32 exec_lo, exec_lo, s0
	v_add_nc_u32_e32 v1, v8, v4
	v_lshl_add_u32 v6, v9, 3, v0
	v_add_nc_u32_e32 v4, v36, v4
	v_add_nc_u32_e32 v37, 0x80, v8
	v_cmp_lt_i32_e64 s0, 63, v9
	v_sub_nc_u32_e32 v1, v1, v9
	v_sub_nc_u32_e32 v10, v4, v9
                                        ; implicit-def: $vgpr4_vgpr5
	v_lshl_add_u32 v11, v1, 3, v33
	ds_read_b64 v[0:1], v6
	ds_read_b64 v[2:3], v11 offset:512
	v_cmp_gt_i32_e64 s1, v37, v10
	s_waitcnt lgkmcnt(0)
	v_cmp_lt_i64_e32 vcc_lo, v[2:3], v[0:1]
	s_or_b32 s0, s0, vcc_lo
	s_and_b32 vcc_lo, s1, s0
	s_xor_b32 s0, vcc_lo, -1
	s_and_saveexec_b32 s1, s0
	s_xor_b32 s0, exec_lo, s1
; %bb.101:
	ds_read_b64 v[4:5], v6 offset:8
                                        ; implicit-def: $vgpr11
; %bb.102:
	s_or_saveexec_b32 s0, s0
	v_mov_b32_e32 v7, v3
	v_mov_b32_e32 v6, v2
	s_xor_b32 exec_lo, exec_lo, s0
	s_cbranch_execz .LBB176_104
; %bb.103:
	ds_read_b64 v[6:7], v11 offset:520
	s_waitcnt lgkmcnt(1)
	v_mov_b32_e32 v5, v1
	v_mov_b32_e32 v4, v0
.LBB176_104:
	s_or_b32 exec_lo, exec_lo, s0
	v_add_nc_u32_e32 v8, v9, v8
	v_add_nc_u32_e32 v11, 1, v10
	s_waitcnt lgkmcnt(0)
	v_cmp_lt_i64_e64 s0, v[6:7], v[4:5]
	v_add_nc_u32_e32 v9, 1, v8
	v_cndmask_b32_e32 v12, v10, v11, vcc_lo
	v_cndmask_b32_e32 v13, v9, v8, vcc_lo
	v_cmp_lt_i32_e64 s2, v12, v37
                                        ; implicit-def: $vgpr8_vgpr9
	v_cmp_ge_i32_e64 s1, v13, v36
	s_or_b32 s0, s1, s0
	s_and_b32 s0, s2, s0
	s_xor_b32 s1, s0, -1
	s_and_saveexec_b32 s2, s1
	s_xor_b32 s1, exec_lo, s2
; %bb.105:
	v_lshl_add_u32 v8, v13, 3, v33
	ds_read_b64 v[8:9], v8 offset:8
; %bb.106:
	s_or_saveexec_b32 s1, s1
	v_mov_b32_e32 v11, v7
	v_mov_b32_e32 v10, v6
	s_xor_b32 exec_lo, exec_lo, s1
	s_cbranch_execz .LBB176_108
; %bb.107:
	s_waitcnt lgkmcnt(0)
	v_lshl_add_u32 v8, v12, 3, v33
	ds_read_b64 v[10:11], v8 offset:8
	v_mov_b32_e32 v9, v5
	v_mov_b32_e32 v8, v4
.LBB176_108:
	s_or_b32 exec_lo, exec_lo, s1
	v_add_nc_u32_e32 v14, 1, v13
	v_add_nc_u32_e32 v15, 1, v12
	s_waitcnt lgkmcnt(0)
	v_cmp_lt_i64_e64 s1, v[10:11], v[8:9]
	v_cndmask_b32_e64 v17, v14, v13, s0
	v_cndmask_b32_e64 v16, v12, v15, s0
                                        ; implicit-def: $vgpr12_vgpr13
	v_cmp_ge_i32_e64 s2, v17, v36
	v_cmp_lt_i32_e64 s3, v16, v37
	s_or_b32 s1, s2, s1
	s_and_b32 s1, s3, s1
	s_xor_b32 s2, s1, -1
	s_and_saveexec_b32 s3, s2
	s_xor_b32 s2, exec_lo, s3
; %bb.109:
	v_lshl_add_u32 v12, v17, 3, v33
	ds_read_b64 v[12:13], v12 offset:8
; %bb.110:
	s_or_saveexec_b32 s2, s2
	v_mov_b32_e32 v15, v11
	v_mov_b32_e32 v14, v10
	s_xor_b32 exec_lo, exec_lo, s2
	s_cbranch_execz .LBB176_112
; %bb.111:
	s_waitcnt lgkmcnt(0)
	v_lshl_add_u32 v12, v16, 3, v33
	ds_read_b64 v[14:15], v12 offset:8
	v_mov_b32_e32 v13, v9
	v_mov_b32_e32 v12, v8
.LBB176_112:
	s_or_b32 exec_lo, exec_lo, s2
	v_add_nc_u32_e32 v18, 1, v17
	v_add_nc_u32_e32 v19, 1, v16
	s_waitcnt lgkmcnt(0)
	v_cmp_lt_i64_e64 s2, v[14:15], v[12:13]
	v_cndmask_b32_e64 v21, v18, v17, s1
	v_cndmask_b32_e64 v20, v16, v19, s1
                                        ; implicit-def: $vgpr16_vgpr17
	v_cmp_ge_i32_e64 s3, v21, v36
	v_cmp_lt_i32_e64 s4, v20, v37
	s_or_b32 s2, s3, s2
	s_and_b32 s2, s4, s2
	s_xor_b32 s3, s2, -1
	s_and_saveexec_b32 s4, s3
	s_xor_b32 s3, exec_lo, s4
; %bb.113:
	v_lshl_add_u32 v16, v21, 3, v33
	ds_read_b64 v[16:17], v16 offset:8
; %bb.114:
	s_or_saveexec_b32 s3, s3
	v_mov_b32_e32 v19, v15
	v_mov_b32_e32 v18, v14
	s_xor_b32 exec_lo, exec_lo, s3
	s_cbranch_execz .LBB176_116
; %bb.115:
	s_waitcnt lgkmcnt(0)
	v_lshl_add_u32 v16, v20, 3, v33
	ds_read_b64 v[18:19], v16 offset:8
	v_mov_b32_e32 v17, v13
	v_mov_b32_e32 v16, v12
.LBB176_116:
	s_or_b32 exec_lo, exec_lo, s3
	v_add_nc_u32_e32 v22, 1, v21
	v_add_nc_u32_e32 v23, 1, v20
	s_waitcnt lgkmcnt(0)
	v_cmp_lt_i64_e64 s3, v[18:19], v[16:17]
	v_cndmask_b32_e64 v25, v22, v21, s2
	v_cndmask_b32_e64 v24, v20, v23, s2
                                        ; implicit-def: $vgpr20_vgpr21
	v_cmp_ge_i32_e64 s4, v25, v36
	v_cmp_lt_i32_e64 s5, v24, v37
	s_or_b32 s3, s4, s3
	s_and_b32 s3, s5, s3
	s_xor_b32 s4, s3, -1
	s_and_saveexec_b32 s5, s4
	s_xor_b32 s4, exec_lo, s5
; %bb.117:
	v_lshl_add_u32 v20, v25, 3, v33
	ds_read_b64 v[20:21], v20 offset:8
; %bb.118:
	s_or_saveexec_b32 s4, s4
	v_mov_b32_e32 v23, v19
	v_mov_b32_e32 v22, v18
	s_xor_b32 exec_lo, exec_lo, s4
	s_cbranch_execz .LBB176_120
; %bb.119:
	s_waitcnt lgkmcnt(0)
	v_lshl_add_u32 v20, v24, 3, v33
	ds_read_b64 v[22:23], v20 offset:8
	v_mov_b32_e32 v21, v17
	v_mov_b32_e32 v20, v16
.LBB176_120:
	s_or_b32 exec_lo, exec_lo, s4
	v_add_nc_u32_e32 v26, 1, v25
	v_add_nc_u32_e32 v27, 1, v24
	s_waitcnt lgkmcnt(0)
	v_cmp_lt_i64_e64 s4, v[22:23], v[20:21]
	v_cndmask_b32_e64 v29, v26, v25, s3
	v_cndmask_b32_e64 v28, v24, v27, s3
                                        ; implicit-def: $vgpr24_vgpr25
	v_cmp_ge_i32_e64 s5, v29, v36
	v_cmp_lt_i32_e64 s6, v28, v37
	s_or_b32 s4, s5, s4
	s_and_b32 s4, s6, s4
	s_xor_b32 s5, s4, -1
	s_and_saveexec_b32 s6, s5
	s_xor_b32 s5, exec_lo, s6
; %bb.121:
	v_lshl_add_u32 v24, v29, 3, v33
	ds_read_b64 v[24:25], v24 offset:8
; %bb.122:
	s_or_saveexec_b32 s5, s5
	v_mov_b32_e32 v27, v23
	v_mov_b32_e32 v26, v22
	s_xor_b32 exec_lo, exec_lo, s5
	s_cbranch_execz .LBB176_124
; %bb.123:
	s_waitcnt lgkmcnt(0)
	v_lshl_add_u32 v24, v28, 3, v33
	ds_read_b64 v[26:27], v24 offset:8
	v_mov_b32_e32 v25, v21
	v_mov_b32_e32 v24, v20
.LBB176_124:
	s_or_b32 exec_lo, exec_lo, s5
	v_add_nc_u32_e32 v30, 1, v29
	v_add_nc_u32_e32 v31, 1, v28
	s_waitcnt lgkmcnt(0)
	v_cmp_lt_i64_e64 s5, v[26:27], v[24:25]
	v_cndmask_b32_e64 v38, v30, v29, s4
	v_cndmask_b32_e64 v39, v28, v31, s4
                                        ; implicit-def: $vgpr28_vgpr29
	v_cmp_ge_i32_e64 s6, v38, v36
	v_cmp_lt_i32_e64 s7, v39, v37
	s_or_b32 s5, s6, s5
	s_and_b32 s5, s7, s5
	s_xor_b32 s6, s5, -1
	s_and_saveexec_b32 s7, s6
	s_xor_b32 s6, exec_lo, s7
; %bb.125:
	v_lshl_add_u32 v28, v38, 3, v33
	ds_read_b64 v[28:29], v28 offset:8
; %bb.126:
	s_or_saveexec_b32 s6, s6
	v_mov_b32_e32 v31, v27
	v_mov_b32_e32 v30, v26
	s_xor_b32 exec_lo, exec_lo, s6
	s_cbranch_execz .LBB176_128
; %bb.127:
	s_waitcnt lgkmcnt(0)
	v_lshl_add_u32 v28, v39, 3, v33
	ds_read_b64 v[30:31], v28 offset:8
	v_mov_b32_e32 v29, v25
	v_mov_b32_e32 v28, v24
.LBB176_128:
	s_or_b32 exec_lo, exec_lo, s6
	v_add_nc_u32_e32 v41, 1, v38
	v_add_nc_u32_e32 v40, 1, v39
	v_cndmask_b32_e64 v25, v25, v27, s5
	v_cndmask_b32_e64 v24, v24, v26, s5
	;; [unrolled: 1-line block ×6, first 2 shown]
	s_waitcnt lgkmcnt(0)
	v_cmp_lt_i64_e64 s1, v[30:31], v[28:29]
	v_cndmask_b32_e64 v13, v13, v15, s2
	v_cndmask_b32_e64 v12, v12, v14, s2
	v_cmp_ge_i32_e64 s2, v27, v36
	v_cndmask_b32_e64 v17, v17, v19, s3
	v_cndmask_b32_e64 v16, v16, v18, s3
	v_cmp_lt_i32_e64 s3, v26, v37
	v_cndmask_b32_e64 v5, v5, v7, s0
	v_cndmask_b32_e64 v4, v4, v6, s0
	s_or_b32 s0, s2, s1
	v_cndmask_b32_e32 v3, v1, v3, vcc_lo
	v_cndmask_b32_e32 v2, v0, v2, vcc_lo
	v_subrev_nc_u32_e64 v0, 0x80, v34 clamp
	v_min_u32_e32 v1, 0x80, v34
	s_and_b32 vcc_lo, s3, s0
	v_cndmask_b32_e64 v21, v21, v23, s4
	v_cndmask_b32_e64 v20, v20, v22, s4
	v_cndmask_b32_e32 v7, v29, v31, vcc_lo
	v_cndmask_b32_e32 v6, v28, v30, vcc_lo
	s_mov_b32 s0, exec_lo
	; wave barrier
	ds_write2_b64 v35, v[2:3], v[4:5] offset1:1
	ds_write2_b64 v35, v[8:9], v[12:13] offset0:2 offset1:3
	ds_write2_b64 v35, v[16:17], v[20:21] offset0:4 offset1:5
	;; [unrolled: 1-line block ×3, first 2 shown]
	; wave barrier
	v_cmpx_lt_u32_e64 v0, v1
	s_cbranch_execz .LBB176_132
; %bb.129:
	s_mov_b32 s1, 0
	.p2align	6
.LBB176_130:                            ; =>This Inner Loop Header: Depth=1
	v_sub_nc_u32_e32 v2, v1, v0
	v_lshrrev_b32_e32 v2, 1, v2
	v_add_nc_u32_e32 v6, v2, v0
	v_not_b32_e32 v2, v6
	v_lshl_add_u32 v3, v6, 3, v33
	v_lshl_add_u32 v4, v2, 3, v35
	ds_read_b64 v[2:3], v3
	ds_read_b64 v[4:5], v4 offset:1024
	s_waitcnt lgkmcnt(0)
	v_cmp_lt_i64_e32 vcc_lo, v[4:5], v[2:3]
	v_add_nc_u32_e32 v2, 1, v6
	v_cndmask_b32_e32 v1, v1, v6, vcc_lo
	v_cndmask_b32_e32 v0, v2, v0, vcc_lo
	v_cmp_ge_i32_e32 vcc_lo, v0, v1
	s_or_b32 s1, vcc_lo, s1
	s_andn2_b32 exec_lo, exec_lo, s1
	s_cbranch_execnz .LBB176_130
; %bb.131:
	s_or_b32 exec_lo, exec_lo, s1
.LBB176_132:
	s_or_b32 exec_lo, exec_lo, s0
	v_sub_nc_u32_e32 v1, v34, v0
	v_lshl_add_u32 v8, v0, 3, v33
	v_cmp_lt_i32_e64 s0, 0x7f, v0
                                        ; implicit-def: $vgpr6_vgpr7
	v_lshl_add_u32 v10, v1, 3, v33
	v_add_nc_u32_e32 v1, 0x80, v1
	ds_read_b64 v[2:3], v8
	ds_read_b64 v[4:5], v10 offset:1024
	v_cmp_gt_i32_e64 s1, 0x100, v1
	s_waitcnt lgkmcnt(0)
	v_cmp_lt_i64_e32 vcc_lo, v[4:5], v[2:3]
	s_or_b32 s0, s0, vcc_lo
	s_and_b32 vcc_lo, s1, s0
	s_xor_b32 s0, vcc_lo, -1
	s_and_saveexec_b32 s1, s0
	s_xor_b32 s0, exec_lo, s1
; %bb.133:
	ds_read_b64 v[6:7], v8 offset:8
                                        ; implicit-def: $vgpr10
; %bb.134:
	s_or_saveexec_b32 s0, s0
	v_mov_b32_e32 v9, v5
	v_mov_b32_e32 v8, v4
	s_xor_b32 exec_lo, exec_lo, s0
	s_cbranch_execz .LBB176_136
; %bb.135:
	ds_read_b64 v[8:9], v10 offset:1032
	s_waitcnt lgkmcnt(1)
	v_mov_b32_e32 v7, v3
	v_mov_b32_e32 v6, v2
.LBB176_136:
	s_or_b32 exec_lo, exec_lo, s0
	v_add_nc_u32_e32 v10, 1, v0
	v_add_nc_u32_e32 v11, 1, v1
	s_waitcnt lgkmcnt(0)
	v_cmp_lt_i64_e64 s0, v[8:9], v[6:7]
	v_cndmask_b32_e32 v14, v10, v0, vcc_lo
	v_cndmask_b32_e32 v0, v1, v11, vcc_lo
                                        ; implicit-def: $vgpr10_vgpr11
	v_cmp_lt_i32_e64 s1, 0x7f, v14
	v_cmp_gt_i32_e64 s2, 0x100, v0
	s_or_b32 s0, s1, s0
	s_and_b32 s0, s2, s0
	s_xor_b32 s1, s0, -1
	s_and_saveexec_b32 s2, s1
	s_xor_b32 s1, exec_lo, s2
; %bb.137:
	v_lshl_add_u32 v1, v14, 3, v33
	ds_read_b64 v[10:11], v1 offset:8
; %bb.138:
	s_or_saveexec_b32 s1, s1
	v_mov_b32_e32 v13, v9
	v_mov_b32_e32 v12, v8
	s_xor_b32 exec_lo, exec_lo, s1
	s_cbranch_execz .LBB176_140
; %bb.139:
	v_lshl_add_u32 v1, v0, 3, v33
	s_waitcnt lgkmcnt(0)
	v_mov_b32_e32 v11, v7
	v_mov_b32_e32 v10, v6
	ds_read_b64 v[12:13], v1 offset:8
.LBB176_140:
	s_or_b32 exec_lo, exec_lo, s1
	v_add_nc_u32_e32 v1, 1, v14
	v_add_nc_u32_e32 v15, 1, v0
	s_waitcnt lgkmcnt(0)
	v_cmp_lt_i64_e64 s1, v[12:13], v[10:11]
	v_cndmask_b32_e64 v1, v1, v14, s0
	v_cndmask_b32_e64 v0, v0, v15, s0
                                        ; implicit-def: $vgpr14_vgpr15
	v_cmp_lt_i32_e64 s2, 0x7f, v1
	v_cmp_gt_i32_e64 s3, 0x100, v0
	s_or_b32 s1, s2, s1
	s_and_b32 s1, s3, s1
	s_xor_b32 s2, s1, -1
	s_and_saveexec_b32 s3, s2
	s_xor_b32 s2, exec_lo, s3
; %bb.141:
	v_lshl_add_u32 v14, v1, 3, v33
	ds_read_b64 v[14:15], v14 offset:8
; %bb.142:
	s_or_saveexec_b32 s2, s2
	v_mov_b32_e32 v17, v13
	v_mov_b32_e32 v16, v12
	s_xor_b32 exec_lo, exec_lo, s2
	s_cbranch_execz .LBB176_144
; %bb.143:
	s_waitcnt lgkmcnt(0)
	v_lshl_add_u32 v14, v0, 3, v33
	ds_read_b64 v[16:17], v14 offset:8
	v_mov_b32_e32 v15, v11
	v_mov_b32_e32 v14, v10
.LBB176_144:
	s_or_b32 exec_lo, exec_lo, s2
	v_add_nc_u32_e32 v18, 1, v1
	v_add_nc_u32_e32 v19, 1, v0
	s_waitcnt lgkmcnt(0)
	v_cmp_lt_i64_e64 s2, v[16:17], v[14:15]
	v_cndmask_b32_e64 v1, v18, v1, s1
	v_cndmask_b32_e64 v0, v0, v19, s1
                                        ; implicit-def: $vgpr18_vgpr19
	v_cmp_lt_i32_e64 s3, 0x7f, v1
	v_cmp_gt_i32_e64 s4, 0x100, v0
	s_or_b32 s2, s3, s2
	s_and_b32 s2, s4, s2
	s_xor_b32 s3, s2, -1
	s_and_saveexec_b32 s4, s3
	s_xor_b32 s3, exec_lo, s4
; %bb.145:
	v_lshl_add_u32 v18, v1, 3, v33
	ds_read_b64 v[18:19], v18 offset:8
; %bb.146:
	s_or_saveexec_b32 s3, s3
	v_mov_b32_e32 v21, v17
	v_mov_b32_e32 v20, v16
	s_xor_b32 exec_lo, exec_lo, s3
	s_cbranch_execz .LBB176_148
; %bb.147:
	s_waitcnt lgkmcnt(0)
	v_lshl_add_u32 v18, v0, 3, v33
	ds_read_b64 v[20:21], v18 offset:8
	v_mov_b32_e32 v19, v15
	v_mov_b32_e32 v18, v14
.LBB176_148:
	s_or_b32 exec_lo, exec_lo, s3
	v_add_nc_u32_e32 v22, 1, v1
	v_add_nc_u32_e32 v23, 1, v0
	s_waitcnt lgkmcnt(0)
	v_cmp_lt_i64_e64 s3, v[20:21], v[18:19]
	v_cndmask_b32_e64 v1, v22, v1, s2
	v_cndmask_b32_e64 v0, v0, v23, s2
                                        ; implicit-def: $vgpr22_vgpr23
	v_cmp_lt_i32_e64 s4, 0x7f, v1
	v_cmp_gt_i32_e64 s5, 0x100, v0
	s_or_b32 s3, s4, s3
	s_and_b32 s3, s5, s3
	s_xor_b32 s4, s3, -1
	s_and_saveexec_b32 s5, s4
	s_xor_b32 s4, exec_lo, s5
; %bb.149:
	v_lshl_add_u32 v22, v1, 3, v33
	ds_read_b64 v[22:23], v22 offset:8
; %bb.150:
	s_or_saveexec_b32 s4, s4
	v_mov_b32_e32 v25, v21
	v_mov_b32_e32 v24, v20
	s_xor_b32 exec_lo, exec_lo, s4
	s_cbranch_execz .LBB176_152
; %bb.151:
	s_waitcnt lgkmcnt(0)
	v_lshl_add_u32 v22, v0, 3, v33
	ds_read_b64 v[24:25], v22 offset:8
	v_mov_b32_e32 v23, v19
	v_mov_b32_e32 v22, v18
.LBB176_152:
	s_or_b32 exec_lo, exec_lo, s4
	v_add_nc_u32_e32 v26, 1, v1
	v_add_nc_u32_e32 v27, 1, v0
	s_waitcnt lgkmcnt(0)
	v_cmp_lt_i64_e64 s4, v[24:25], v[22:23]
                                        ; implicit-def: $vgpr28_vgpr29
	v_cndmask_b32_e64 v1, v26, v1, s3
	v_cndmask_b32_e64 v0, v0, v27, s3
	v_cmp_lt_i32_e64 s5, 0x7f, v1
	v_cmp_gt_i32_e64 s6, 0x100, v0
	s_or_b32 s4, s5, s4
	s_and_b32 s4, s6, s4
	s_xor_b32 s5, s4, -1
	s_and_saveexec_b32 s6, s5
	s_xor_b32 s5, exec_lo, s6
; %bb.153:
	v_lshl_add_u32 v26, v1, 3, v33
	ds_read_b64 v[28:29], v26 offset:8
; %bb.154:
	s_or_saveexec_b32 s5, s5
	v_mov_b32_e32 v27, v25
	v_mov_b32_e32 v26, v24
	s_xor_b32 exec_lo, exec_lo, s5
	s_cbranch_execz .LBB176_156
; %bb.155:
	v_lshl_add_u32 v26, v0, 3, v33
	s_waitcnt lgkmcnt(0)
	v_mov_b32_e32 v29, v23
	v_mov_b32_e32 v28, v22
	ds_read_b64 v[26:27], v26 offset:8
.LBB176_156:
	s_or_b32 exec_lo, exec_lo, s5
	v_add_nc_u32_e32 v30, 1, v1
	v_add_nc_u32_e32 v31, 1, v0
	s_waitcnt lgkmcnt(0)
	v_cmp_ge_i64_e64 s5, v[26:27], v[28:29]
                                        ; implicit-def: $vgpr35
	v_cndmask_b32_e64 v36, v30, v1, s4
	v_cndmask_b32_e64 v34, v0, v31, s4
                                        ; implicit-def: $vgpr30_vgpr31
	v_cmp_gt_i32_e64 s6, 0x80, v36
	v_cmp_lt_i32_e64 s7, 0xff, v34
	s_and_b32 s5, s6, s5
	s_or_b32 s5, s7, s5
	s_and_saveexec_b32 s6, s5
	s_xor_b32 s5, exec_lo, s6
; %bb.157:
	v_lshl_add_u32 v0, v36, 3, v33
	v_add_nc_u32_e32 v35, 1, v36
                                        ; implicit-def: $vgpr33
                                        ; implicit-def: $vgpr36
	ds_read_b64 v[30:31], v0 offset:8
; %bb.158:
	s_or_saveexec_b32 s5, s5
	v_mov_b32_e32 v0, v28
	v_mov_b32_e32 v1, v29
	s_xor_b32 exec_lo, exec_lo, s5
	s_cbranch_execz .LBB176_160
; %bb.159:
	v_lshl_add_u32 v0, v34, 3, v33
	s_waitcnt lgkmcnt(0)
	v_mov_b32_e32 v31, v29
	v_add_nc_u32_e32 v34, 1, v34
	v_mov_b32_e32 v35, v36
	v_mov_b32_e32 v30, v28
	ds_read_b64 v[37:38], v0 offset:8
	v_mov_b32_e32 v0, v26
	v_mov_b32_e32 v1, v27
	s_waitcnt lgkmcnt(0)
	v_mov_b32_e32 v26, v37
	v_mov_b32_e32 v27, v38
.LBB176_160:
	s_or_b32 exec_lo, exec_lo, s5
	v_cndmask_b32_e64 v13, v11, v13, s1
	v_cndmask_b32_e64 v12, v10, v12, s1
	s_waitcnt lgkmcnt(0)
	v_cmp_lt_i64_e64 s1, v[26:27], v[30:31]
	v_cndmask_b32_e64 v15, v15, v17, s2
	v_cndmask_b32_e64 v14, v14, v16, s2
	v_cmp_lt_i32_e64 s2, 0x7f, v35
	v_cndmask_b32_e64 v21, v19, v21, s3
	v_cndmask_b32_e64 v20, v18, v20, s3
	v_cmp_gt_i32_e64 s3, 0x100, v34
	v_cndmask_b32_e64 v7, v7, v9, s0
	v_cndmask_b32_e64 v6, v6, v8, s0
	s_or_b32 s0, s2, s1
	v_cndmask_b32_e32 v5, v3, v5, vcc_lo
	v_cndmask_b32_e32 v4, v2, v4, vcc_lo
	v_lshlrev_b32_e32 v8, 3, v32
	s_and_b32 vcc_lo, s3, s0
	v_cndmask_b32_e64 v23, v23, v25, s4
	v_cndmask_b32_e64 v22, v22, v24, s4
	s_add_u32 s0, s10, s12
	v_cndmask_b32_e32 v3, v31, v27, vcc_lo
	v_cndmask_b32_e32 v2, v30, v26, vcc_lo
	s_addc_u32 s1, s11, s13
	global_store_dwordx4 v8, v[4:7], s[0:1]
	global_store_dwordx4 v8, v[12:15], s[0:1] offset:16
	global_store_dwordx4 v8, v[20:23], s[0:1] offset:32
	;; [unrolled: 1-line block ×3, first 2 shown]
	s_endpgm
	.section	.rodata,"a",@progbits
	.p2align	6, 0x0
	.amdhsa_kernel _Z9sort_keysILj256ELj32ELj8ExN10test_utils4lessEEvPKT2_PS2_T3_
		.amdhsa_group_segment_fixed_size 16448
		.amdhsa_private_segment_fixed_size 0
		.amdhsa_kernarg_size 20
		.amdhsa_user_sgpr_count 6
		.amdhsa_user_sgpr_private_segment_buffer 1
		.amdhsa_user_sgpr_dispatch_ptr 0
		.amdhsa_user_sgpr_queue_ptr 0
		.amdhsa_user_sgpr_kernarg_segment_ptr 1
		.amdhsa_user_sgpr_dispatch_id 0
		.amdhsa_user_sgpr_flat_scratch_init 0
		.amdhsa_user_sgpr_private_segment_size 0
		.amdhsa_wavefront_size32 1
		.amdhsa_uses_dynamic_stack 0
		.amdhsa_system_sgpr_private_segment_wavefront_offset 0
		.amdhsa_system_sgpr_workgroup_id_x 1
		.amdhsa_system_sgpr_workgroup_id_y 0
		.amdhsa_system_sgpr_workgroup_id_z 0
		.amdhsa_system_sgpr_workgroup_info 0
		.amdhsa_system_vgpr_workitem_id 0
		.amdhsa_next_free_vgpr 42
		.amdhsa_next_free_sgpr 14
		.amdhsa_reserve_vcc 1
		.amdhsa_reserve_flat_scratch 0
		.amdhsa_float_round_mode_32 0
		.amdhsa_float_round_mode_16_64 0
		.amdhsa_float_denorm_mode_32 3
		.amdhsa_float_denorm_mode_16_64 3
		.amdhsa_dx10_clamp 1
		.amdhsa_ieee_mode 1
		.amdhsa_fp16_overflow 0
		.amdhsa_workgroup_processor_mode 1
		.amdhsa_memory_ordered 1
		.amdhsa_forward_progress 1
		.amdhsa_shared_vgpr_count 0
		.amdhsa_exception_fp_ieee_invalid_op 0
		.amdhsa_exception_fp_denorm_src 0
		.amdhsa_exception_fp_ieee_div_zero 0
		.amdhsa_exception_fp_ieee_overflow 0
		.amdhsa_exception_fp_ieee_underflow 0
		.amdhsa_exception_fp_ieee_inexact 0
		.amdhsa_exception_int_div_zero 0
	.end_amdhsa_kernel
	.section	.text._Z9sort_keysILj256ELj32ELj8ExN10test_utils4lessEEvPKT2_PS2_T3_,"axG",@progbits,_Z9sort_keysILj256ELj32ELj8ExN10test_utils4lessEEvPKT2_PS2_T3_,comdat
.Lfunc_end176:
	.size	_Z9sort_keysILj256ELj32ELj8ExN10test_utils4lessEEvPKT2_PS2_T3_, .Lfunc_end176-_Z9sort_keysILj256ELj32ELj8ExN10test_utils4lessEEvPKT2_PS2_T3_
                                        ; -- End function
	.set _Z9sort_keysILj256ELj32ELj8ExN10test_utils4lessEEvPKT2_PS2_T3_.num_vgpr, 42
	.set _Z9sort_keysILj256ELj32ELj8ExN10test_utils4lessEEvPKT2_PS2_T3_.num_agpr, 0
	.set _Z9sort_keysILj256ELj32ELj8ExN10test_utils4lessEEvPKT2_PS2_T3_.numbered_sgpr, 14
	.set _Z9sort_keysILj256ELj32ELj8ExN10test_utils4lessEEvPKT2_PS2_T3_.num_named_barrier, 0
	.set _Z9sort_keysILj256ELj32ELj8ExN10test_utils4lessEEvPKT2_PS2_T3_.private_seg_size, 0
	.set _Z9sort_keysILj256ELj32ELj8ExN10test_utils4lessEEvPKT2_PS2_T3_.uses_vcc, 1
	.set _Z9sort_keysILj256ELj32ELj8ExN10test_utils4lessEEvPKT2_PS2_T3_.uses_flat_scratch, 0
	.set _Z9sort_keysILj256ELj32ELj8ExN10test_utils4lessEEvPKT2_PS2_T3_.has_dyn_sized_stack, 0
	.set _Z9sort_keysILj256ELj32ELj8ExN10test_utils4lessEEvPKT2_PS2_T3_.has_recursion, 0
	.set _Z9sort_keysILj256ELj32ELj8ExN10test_utils4lessEEvPKT2_PS2_T3_.has_indirect_call, 0
	.section	.AMDGPU.csdata,"",@progbits
; Kernel info:
; codeLenInByte = 8376
; TotalNumSgprs: 16
; NumVgprs: 42
; ScratchSize: 0
; MemoryBound: 0
; FloatMode: 240
; IeeeMode: 1
; LDSByteSize: 16448 bytes/workgroup (compile time only)
; SGPRBlocks: 0
; VGPRBlocks: 5
; NumSGPRsForWavesPerEU: 16
; NumVGPRsForWavesPerEU: 42
; Occupancy: 14
; WaveLimiterHint : 0
; COMPUTE_PGM_RSRC2:SCRATCH_EN: 0
; COMPUTE_PGM_RSRC2:USER_SGPR: 6
; COMPUTE_PGM_RSRC2:TRAP_HANDLER: 0
; COMPUTE_PGM_RSRC2:TGID_X_EN: 1
; COMPUTE_PGM_RSRC2:TGID_Y_EN: 0
; COMPUTE_PGM_RSRC2:TGID_Z_EN: 0
; COMPUTE_PGM_RSRC2:TIDIG_COMP_CNT: 0
	.section	.text._Z10sort_pairsILj256ELj32ELj8ExN10test_utils4lessEEvPKT2_PS2_T3_,"axG",@progbits,_Z10sort_pairsILj256ELj32ELj8ExN10test_utils4lessEEvPKT2_PS2_T3_,comdat
	.protected	_Z10sort_pairsILj256ELj32ELj8ExN10test_utils4lessEEvPKT2_PS2_T3_ ; -- Begin function _Z10sort_pairsILj256ELj32ELj8ExN10test_utils4lessEEvPKT2_PS2_T3_
	.globl	_Z10sort_pairsILj256ELj32ELj8ExN10test_utils4lessEEvPKT2_PS2_T3_
	.p2align	8
	.type	_Z10sort_pairsILj256ELj32ELj8ExN10test_utils4lessEEvPKT2_PS2_T3_,@function
_Z10sort_pairsILj256ELj32ELj8ExN10test_utils4lessEEvPKT2_PS2_T3_: ; @_Z10sort_pairsILj256ELj32ELj8ExN10test_utils4lessEEvPKT2_PS2_T3_
; %bb.0:
	s_load_dwordx4 s[8:11], s[4:5], 0x0
	s_mov_b32 s1, 0
	s_lshl_b32 s0, s6, 11
	v_lshlrev_b32_e32 v9, 6, v0
	s_lshl_b64 s[12:13], s[0:1], 3
	s_waitcnt lgkmcnt(0)
	s_add_u32 s0, s8, s12
	s_addc_u32 s1, s9, s13
	s_clause 0x3
	global_load_dwordx4 v[1:4], v9, s[0:1]
	global_load_dwordx4 v[13:16], v9, s[0:1] offset:16
	global_load_dwordx4 v[5:8], v9, s[0:1] offset:48
	;; [unrolled: 1-line block ×3, first 2 shown]
	s_mov_b32 s0, exec_lo
	s_waitcnt vmcnt(3)
	v_add_co_u32 v23, vcc_lo, v3, 1
	v_add_co_ci_u32_e64 v24, null, 0, v4, vcc_lo
	v_add_co_u32 v17, vcc_lo, v1, 1
	v_mov_b32_e32 v20, v4
	v_mov_b32_e32 v21, v23
	v_add_co_ci_u32_e64 v18, null, 0, v2, vcc_lo
	v_mov_b32_e32 v19, v3
	v_mov_b32_e32 v22, v24
	v_cmpx_lt_i64_e64 v[3:4], v[1:2]
	s_cbranch_execz .LBB177_2
; %bb.1:
	v_mov_b32_e32 v20, v2
	v_mov_b32_e32 v22, v18
	;; [unrolled: 1-line block ×8, first 2 shown]
.LBB177_2:
	s_or_b32 exec_lo, exec_lo, s0
	s_waitcnt vmcnt(2)
	v_add_co_u32 v25, vcc_lo, v15, 1
	v_add_co_ci_u32_e64 v26, null, 0, v16, vcc_lo
	v_add_co_u32 v31, vcc_lo, v13, 1
	v_mov_b32_e32 v3, v15
	v_mov_b32_e32 v23, v25
	v_add_co_ci_u32_e64 v32, null, 0, v14, vcc_lo
	v_mov_b32_e32 v4, v16
	v_mov_b32_e32 v24, v26
	s_mov_b32 s0, exec_lo
	v_cmpx_lt_i64_e64 v[15:16], v[13:14]
	s_cbranch_execz .LBB177_4
; %bb.3:
	v_mov_b32_e32 v3, v13
	v_mov_b32_e32 v23, v31
	;; [unrolled: 1-line block ×8, first 2 shown]
.LBB177_4:
	s_or_b32 exec_lo, exec_lo, s0
	s_waitcnt vmcnt(0)
	v_add_co_u32 v27, vcc_lo, v11, 1
	v_add_co_ci_u32_e64 v28, null, 0, v12, vcc_lo
	v_add_co_u32 v35, vcc_lo, v9, 1
	v_mov_b32_e32 v16, v12
	v_mov_b32_e32 v25, v27
	v_add_co_ci_u32_e64 v36, null, 0, v10, vcc_lo
	v_mov_b32_e32 v15, v11
	v_mov_b32_e32 v26, v28
	s_mov_b32 s0, exec_lo
	v_cmpx_lt_i64_e64 v[11:12], v[9:10]
	s_cbranch_execz .LBB177_6
; %bb.5:
	v_mov_b32_e32 v16, v10
	v_mov_b32_e32 v25, v35
	;; [unrolled: 1-line block ×8, first 2 shown]
.LBB177_6:
	s_or_b32 exec_lo, exec_lo, s0
	v_add_co_u32 v29, vcc_lo, v7, 1
	v_add_co_ci_u32_e64 v30, null, 0, v8, vcc_lo
	v_add_co_u32 v37, vcc_lo, v5, 1
	v_mov_b32_e32 v12, v8
	v_mov_b32_e32 v27, v29
	v_add_co_ci_u32_e64 v38, null, 0, v6, vcc_lo
	v_mov_b32_e32 v11, v7
	v_mov_b32_e32 v28, v30
	s_mov_b32 s0, exec_lo
	v_cmpx_lt_i64_e64 v[7:8], v[5:6]
	s_cbranch_execz .LBB177_8
; %bb.7:
	v_mov_b32_e32 v12, v6
	v_mov_b32_e32 v27, v37
	v_mov_b32_e32 v11, v5
	v_mov_b32_e32 v5, v7
	v_mov_b32_e32 v28, v38
	v_mov_b32_e32 v38, v30
	v_mov_b32_e32 v6, v8
	v_mov_b32_e32 v37, v29
.LBB177_8:
	s_or_b32 exec_lo, exec_lo, s0
	v_mov_b32_e32 v7, v13
	v_mov_b32_e32 v29, v31
	;; [unrolled: 1-line block ×4, first 2 shown]
	s_mov_b32 s0, exec_lo
	v_cmpx_lt_i64_e64 v[13:14], v[19:20]
	s_xor_b32 s0, exec_lo, s0
	s_cbranch_execz .LBB177_10
; %bb.9:
	v_mov_b32_e32 v7, v19
	v_mov_b32_e32 v30, v22
	v_mov_b32_e32 v8, v20
	v_mov_b32_e32 v20, v14
	v_mov_b32_e32 v29, v21
	v_mov_b32_e32 v21, v31
	v_mov_b32_e32 v19, v13
	v_mov_b32_e32 v22, v32
.LBB177_10:
	s_or_b32 exec_lo, exec_lo, s0
	v_mov_b32_e32 v14, v10
	v_mov_b32_e32 v33, v35
	v_mov_b32_e32 v13, v9
	v_mov_b32_e32 v34, v36
	s_mov_b32 s0, exec_lo
	v_cmpx_lt_i64_e64 v[9:10], v[3:4]
	s_cbranch_execz .LBB177_12
; %bb.11:
	v_mov_b32_e32 v14, v4
	v_mov_b32_e32 v34, v24
	v_mov_b32_e32 v13, v3
	v_mov_b32_e32 v3, v9
	v_mov_b32_e32 v33, v23
	v_mov_b32_e32 v23, v35
	v_mov_b32_e32 v4, v10
	v_mov_b32_e32 v24, v36
.LBB177_12:
	s_or_b32 exec_lo, exec_lo, s0
	v_mov_b32_e32 v10, v6
	v_mov_b32_e32 v35, v37
	v_mov_b32_e32 v9, v5
	v_mov_b32_e32 v36, v38
	s_mov_b32 s0, exec_lo
	v_cmpx_lt_i64_e64 v[5:6], v[15:16]
	;; [unrolled: 18-line block ×23, first 2 shown]
	s_cbranch_execz .LBB177_56
; %bb.55:
	v_mov_b32_e32 v32, v24
	v_mov_b32_e32 v16, v8
	;; [unrolled: 1-line block ×8, first 2 shown]
.LBB177_56:
	s_or_b32 exec_lo, exec_lo, s0
	v_mbcnt_lo_u32_b32 v30, -1, 0
	v_lshrrev_b32_e32 v35, 5, v0
	v_lshlrev_b32_e32 v49, 3, v0
	v_mov_b32_e32 v0, 0
	v_lshlrev_b32_e32 v52, 3, v30
	v_lshlrev_b32_e32 v36, 6, v30
	; wave barrier
	s_mov_b32 s0, exec_lo
	v_and_b32_e32 v29, 0xf0, v52
	v_and_b32_e32 v30, 8, v52
	v_mad_u32_u24 v50, 0x808, v35, v36
	ds_write2_b64 v50, v[1:2], v[19:20] offset1:1
	ds_write2_b64 v50, v[33:34], v[21:22] offset0:2 offset1:3
	v_or_b32_e32 v53, 8, v29
	v_lshlrev_b32_e32 v38, 3, v29
	ds_write2_b64 v50, v[27:28], v[23:24] offset0:4 offset1:5
	ds_write2_b64 v50, v[31:32], v[25:26] offset0:6 offset1:7
	; wave barrier
	v_sub_nc_u32_e32 v37, v53, v29
	v_mad_u32_u24 v1, 0x808, v35, v38
	v_min_i32_e32 v36, v30, v37
	v_cmpx_lt_i32_e32 0, v36
	s_cbranch_execz .LBB177_60
; %bb.57:
	v_lshl_add_u32 v2, v30, 3, v1
	v_mov_b32_e32 v0, 0
	s_mov_b32 s1, 0
	.p2align	6
.LBB177_58:                             ; =>This Inner Loop Header: Depth=1
	v_sub_nc_u32_e32 v19, v36, v0
	v_lshrrev_b32_e32 v19, 1, v19
	v_add_nc_u32_e32 v23, v19, v0
	v_not_b32_e32 v19, v23
	v_lshl_add_u32 v20, v23, 3, v1
	v_lshl_add_u32 v21, v19, 3, v2
	ds_read_b64 v[19:20], v20
	ds_read_b64 v[21:22], v21 offset:64
	s_waitcnt lgkmcnt(0)
	v_cmp_lt_i64_e32 vcc_lo, v[21:22], v[19:20]
	v_add_nc_u32_e32 v19, 1, v23
	v_cndmask_b32_e32 v36, v36, v23, vcc_lo
	v_cndmask_b32_e32 v0, v19, v0, vcc_lo
	v_cmp_ge_i32_e32 vcc_lo, v0, v36
	s_or_b32 s1, vcc_lo, s1
	s_andn2_b32 exec_lo, exec_lo, s1
	s_cbranch_execnz .LBB177_58
; %bb.59:
	s_or_b32 exec_lo, exec_lo, s1
.LBB177_60:
	s_or_b32 exec_lo, exec_lo, s0
	v_add_nc_u32_e32 v2, v29, v30
	v_mul_u32_u24_e32 v51, 0x808, v35
	v_lshl_add_u32 v25, v0, 3, v1
	v_add_nc_u32_e32 v54, 16, v29
	v_cmp_lt_i32_e64 s0, 7, v0
	v_sub_nc_u32_e32 v2, v2, v0
                                        ; implicit-def: $vgpr23_vgpr24
	v_lshl_add_u32 v1, v2, 3, v51
	v_add_nc_u32_e32 v2, v53, v30
	ds_read_b64 v[19:20], v25
	ds_read_b64 v[21:22], v1 offset:64
	v_sub_nc_u32_e32 v2, v2, v0
	v_cmp_gt_i32_e64 s1, v54, v2
	s_waitcnt lgkmcnt(0)
	v_cmp_lt_i64_e32 vcc_lo, v[21:22], v[19:20]
	s_or_b32 s0, s0, vcc_lo
	s_and_b32 vcc_lo, s1, s0
	s_xor_b32 s0, vcc_lo, -1
	s_and_saveexec_b32 s1, s0
	s_xor_b32 s0, exec_lo, s1
; %bb.61:
	ds_read_b64 v[23:24], v25 offset:8
                                        ; implicit-def: $vgpr1
; %bb.62:
	s_or_saveexec_b32 s0, s0
	v_mov_b32_e32 v26, v22
	v_mov_b32_e32 v25, v21
	s_xor_b32 exec_lo, exec_lo, s0
	s_cbranch_execz .LBB177_64
; %bb.63:
	ds_read_b64 v[25:26], v1 offset:72
	s_waitcnt lgkmcnt(1)
	v_mov_b32_e32 v24, v20
	v_mov_b32_e32 v23, v19
.LBB177_64:
	s_or_b32 exec_lo, exec_lo, s0
	v_add_nc_u32_e32 v55, v0, v29
	v_add_nc_u32_e32 v1, 1, v2
	s_waitcnt lgkmcnt(0)
	v_cmp_lt_i64_e64 s0, v[25:26], v[23:24]
	v_add_nc_u32_e32 v0, 1, v55
	v_cndmask_b32_e32 v57, v2, v1, vcc_lo
	v_cndmask_b32_e32 v56, v0, v55, vcc_lo
	v_cmp_lt_i32_e64 s2, v57, v54
                                        ; implicit-def: $vgpr0_vgpr1
	v_cmp_ge_i32_e64 s1, v56, v53
	s_or_b32 s0, s1, s0
	s_and_b32 s0, s2, s0
	s_xor_b32 s1, s0, -1
	s_and_saveexec_b32 s2, s1
	s_xor_b32 s1, exec_lo, s2
; %bb.65:
	v_lshl_add_u32 v0, v56, 3, v51
	ds_read_b64 v[0:1], v0 offset:8
; %bb.66:
	s_or_saveexec_b32 s1, s1
	v_mov_b32_e32 v28, v26
	v_mov_b32_e32 v27, v25
	s_xor_b32 exec_lo, exec_lo, s1
	s_cbranch_execz .LBB177_68
; %bb.67:
	s_waitcnt lgkmcnt(0)
	v_lshl_add_u32 v0, v57, 3, v51
	ds_read_b64 v[27:28], v0 offset:8
	v_mov_b32_e32 v0, v23
	v_mov_b32_e32 v1, v24
.LBB177_68:
	s_or_b32 exec_lo, exec_lo, s1
	v_add_nc_u32_e32 v29, 1, v56
	v_add_nc_u32_e32 v30, 1, v57
	s_waitcnt lgkmcnt(0)
	v_cmp_lt_i64_e64 s1, v[27:28], v[0:1]
	v_cndmask_b32_e64 v58, v29, v56, s0
	v_cndmask_b32_e64 v59, v57, v30, s0
                                        ; implicit-def: $vgpr29_vgpr30
	v_cmp_ge_i32_e64 s2, v58, v53
	v_cmp_lt_i32_e64 s3, v59, v54
	s_or_b32 s1, s2, s1
	s_and_b32 s1, s3, s1
	s_xor_b32 s2, s1, -1
	s_and_saveexec_b32 s3, s2
	s_xor_b32 s2, exec_lo, s3
; %bb.69:
	v_lshl_add_u32 v29, v58, 3, v51
	ds_read_b64 v[29:30], v29 offset:8
; %bb.70:
	s_or_saveexec_b32 s2, s2
	v_mov_b32_e32 v32, v28
	v_mov_b32_e32 v31, v27
	s_xor_b32 exec_lo, exec_lo, s2
	s_cbranch_execz .LBB177_72
; %bb.71:
	s_waitcnt lgkmcnt(0)
	v_lshl_add_u32 v29, v59, 3, v51
	ds_read_b64 v[31:32], v29 offset:8
	v_mov_b32_e32 v30, v1
	v_mov_b32_e32 v29, v0
.LBB177_72:
	s_or_b32 exec_lo, exec_lo, s2
	v_add_nc_u32_e32 v33, 1, v58
	v_add_nc_u32_e32 v34, 1, v59
	s_waitcnt lgkmcnt(0)
	v_cmp_lt_i64_e64 s2, v[31:32], v[29:30]
	v_cndmask_b32_e64 v60, v33, v58, s1
	v_cndmask_b32_e64 v61, v59, v34, s1
                                        ; implicit-def: $vgpr33_vgpr34
	v_cmp_ge_i32_e64 s3, v60, v53
	v_cmp_lt_i32_e64 s4, v61, v54
	s_or_b32 s2, s3, s2
	s_and_b32 s2, s4, s2
	s_xor_b32 s3, s2, -1
	s_and_saveexec_b32 s4, s3
	s_xor_b32 s3, exec_lo, s4
; %bb.73:
	v_lshl_add_u32 v33, v60, 3, v51
	ds_read_b64 v[33:34], v33 offset:8
; %bb.74:
	s_or_saveexec_b32 s3, s3
	v_mov_b32_e32 v36, v32
	v_mov_b32_e32 v35, v31
	s_xor_b32 exec_lo, exec_lo, s3
	s_cbranch_execz .LBB177_76
; %bb.75:
	s_waitcnt lgkmcnt(0)
	v_lshl_add_u32 v33, v61, 3, v51
	ds_read_b64 v[35:36], v33 offset:8
	v_mov_b32_e32 v34, v30
	v_mov_b32_e32 v33, v29
.LBB177_76:
	s_or_b32 exec_lo, exec_lo, s3
	v_add_nc_u32_e32 v37, 1, v60
	v_add_nc_u32_e32 v38, 1, v61
	s_waitcnt lgkmcnt(0)
	v_cmp_lt_i64_e64 s3, v[35:36], v[33:34]
                                        ; implicit-def: $vgpr41_vgpr42
	v_cndmask_b32_e64 v62, v37, v60, s2
	v_cndmask_b32_e64 v63, v61, v38, s2
	v_cmp_ge_i32_e64 s4, v62, v53
	v_cmp_lt_i32_e64 s5, v63, v54
	s_or_b32 s3, s4, s3
	s_and_b32 s3, s5, s3
	s_xor_b32 s4, s3, -1
	s_and_saveexec_b32 s5, s4
	s_xor_b32 s4, exec_lo, s5
; %bb.77:
	v_lshl_add_u32 v37, v62, 3, v51
	ds_read_b64 v[41:42], v37 offset:8
; %bb.78:
	s_or_saveexec_b32 s4, s4
	v_mov_b32_e32 v44, v36
	v_mov_b32_e32 v43, v35
	s_xor_b32 exec_lo, exec_lo, s4
	s_cbranch_execz .LBB177_80
; %bb.79:
	v_lshl_add_u32 v37, v63, 3, v51
	s_waitcnt lgkmcnt(0)
	v_mov_b32_e32 v42, v34
	v_mov_b32_e32 v41, v33
	ds_read_b64 v[43:44], v37 offset:8
.LBB177_80:
	s_or_b32 exec_lo, exec_lo, s4
	v_add_nc_u32_e32 v37, 1, v62
	v_add_nc_u32_e32 v38, 1, v63
	s_waitcnt lgkmcnt(0)
	v_cmp_lt_i64_e64 s4, v[43:44], v[41:42]
                                        ; implicit-def: $vgpr45_vgpr46
	v_cndmask_b32_e64 v64, v37, v62, s3
	v_cndmask_b32_e64 v65, v63, v38, s3
	v_cmp_ge_i32_e64 s5, v64, v53
	v_cmp_lt_i32_e64 s6, v65, v54
	s_or_b32 s4, s5, s4
	s_and_b32 s4, s6, s4
	s_xor_b32 s5, s4, -1
	s_and_saveexec_b32 s6, s5
	s_xor_b32 s5, exec_lo, s6
; %bb.81:
	v_lshl_add_u32 v37, v64, 3, v51
	ds_read_b64 v[45:46], v37 offset:8
; %bb.82:
	s_or_saveexec_b32 s5, s5
	v_mov_b32_e32 v48, v44
	v_mov_b32_e32 v47, v43
	s_xor_b32 exec_lo, exec_lo, s5
	s_cbranch_execz .LBB177_84
; %bb.83:
	v_lshl_add_u32 v37, v65, 3, v51
	s_waitcnt lgkmcnt(0)
	v_mov_b32_e32 v46, v42
	v_mov_b32_e32 v45, v41
	ds_read_b64 v[47:48], v37 offset:8
.LBB177_84:
	s_or_b32 exec_lo, exec_lo, s5
	v_add_nc_u32_e32 v37, 1, v64
	v_add_nc_u32_e32 v38, 1, v65
	s_waitcnt lgkmcnt(0)
	v_cmp_lt_i64_e64 s5, v[47:48], v[45:46]
	v_cndmask_b32_e64 v66, v37, v64, s4
	v_cndmask_b32_e64 v67, v65, v38, s4
                                        ; implicit-def: $vgpr37_vgpr38
	v_cmp_ge_i32_e64 s6, v66, v53
	v_cmp_lt_i32_e64 s7, v67, v54
	s_or_b32 s5, s6, s5
	s_and_b32 s5, s7, s5
	s_xor_b32 s6, s5, -1
	s_and_saveexec_b32 s7, s6
	s_xor_b32 s6, exec_lo, s7
; %bb.85:
	v_lshl_add_u32 v37, v66, 3, v51
	ds_read_b64 v[37:38], v37 offset:8
; %bb.86:
	s_or_saveexec_b32 s6, s6
	v_mov_b32_e32 v39, v47
	v_mov_b32_e32 v40, v48
	s_xor_b32 exec_lo, exec_lo, s6
	s_cbranch_execz .LBB177_88
; %bb.87:
	s_waitcnt lgkmcnt(0)
	v_lshl_add_u32 v37, v67, 3, v51
	ds_read_b64 v[39:40], v37 offset:8
	v_mov_b32_e32 v37, v45
	v_mov_b32_e32 v38, v46
.LBB177_88:
	s_or_b32 exec_lo, exec_lo, s6
	v_add_nc_u32_e32 v69, 1, v66
	v_add_nc_u32_e32 v68, 1, v67
	v_cndmask_b32_e64 v46, v46, v48, s5
	v_cndmask_b32_e64 v45, v45, v47, s5
	;; [unrolled: 1-line block ×8, first 2 shown]
	s_waitcnt lgkmcnt(0)
	v_cmp_lt_i64_e64 s2, v[39:40], v[37:38]
	v_cndmask_b32_e64 v34, v34, v36, s3
	v_cndmask_b32_e64 v33, v33, v35, s3
	;; [unrolled: 1-line block ×3, first 2 shown]
	v_cmp_ge_i32_e64 s3, v48, v53
	v_cndmask_b32_e64 v41, v41, v43, s4
	v_cndmask_b32_e64 v43, v64, v65, s4
	v_cmp_lt_i32_e64 s4, v47, v54
	v_cndmask_b32_e64 v32, v1, v28, s1
	v_cndmask_b32_e64 v31, v0, v27, s1
	;; [unrolled: 1-line block ×3, first 2 shown]
	s_or_b32 s1, s3, s2
	v_cndmask_b32_e32 v2, v55, v2, vcc_lo
	v_cndmask_b32_e64 v1, v56, v57, s0
	s_and_b32 s1, s4, s1
	v_cndmask_b32_e64 v66, v66, v67, s5
	v_cndmask_b32_e64 v27, v48, v47, s1
	; wave barrier
	ds_write2_b64 v50, v[17:18], v[3:4] offset1:1
	ds_write2_b64 v50, v[11:12], v[5:6] offset0:2 offset1:3
	ds_write2_b64 v50, v[13:14], v[7:8] offset0:4 offset1:5
	;; [unrolled: 1-line block ×3, first 2 shown]
	v_lshl_add_u32 v2, v2, 3, v51
	v_lshl_add_u32 v8, v35, 3, v51
	v_lshl_add_u32 v1, v1, 3, v51
	v_lshl_add_u32 v9, v43, 3, v51
	v_lshl_add_u32 v0, v0, 3, v51
	v_lshl_add_u32 v10, v66, 3, v51
	v_lshl_add_u32 v3, v44, 3, v51
	v_lshl_add_u32 v11, v27, 3, v51
	; wave barrier
	ds_read_b64 v[4:5], v2
	ds_read_b64 v[6:7], v1
	;; [unrolled: 1-line block ×8, first 2 shown]
	v_and_b32_e32 v27, 0xe0, v52
	v_cndmask_b32_e32 v22, v20, v22, vcc_lo
	v_and_b32_e32 v20, 24, v52
	v_cndmask_b32_e64 v26, v24, v26, s0
	v_cndmask_b32_e64 v25, v23, v25, s0
	v_or_b32_e32 v48, 16, v27
	v_cndmask_b32_e32 v21, v19, v21, vcc_lo
	v_sub_nc_u32_e64 v24, v20, 16 clamp
	v_cndmask_b32_e64 v36, v38, v40, s1
	v_cndmask_b32_e64 v35, v37, v39, s1
	v_sub_nc_u32_e32 v16, v48, v27
	s_mov_b32 s0, exec_lo
	; wave barrier
	ds_write2_b64 v50, v[21:22], v[25:26] offset1:1
	ds_write2_b64 v50, v[31:32], v[29:30] offset0:2 offset1:3
	v_min_i32_e32 v17, v20, v16
	v_lshl_add_u32 v16, v27, 3, v51
	ds_write2_b64 v50, v[33:34], v[41:42] offset0:4 offset1:5
	ds_write2_b64 v50, v[45:46], v[35:36] offset0:6 offset1:7
	; wave barrier
	v_cmpx_lt_i32_e64 v24, v17
	s_cbranch_execz .LBB177_92
; %bb.89:
	v_lshl_add_u32 v18, v20, 3, v16
	s_mov_b32 s1, 0
	.p2align	6
.LBB177_90:                             ; =>This Inner Loop Header: Depth=1
	v_sub_nc_u32_e32 v19, v17, v24
	v_lshrrev_b32_e32 v19, 1, v19
	v_add_nc_u32_e32 v19, v19, v24
	v_not_b32_e32 v21, v19
	v_lshl_add_u32 v22, v19, 3, v16
	v_lshl_add_u32 v23, v21, 3, v18
	ds_read_b64 v[21:22], v22
	ds_read_b64 v[25:26], v23 offset:128
	s_waitcnt lgkmcnt(0)
	v_cmp_lt_i64_e32 vcc_lo, v[25:26], v[21:22]
	v_add_nc_u32_e32 v21, 1, v19
	v_cndmask_b32_e32 v17, v17, v19, vcc_lo
	v_cndmask_b32_e32 v24, v21, v24, vcc_lo
	v_cmp_ge_i32_e32 vcc_lo, v24, v17
	s_or_b32 s1, vcc_lo, s1
	s_andn2_b32 exec_lo, exec_lo, s1
	s_cbranch_execnz .LBB177_90
; %bb.91:
	s_or_b32 exec_lo, exec_lo, s1
.LBB177_92:
	s_or_b32 exec_lo, exec_lo, s0
	v_add_nc_u32_e32 v17, v27, v20
	v_lshl_add_u32 v22, v24, 3, v16
	v_add_nc_u32_e32 v20, v48, v20
	v_add_nc_u32_e32 v54, 32, v27
	v_cmp_lt_i32_e64 s0, 15, v24
	v_sub_nc_u32_e32 v17, v17, v24
	v_sub_nc_u32_e32 v53, v20, v24
                                        ; implicit-def: $vgpr20_vgpr21
	v_lshl_add_u32 v25, v17, 3, v51
	ds_read_b64 v[16:17], v22
	ds_read_b64 v[18:19], v25 offset:128
	v_cmp_gt_i32_e64 s1, v54, v53
	s_waitcnt lgkmcnt(0)
	v_cmp_lt_i64_e32 vcc_lo, v[18:19], v[16:17]
	s_or_b32 s0, s0, vcc_lo
	s_and_b32 vcc_lo, s1, s0
	s_xor_b32 s0, vcc_lo, -1
	s_and_saveexec_b32 s1, s0
	s_xor_b32 s0, exec_lo, s1
; %bb.93:
	ds_read_b64 v[20:21], v22 offset:8
                                        ; implicit-def: $vgpr25
; %bb.94:
	s_or_saveexec_b32 s0, s0
	v_mov_b32_e32 v23, v19
	v_mov_b32_e32 v22, v18
	s_xor_b32 exec_lo, exec_lo, s0
	s_cbranch_execz .LBB177_96
; %bb.95:
	ds_read_b64 v[22:23], v25 offset:136
	s_waitcnt lgkmcnt(1)
	v_mov_b32_e32 v21, v17
	v_mov_b32_e32 v20, v16
.LBB177_96:
	s_or_b32 exec_lo, exec_lo, s0
	v_add_nc_u32_e32 v55, v24, v27
	v_add_nc_u32_e32 v25, 1, v53
	s_waitcnt lgkmcnt(0)
	v_cmp_lt_i64_e64 s0, v[22:23], v[20:21]
	v_add_nc_u32_e32 v24, 1, v55
	v_cndmask_b32_e32 v57, v53, v25, vcc_lo
	v_cndmask_b32_e32 v56, v24, v55, vcc_lo
	v_cmp_lt_i32_e64 s2, v57, v54
                                        ; implicit-def: $vgpr24_vgpr25
	v_cmp_ge_i32_e64 s1, v56, v48
	s_or_b32 s0, s1, s0
	s_and_b32 s0, s2, s0
	s_xor_b32 s1, s0, -1
	s_and_saveexec_b32 s2, s1
	s_xor_b32 s1, exec_lo, s2
; %bb.97:
	v_lshl_add_u32 v24, v56, 3, v51
	ds_read_b64 v[24:25], v24 offset:8
; %bb.98:
	s_or_saveexec_b32 s1, s1
	v_mov_b32_e32 v27, v23
	v_mov_b32_e32 v26, v22
	s_xor_b32 exec_lo, exec_lo, s1
	s_cbranch_execz .LBB177_100
; %bb.99:
	s_waitcnt lgkmcnt(0)
	v_lshl_add_u32 v24, v57, 3, v51
	ds_read_b64 v[26:27], v24 offset:8
	v_mov_b32_e32 v25, v21
	v_mov_b32_e32 v24, v20
.LBB177_100:
	s_or_b32 exec_lo, exec_lo, s1
	v_add_nc_u32_e32 v28, 1, v56
	v_add_nc_u32_e32 v29, 1, v57
	s_waitcnt lgkmcnt(0)
	v_cmp_lt_i64_e64 s1, v[26:27], v[24:25]
	v_cndmask_b32_e64 v58, v28, v56, s0
	v_cndmask_b32_e64 v59, v57, v29, s0
                                        ; implicit-def: $vgpr28_vgpr29
	v_cmp_ge_i32_e64 s2, v58, v48
	v_cmp_lt_i32_e64 s3, v59, v54
	s_or_b32 s1, s2, s1
	s_and_b32 s1, s3, s1
	s_xor_b32 s2, s1, -1
	s_and_saveexec_b32 s3, s2
	s_xor_b32 s2, exec_lo, s3
; %bb.101:
	v_lshl_add_u32 v28, v58, 3, v51
	ds_read_b64 v[28:29], v28 offset:8
; %bb.102:
	s_or_saveexec_b32 s2, s2
	v_mov_b32_e32 v31, v27
	v_mov_b32_e32 v30, v26
	s_xor_b32 exec_lo, exec_lo, s2
	s_cbranch_execz .LBB177_104
; %bb.103:
	s_waitcnt lgkmcnt(0)
	v_lshl_add_u32 v28, v59, 3, v51
	ds_read_b64 v[30:31], v28 offset:8
	v_mov_b32_e32 v29, v25
	v_mov_b32_e32 v28, v24
.LBB177_104:
	s_or_b32 exec_lo, exec_lo, s2
	v_add_nc_u32_e32 v32, 1, v58
	v_add_nc_u32_e32 v33, 1, v59
	s_waitcnt lgkmcnt(0)
	v_cmp_lt_i64_e64 s2, v[30:31], v[28:29]
	v_cndmask_b32_e64 v60, v32, v58, s1
	v_cndmask_b32_e64 v61, v59, v33, s1
                                        ; implicit-def: $vgpr32_vgpr33
	v_cmp_ge_i32_e64 s3, v60, v48
	v_cmp_lt_i32_e64 s4, v61, v54
	s_or_b32 s2, s3, s2
	s_and_b32 s2, s4, s2
	s_xor_b32 s3, s2, -1
	s_and_saveexec_b32 s4, s3
	s_xor_b32 s3, exec_lo, s4
; %bb.105:
	v_lshl_add_u32 v32, v60, 3, v51
	ds_read_b64 v[32:33], v32 offset:8
; %bb.106:
	s_or_saveexec_b32 s3, s3
	v_mov_b32_e32 v35, v31
	v_mov_b32_e32 v34, v30
	s_xor_b32 exec_lo, exec_lo, s3
	s_cbranch_execz .LBB177_108
; %bb.107:
	s_waitcnt lgkmcnt(0)
	v_lshl_add_u32 v32, v61, 3, v51
	ds_read_b64 v[34:35], v32 offset:8
	v_mov_b32_e32 v33, v29
	v_mov_b32_e32 v32, v28
.LBB177_108:
	s_or_b32 exec_lo, exec_lo, s3
	v_add_nc_u32_e32 v36, 1, v60
	v_add_nc_u32_e32 v37, 1, v61
	s_waitcnt lgkmcnt(0)
	v_cmp_lt_i64_e64 s3, v[34:35], v[32:33]
                                        ; implicit-def: $vgpr40_vgpr41
	v_cndmask_b32_e64 v62, v36, v60, s2
	v_cndmask_b32_e64 v63, v61, v37, s2
	v_cmp_ge_i32_e64 s4, v62, v48
	v_cmp_lt_i32_e64 s5, v63, v54
	s_or_b32 s3, s4, s3
	s_and_b32 s3, s5, s3
	s_xor_b32 s4, s3, -1
	s_and_saveexec_b32 s5, s4
	s_xor_b32 s4, exec_lo, s5
; %bb.109:
	v_lshl_add_u32 v36, v62, 3, v51
	ds_read_b64 v[40:41], v36 offset:8
; %bb.110:
	s_or_saveexec_b32 s4, s4
	v_mov_b32_e32 v43, v35
	v_mov_b32_e32 v42, v34
	s_xor_b32 exec_lo, exec_lo, s4
	s_cbranch_execz .LBB177_112
; %bb.111:
	v_lshl_add_u32 v36, v63, 3, v51
	s_waitcnt lgkmcnt(0)
	v_mov_b32_e32 v41, v33
	v_mov_b32_e32 v40, v32
	ds_read_b64 v[42:43], v36 offset:8
.LBB177_112:
	s_or_b32 exec_lo, exec_lo, s4
	v_add_nc_u32_e32 v36, 1, v62
	v_add_nc_u32_e32 v37, 1, v63
	s_waitcnt lgkmcnt(0)
	v_cmp_lt_i64_e64 s4, v[42:43], v[40:41]
                                        ; implicit-def: $vgpr44_vgpr45
	v_cndmask_b32_e64 v64, v36, v62, s3
	v_cndmask_b32_e64 v65, v63, v37, s3
	v_cmp_ge_i32_e64 s5, v64, v48
	v_cmp_lt_i32_e64 s6, v65, v54
	s_or_b32 s4, s5, s4
	s_and_b32 s4, s6, s4
	s_xor_b32 s5, s4, -1
	s_and_saveexec_b32 s6, s5
	s_xor_b32 s5, exec_lo, s6
; %bb.113:
	v_lshl_add_u32 v36, v64, 3, v51
	ds_read_b64 v[44:45], v36 offset:8
; %bb.114:
	s_or_saveexec_b32 s5, s5
	v_mov_b32_e32 v47, v43
	v_mov_b32_e32 v46, v42
	s_xor_b32 exec_lo, exec_lo, s5
	s_cbranch_execz .LBB177_116
; %bb.115:
	v_lshl_add_u32 v36, v65, 3, v51
	s_waitcnt lgkmcnt(0)
	v_mov_b32_e32 v45, v41
	v_mov_b32_e32 v44, v40
	ds_read_b64 v[46:47], v36 offset:8
.LBB177_116:
	s_or_b32 exec_lo, exec_lo, s5
	v_add_nc_u32_e32 v36, 1, v64
	v_add_nc_u32_e32 v37, 1, v65
	s_waitcnt lgkmcnt(0)
	v_cmp_lt_i64_e64 s5, v[46:47], v[44:45]
	v_cndmask_b32_e64 v66, v36, v64, s4
	v_cndmask_b32_e64 v67, v65, v37, s4
                                        ; implicit-def: $vgpr36_vgpr37
	v_cmp_ge_i32_e64 s6, v66, v48
	v_cmp_lt_i32_e64 s7, v67, v54
	s_or_b32 s5, s6, s5
	s_and_b32 s5, s7, s5
	s_xor_b32 s6, s5, -1
	s_and_saveexec_b32 s7, s6
	s_xor_b32 s6, exec_lo, s7
; %bb.117:
	v_lshl_add_u32 v36, v66, 3, v51
	ds_read_b64 v[36:37], v36 offset:8
; %bb.118:
	s_or_saveexec_b32 s6, s6
	v_mov_b32_e32 v38, v46
	v_mov_b32_e32 v39, v47
	s_xor_b32 exec_lo, exec_lo, s6
	s_cbranch_execz .LBB177_120
; %bb.119:
	s_waitcnt lgkmcnt(0)
	v_lshl_add_u32 v36, v67, 3, v51
	ds_read_b64 v[38:39], v36 offset:8
	v_mov_b32_e32 v36, v44
	v_mov_b32_e32 v37, v45
.LBB177_120:
	s_or_b32 exec_lo, exec_lo, s6
	v_add_nc_u32_e32 v69, 1, v66
	v_add_nc_u32_e32 v68, 1, v67
	v_cndmask_b32_e64 v45, v45, v47, s5
	v_cndmask_b32_e64 v44, v44, v46, s5
	;; [unrolled: 1-line block ×7, first 2 shown]
	s_waitcnt lgkmcnt(0)
	v_cmp_lt_i64_e64 s2, v[38:39], v[36:37]
	v_cndmask_b32_e64 v33, v33, v35, s3
	v_cndmask_b32_e64 v32, v32, v34, s3
	;; [unrolled: 1-line block ×3, first 2 shown]
	v_cmp_ge_i32_e64 s3, v47, v48
	v_cndmask_b32_e64 v41, v41, v43, s4
	v_cndmask_b32_e64 v40, v40, v42, s4
	;; [unrolled: 1-line block ×3, first 2 shown]
	v_cmp_lt_i32_e64 s4, v46, v54
	v_cndmask_b32_e64 v27, v25, v27, s1
	v_cndmask_b32_e64 v26, v24, v26, s1
	v_cndmask_b32_e64 v24, v58, v59, s1
	s_or_b32 s1, s3, s2
	v_cndmask_b32_e32 v35, v55, v53, vcc_lo
	v_cndmask_b32_e64 v25, v56, v57, s0
	s_and_b32 s1, s4, s1
	v_cndmask_b32_e64 v66, v66, v67, s5
	v_cndmask_b32_e64 v31, v37, v39, s1
	;; [unrolled: 1-line block ×3, first 2 shown]
	; wave barrier
	ds_write2_b64 v50, v[4:5], v[6:7] offset1:1
	ds_write2_b64 v50, v[0:1], v[2:3] offset0:2 offset1:3
	ds_write2_b64 v50, v[12:13], v[14:15] offset0:4 offset1:5
	;; [unrolled: 1-line block ×3, first 2 shown]
	v_lshl_add_u32 v0, v35, 3, v51
	v_lshl_add_u32 v8, v34, 3, v51
	;; [unrolled: 1-line block ×8, first 2 shown]
	; wave barrier
	ds_read_b64 v[4:5], v0
	ds_read_b64 v[6:7], v1
	;; [unrolled: 1-line block ×8, first 2 shown]
	v_and_b32_e32 v24, 0xc0, v52
	v_cndmask_b32_e64 v22, v20, v22, s0
	v_cndmask_b32_e32 v19, v17, v19, vcc_lo
	v_and_b32_e32 v20, 56, v52
	v_cndmask_b32_e64 v23, v21, v23, s0
	v_or_b32_e32 v48, 32, v24
	v_cndmask_b32_e32 v18, v16, v18, vcc_lo
	v_lshl_add_u32 v16, v24, 3, v51
	v_sub_nc_u32_e64 v25, v20, 32 clamp
	v_cndmask_b32_e64 v30, v36, v38, s1
	v_sub_nc_u32_e32 v17, v48, v24
	s_mov_b32 s0, exec_lo
	; wave barrier
	ds_write2_b64 v50, v[18:19], v[22:23] offset1:1
	ds_write2_b64 v50, v[26:27], v[28:29] offset0:2 offset1:3
	v_min_i32_e32 v17, v20, v17
	ds_write2_b64 v50, v[32:33], v[40:41] offset0:4 offset1:5
	ds_write2_b64 v50, v[44:45], v[30:31] offset0:6 offset1:7
	; wave barrier
	v_cmpx_lt_i32_e64 v25, v17
	s_cbranch_execz .LBB177_124
; %bb.121:
	v_lshl_add_u32 v18, v20, 3, v16
	s_mov_b32 s1, 0
	.p2align	6
.LBB177_122:                            ; =>This Inner Loop Header: Depth=1
	v_sub_nc_u32_e32 v19, v17, v25
	v_lshrrev_b32_e32 v19, 1, v19
	v_add_nc_u32_e32 v19, v19, v25
	v_not_b32_e32 v21, v19
	v_lshl_add_u32 v22, v19, 3, v16
	v_lshl_add_u32 v23, v21, 3, v18
	ds_read_b64 v[21:22], v22
	ds_read_b64 v[26:27], v23 offset:256
	s_waitcnt lgkmcnt(0)
	v_cmp_lt_i64_e32 vcc_lo, v[26:27], v[21:22]
	v_add_nc_u32_e32 v21, 1, v19
	v_cndmask_b32_e32 v17, v17, v19, vcc_lo
	v_cndmask_b32_e32 v25, v21, v25, vcc_lo
	v_cmp_ge_i32_e32 vcc_lo, v25, v17
	s_or_b32 s1, vcc_lo, s1
	s_andn2_b32 exec_lo, exec_lo, s1
	s_cbranch_execnz .LBB177_122
; %bb.123:
	s_or_b32 exec_lo, exec_lo, s1
.LBB177_124:
	s_or_b32 exec_lo, exec_lo, s0
	v_add_nc_u32_e32 v17, v24, v20
	v_lshl_add_u32 v22, v25, 3, v16
	v_add_nc_u32_e32 v20, v48, v20
	v_add_nc_u32_e32 v54, 64, v24
	v_cmp_lt_i32_e64 s0, 31, v25
	v_sub_nc_u32_e32 v17, v17, v25
	v_sub_nc_u32_e32 v53, v20, v25
                                        ; implicit-def: $vgpr20_vgpr21
	v_lshl_add_u32 v26, v17, 3, v51
	ds_read_b64 v[16:17], v22
	ds_read_b64 v[18:19], v26 offset:256
	v_cmp_gt_i32_e64 s1, v54, v53
	s_waitcnt lgkmcnt(0)
	v_cmp_lt_i64_e32 vcc_lo, v[18:19], v[16:17]
	s_or_b32 s0, s0, vcc_lo
	s_and_b32 vcc_lo, s1, s0
	s_xor_b32 s0, vcc_lo, -1
	s_and_saveexec_b32 s1, s0
	s_xor_b32 s0, exec_lo, s1
; %bb.125:
	ds_read_b64 v[20:21], v22 offset:8
                                        ; implicit-def: $vgpr26
; %bb.126:
	s_or_saveexec_b32 s0, s0
	v_mov_b32_e32 v23, v19
	v_mov_b32_e32 v22, v18
	s_xor_b32 exec_lo, exec_lo, s0
	s_cbranch_execz .LBB177_128
; %bb.127:
	ds_read_b64 v[22:23], v26 offset:264
	s_waitcnt lgkmcnt(1)
	v_mov_b32_e32 v21, v17
	v_mov_b32_e32 v20, v16
.LBB177_128:
	s_or_b32 exec_lo, exec_lo, s0
	v_add_nc_u32_e32 v55, v25, v24
	v_add_nc_u32_e32 v25, 1, v53
	s_waitcnt lgkmcnt(0)
	v_cmp_lt_i64_e64 s0, v[22:23], v[20:21]
	v_add_nc_u32_e32 v24, 1, v55
	v_cndmask_b32_e32 v57, v53, v25, vcc_lo
	v_cndmask_b32_e32 v56, v24, v55, vcc_lo
	v_cmp_lt_i32_e64 s2, v57, v54
                                        ; implicit-def: $vgpr24_vgpr25
	v_cmp_ge_i32_e64 s1, v56, v48
	s_or_b32 s0, s1, s0
	s_and_b32 s0, s2, s0
	s_xor_b32 s1, s0, -1
	s_and_saveexec_b32 s2, s1
	s_xor_b32 s1, exec_lo, s2
; %bb.129:
	v_lshl_add_u32 v24, v56, 3, v51
	ds_read_b64 v[24:25], v24 offset:8
; %bb.130:
	s_or_saveexec_b32 s1, s1
	v_mov_b32_e32 v27, v23
	v_mov_b32_e32 v26, v22
	s_xor_b32 exec_lo, exec_lo, s1
	s_cbranch_execz .LBB177_132
; %bb.131:
	s_waitcnt lgkmcnt(0)
	v_lshl_add_u32 v24, v57, 3, v51
	ds_read_b64 v[26:27], v24 offset:8
	v_mov_b32_e32 v25, v21
	v_mov_b32_e32 v24, v20
.LBB177_132:
	s_or_b32 exec_lo, exec_lo, s1
	v_add_nc_u32_e32 v28, 1, v56
	v_add_nc_u32_e32 v29, 1, v57
	s_waitcnt lgkmcnt(0)
	v_cmp_lt_i64_e64 s1, v[26:27], v[24:25]
	v_cndmask_b32_e64 v58, v28, v56, s0
	v_cndmask_b32_e64 v59, v57, v29, s0
                                        ; implicit-def: $vgpr28_vgpr29
	v_cmp_ge_i32_e64 s2, v58, v48
	v_cmp_lt_i32_e64 s3, v59, v54
	s_or_b32 s1, s2, s1
	s_and_b32 s1, s3, s1
	s_xor_b32 s2, s1, -1
	s_and_saveexec_b32 s3, s2
	s_xor_b32 s2, exec_lo, s3
; %bb.133:
	v_lshl_add_u32 v28, v58, 3, v51
	ds_read_b64 v[28:29], v28 offset:8
; %bb.134:
	s_or_saveexec_b32 s2, s2
	v_mov_b32_e32 v31, v27
	v_mov_b32_e32 v30, v26
	s_xor_b32 exec_lo, exec_lo, s2
	s_cbranch_execz .LBB177_136
; %bb.135:
	s_waitcnt lgkmcnt(0)
	v_lshl_add_u32 v28, v59, 3, v51
	ds_read_b64 v[30:31], v28 offset:8
	v_mov_b32_e32 v29, v25
	v_mov_b32_e32 v28, v24
.LBB177_136:
	s_or_b32 exec_lo, exec_lo, s2
	v_add_nc_u32_e32 v32, 1, v58
	v_add_nc_u32_e32 v33, 1, v59
	s_waitcnt lgkmcnt(0)
	v_cmp_lt_i64_e64 s2, v[30:31], v[28:29]
	v_cndmask_b32_e64 v60, v32, v58, s1
	v_cndmask_b32_e64 v61, v59, v33, s1
                                        ; implicit-def: $vgpr32_vgpr33
	v_cmp_ge_i32_e64 s3, v60, v48
	v_cmp_lt_i32_e64 s4, v61, v54
	s_or_b32 s2, s3, s2
	s_and_b32 s2, s4, s2
	s_xor_b32 s3, s2, -1
	s_and_saveexec_b32 s4, s3
	s_xor_b32 s3, exec_lo, s4
; %bb.137:
	v_lshl_add_u32 v32, v60, 3, v51
	ds_read_b64 v[32:33], v32 offset:8
; %bb.138:
	s_or_saveexec_b32 s3, s3
	v_mov_b32_e32 v35, v31
	v_mov_b32_e32 v34, v30
	s_xor_b32 exec_lo, exec_lo, s3
	s_cbranch_execz .LBB177_140
; %bb.139:
	s_waitcnt lgkmcnt(0)
	v_lshl_add_u32 v32, v61, 3, v51
	ds_read_b64 v[34:35], v32 offset:8
	v_mov_b32_e32 v33, v29
	v_mov_b32_e32 v32, v28
.LBB177_140:
	s_or_b32 exec_lo, exec_lo, s3
	v_add_nc_u32_e32 v36, 1, v60
	v_add_nc_u32_e32 v37, 1, v61
	s_waitcnt lgkmcnt(0)
	v_cmp_lt_i64_e64 s3, v[34:35], v[32:33]
                                        ; implicit-def: $vgpr40_vgpr41
	v_cndmask_b32_e64 v62, v36, v60, s2
	v_cndmask_b32_e64 v63, v61, v37, s2
	v_cmp_ge_i32_e64 s4, v62, v48
	v_cmp_lt_i32_e64 s5, v63, v54
	s_or_b32 s3, s4, s3
	s_and_b32 s3, s5, s3
	s_xor_b32 s4, s3, -1
	s_and_saveexec_b32 s5, s4
	s_xor_b32 s4, exec_lo, s5
; %bb.141:
	v_lshl_add_u32 v36, v62, 3, v51
	ds_read_b64 v[40:41], v36 offset:8
; %bb.142:
	s_or_saveexec_b32 s4, s4
	v_mov_b32_e32 v43, v35
	v_mov_b32_e32 v42, v34
	s_xor_b32 exec_lo, exec_lo, s4
	s_cbranch_execz .LBB177_144
; %bb.143:
	v_lshl_add_u32 v36, v63, 3, v51
	s_waitcnt lgkmcnt(0)
	v_mov_b32_e32 v41, v33
	v_mov_b32_e32 v40, v32
	ds_read_b64 v[42:43], v36 offset:8
.LBB177_144:
	s_or_b32 exec_lo, exec_lo, s4
	v_add_nc_u32_e32 v36, 1, v62
	v_add_nc_u32_e32 v37, 1, v63
	s_waitcnt lgkmcnt(0)
	v_cmp_lt_i64_e64 s4, v[42:43], v[40:41]
                                        ; implicit-def: $vgpr44_vgpr45
	v_cndmask_b32_e64 v64, v36, v62, s3
	v_cndmask_b32_e64 v65, v63, v37, s3
	v_cmp_ge_i32_e64 s5, v64, v48
	v_cmp_lt_i32_e64 s6, v65, v54
	s_or_b32 s4, s5, s4
	s_and_b32 s4, s6, s4
	s_xor_b32 s5, s4, -1
	s_and_saveexec_b32 s6, s5
	s_xor_b32 s5, exec_lo, s6
; %bb.145:
	v_lshl_add_u32 v36, v64, 3, v51
	ds_read_b64 v[44:45], v36 offset:8
; %bb.146:
	s_or_saveexec_b32 s5, s5
	v_mov_b32_e32 v47, v43
	v_mov_b32_e32 v46, v42
	s_xor_b32 exec_lo, exec_lo, s5
	s_cbranch_execz .LBB177_148
; %bb.147:
	v_lshl_add_u32 v36, v65, 3, v51
	s_waitcnt lgkmcnt(0)
	v_mov_b32_e32 v45, v41
	v_mov_b32_e32 v44, v40
	ds_read_b64 v[46:47], v36 offset:8
.LBB177_148:
	s_or_b32 exec_lo, exec_lo, s5
	v_add_nc_u32_e32 v36, 1, v64
	v_add_nc_u32_e32 v37, 1, v65
	s_waitcnt lgkmcnt(0)
	v_cmp_lt_i64_e64 s5, v[46:47], v[44:45]
	v_cndmask_b32_e64 v66, v36, v64, s4
	v_cndmask_b32_e64 v67, v65, v37, s4
                                        ; implicit-def: $vgpr36_vgpr37
	v_cmp_ge_i32_e64 s6, v66, v48
	v_cmp_lt_i32_e64 s7, v67, v54
	s_or_b32 s5, s6, s5
	s_and_b32 s5, s7, s5
	s_xor_b32 s6, s5, -1
	s_and_saveexec_b32 s7, s6
	s_xor_b32 s6, exec_lo, s7
; %bb.149:
	v_lshl_add_u32 v36, v66, 3, v51
	ds_read_b64 v[36:37], v36 offset:8
; %bb.150:
	s_or_saveexec_b32 s6, s6
	v_mov_b32_e32 v38, v46
	v_mov_b32_e32 v39, v47
	s_xor_b32 exec_lo, exec_lo, s6
	s_cbranch_execz .LBB177_152
; %bb.151:
	s_waitcnt lgkmcnt(0)
	v_lshl_add_u32 v36, v67, 3, v51
	ds_read_b64 v[38:39], v36 offset:8
	v_mov_b32_e32 v36, v44
	v_mov_b32_e32 v37, v45
.LBB177_152:
	s_or_b32 exec_lo, exec_lo, s6
	v_add_nc_u32_e32 v69, 1, v66
	v_add_nc_u32_e32 v68, 1, v67
	v_cndmask_b32_e64 v45, v45, v47, s5
	v_cndmask_b32_e64 v44, v44, v46, s5
	;; [unrolled: 1-line block ×7, first 2 shown]
	s_waitcnt lgkmcnt(0)
	v_cmp_lt_i64_e64 s2, v[38:39], v[36:37]
	v_cndmask_b32_e64 v33, v33, v35, s3
	v_cndmask_b32_e64 v32, v32, v34, s3
	;; [unrolled: 1-line block ×3, first 2 shown]
	v_cmp_ge_i32_e64 s3, v47, v48
	v_cndmask_b32_e64 v41, v41, v43, s4
	v_cndmask_b32_e64 v40, v40, v42, s4
	v_cndmask_b32_e64 v42, v64, v65, s4
	v_cmp_lt_i32_e64 s4, v46, v54
	v_cndmask_b32_e64 v27, v25, v27, s1
	v_cndmask_b32_e64 v26, v24, v26, s1
	;; [unrolled: 1-line block ×3, first 2 shown]
	s_or_b32 s1, s3, s2
	v_cndmask_b32_e32 v35, v55, v53, vcc_lo
	v_cndmask_b32_e64 v25, v56, v57, s0
	s_and_b32 s1, s4, s1
	v_cndmask_b32_e64 v66, v66, v67, s5
	v_cndmask_b32_e64 v31, v37, v39, s1
	;; [unrolled: 1-line block ×3, first 2 shown]
	; wave barrier
	ds_write2_b64 v50, v[4:5], v[6:7] offset1:1
	ds_write2_b64 v50, v[0:1], v[2:3] offset0:2 offset1:3
	ds_write2_b64 v50, v[12:13], v[14:15] offset0:4 offset1:5
	;; [unrolled: 1-line block ×3, first 2 shown]
	v_lshl_add_u32 v0, v35, 3, v51
	v_lshl_add_u32 v8, v34, 3, v51
	;; [unrolled: 1-line block ×8, first 2 shown]
	; wave barrier
	ds_read_b64 v[4:5], v0
	ds_read_b64 v[6:7], v1
	;; [unrolled: 1-line block ×8, first 2 shown]
	v_and_b32_e32 v24, 0x80, v52
	v_cndmask_b32_e64 v22, v20, v22, s0
	v_cndmask_b32_e32 v19, v17, v19, vcc_lo
	v_and_b32_e32 v20, 0x78, v52
	v_cndmask_b32_e64 v23, v21, v23, s0
	v_or_b32_e32 v48, 64, v24
	v_cndmask_b32_e32 v18, v16, v18, vcc_lo
	v_lshl_add_u32 v16, v24, 3, v51
	v_sub_nc_u32_e64 v25, v20, 64 clamp
	v_cndmask_b32_e64 v30, v36, v38, s1
	v_sub_nc_u32_e32 v17, v48, v24
	s_mov_b32 s0, exec_lo
	; wave barrier
	ds_write2_b64 v50, v[18:19], v[22:23] offset1:1
	ds_write2_b64 v50, v[26:27], v[28:29] offset0:2 offset1:3
	v_min_i32_e32 v17, v20, v17
	ds_write2_b64 v50, v[32:33], v[40:41] offset0:4 offset1:5
	ds_write2_b64 v50, v[44:45], v[30:31] offset0:6 offset1:7
	; wave barrier
	v_cmpx_lt_i32_e64 v25, v17
	s_cbranch_execz .LBB177_156
; %bb.153:
	v_lshl_add_u32 v18, v20, 3, v16
	s_mov_b32 s1, 0
	.p2align	6
.LBB177_154:                            ; =>This Inner Loop Header: Depth=1
	v_sub_nc_u32_e32 v19, v17, v25
	v_lshrrev_b32_e32 v19, 1, v19
	v_add_nc_u32_e32 v19, v19, v25
	v_not_b32_e32 v21, v19
	v_lshl_add_u32 v22, v19, 3, v16
	v_lshl_add_u32 v23, v21, 3, v18
	ds_read_b64 v[21:22], v22
	ds_read_b64 v[26:27], v23 offset:512
	s_waitcnt lgkmcnt(0)
	v_cmp_lt_i64_e32 vcc_lo, v[26:27], v[21:22]
	v_add_nc_u32_e32 v21, 1, v19
	v_cndmask_b32_e32 v17, v17, v19, vcc_lo
	v_cndmask_b32_e32 v25, v21, v25, vcc_lo
	v_cmp_ge_i32_e32 vcc_lo, v25, v17
	s_or_b32 s1, vcc_lo, s1
	s_andn2_b32 exec_lo, exec_lo, s1
	s_cbranch_execnz .LBB177_154
; %bb.155:
	s_or_b32 exec_lo, exec_lo, s1
.LBB177_156:
	s_or_b32 exec_lo, exec_lo, s0
	v_add_nc_u32_e32 v17, v24, v20
	v_lshl_add_u32 v22, v25, 3, v16
	v_add_nc_u32_e32 v20, v48, v20
	v_add_nc_u32_e32 v54, 0x80, v24
	v_cmp_lt_i32_e64 s0, 63, v25
	v_sub_nc_u32_e32 v17, v17, v25
	v_sub_nc_u32_e32 v53, v20, v25
                                        ; implicit-def: $vgpr20_vgpr21
	v_lshl_add_u32 v26, v17, 3, v51
	ds_read_b64 v[16:17], v22
	ds_read_b64 v[18:19], v26 offset:512
	v_cmp_gt_i32_e64 s1, v54, v53
	s_waitcnt lgkmcnt(0)
	v_cmp_lt_i64_e32 vcc_lo, v[18:19], v[16:17]
	s_or_b32 s0, s0, vcc_lo
	s_and_b32 vcc_lo, s1, s0
	s_xor_b32 s0, vcc_lo, -1
	s_and_saveexec_b32 s1, s0
	s_xor_b32 s0, exec_lo, s1
; %bb.157:
	ds_read_b64 v[20:21], v22 offset:8
                                        ; implicit-def: $vgpr26
; %bb.158:
	s_or_saveexec_b32 s0, s0
	v_mov_b32_e32 v23, v19
	v_mov_b32_e32 v22, v18
	s_xor_b32 exec_lo, exec_lo, s0
	s_cbranch_execz .LBB177_160
; %bb.159:
	ds_read_b64 v[22:23], v26 offset:520
	s_waitcnt lgkmcnt(1)
	v_mov_b32_e32 v21, v17
	v_mov_b32_e32 v20, v16
.LBB177_160:
	s_or_b32 exec_lo, exec_lo, s0
	v_add_nc_u32_e32 v55, v25, v24
	v_add_nc_u32_e32 v25, 1, v53
	s_waitcnt lgkmcnt(0)
	v_cmp_lt_i64_e64 s0, v[22:23], v[20:21]
	v_add_nc_u32_e32 v24, 1, v55
	v_cndmask_b32_e32 v57, v53, v25, vcc_lo
	v_cndmask_b32_e32 v56, v24, v55, vcc_lo
	v_cmp_lt_i32_e64 s2, v57, v54
                                        ; implicit-def: $vgpr24_vgpr25
	v_cmp_ge_i32_e64 s1, v56, v48
	s_or_b32 s0, s1, s0
	s_and_b32 s0, s2, s0
	s_xor_b32 s1, s0, -1
	s_and_saveexec_b32 s2, s1
	s_xor_b32 s1, exec_lo, s2
; %bb.161:
	v_lshl_add_u32 v24, v56, 3, v51
	ds_read_b64 v[24:25], v24 offset:8
; %bb.162:
	s_or_saveexec_b32 s1, s1
	v_mov_b32_e32 v27, v23
	v_mov_b32_e32 v26, v22
	s_xor_b32 exec_lo, exec_lo, s1
	s_cbranch_execz .LBB177_164
; %bb.163:
	s_waitcnt lgkmcnt(0)
	v_lshl_add_u32 v24, v57, 3, v51
	ds_read_b64 v[26:27], v24 offset:8
	v_mov_b32_e32 v25, v21
	v_mov_b32_e32 v24, v20
.LBB177_164:
	s_or_b32 exec_lo, exec_lo, s1
	v_add_nc_u32_e32 v28, 1, v56
	v_add_nc_u32_e32 v29, 1, v57
	s_waitcnt lgkmcnt(0)
	v_cmp_lt_i64_e64 s1, v[26:27], v[24:25]
	v_cndmask_b32_e64 v58, v28, v56, s0
	v_cndmask_b32_e64 v59, v57, v29, s0
                                        ; implicit-def: $vgpr28_vgpr29
	v_cmp_ge_i32_e64 s2, v58, v48
	v_cmp_lt_i32_e64 s3, v59, v54
	s_or_b32 s1, s2, s1
	s_and_b32 s1, s3, s1
	s_xor_b32 s2, s1, -1
	s_and_saveexec_b32 s3, s2
	s_xor_b32 s2, exec_lo, s3
; %bb.165:
	v_lshl_add_u32 v28, v58, 3, v51
	ds_read_b64 v[28:29], v28 offset:8
; %bb.166:
	s_or_saveexec_b32 s2, s2
	v_mov_b32_e32 v31, v27
	v_mov_b32_e32 v30, v26
	s_xor_b32 exec_lo, exec_lo, s2
	s_cbranch_execz .LBB177_168
; %bb.167:
	s_waitcnt lgkmcnt(0)
	v_lshl_add_u32 v28, v59, 3, v51
	ds_read_b64 v[30:31], v28 offset:8
	v_mov_b32_e32 v29, v25
	v_mov_b32_e32 v28, v24
.LBB177_168:
	s_or_b32 exec_lo, exec_lo, s2
	v_add_nc_u32_e32 v32, 1, v58
	v_add_nc_u32_e32 v33, 1, v59
	s_waitcnt lgkmcnt(0)
	v_cmp_lt_i64_e64 s2, v[30:31], v[28:29]
	v_cndmask_b32_e64 v60, v32, v58, s1
	v_cndmask_b32_e64 v61, v59, v33, s1
                                        ; implicit-def: $vgpr32_vgpr33
	v_cmp_ge_i32_e64 s3, v60, v48
	v_cmp_lt_i32_e64 s4, v61, v54
	s_or_b32 s2, s3, s2
	s_and_b32 s2, s4, s2
	s_xor_b32 s3, s2, -1
	s_and_saveexec_b32 s4, s3
	s_xor_b32 s3, exec_lo, s4
; %bb.169:
	v_lshl_add_u32 v32, v60, 3, v51
	ds_read_b64 v[32:33], v32 offset:8
; %bb.170:
	s_or_saveexec_b32 s3, s3
	v_mov_b32_e32 v35, v31
	v_mov_b32_e32 v34, v30
	s_xor_b32 exec_lo, exec_lo, s3
	s_cbranch_execz .LBB177_172
; %bb.171:
	s_waitcnt lgkmcnt(0)
	v_lshl_add_u32 v32, v61, 3, v51
	ds_read_b64 v[34:35], v32 offset:8
	v_mov_b32_e32 v33, v29
	v_mov_b32_e32 v32, v28
.LBB177_172:
	s_or_b32 exec_lo, exec_lo, s3
	v_add_nc_u32_e32 v36, 1, v60
	v_add_nc_u32_e32 v37, 1, v61
	s_waitcnt lgkmcnt(0)
	v_cmp_lt_i64_e64 s3, v[34:35], v[32:33]
                                        ; implicit-def: $vgpr38_vgpr39
	v_cndmask_b32_e64 v62, v36, v60, s2
	v_cndmask_b32_e64 v63, v61, v37, s2
	v_cmp_ge_i32_e64 s4, v62, v48
	v_cmp_lt_i32_e64 s5, v63, v54
	s_or_b32 s3, s4, s3
	s_and_b32 s3, s5, s3
	s_xor_b32 s4, s3, -1
	s_and_saveexec_b32 s5, s4
	s_xor_b32 s4, exec_lo, s5
; %bb.173:
	v_lshl_add_u32 v36, v62, 3, v51
	ds_read_b64 v[38:39], v36 offset:8
; %bb.174:
	s_or_saveexec_b32 s4, s4
	v_mov_b32_e32 v43, v35
	v_mov_b32_e32 v42, v34
	s_xor_b32 exec_lo, exec_lo, s4
	s_cbranch_execz .LBB177_176
; %bb.175:
	v_lshl_add_u32 v36, v63, 3, v51
	s_waitcnt lgkmcnt(0)
	v_mov_b32_e32 v39, v33
	v_mov_b32_e32 v38, v32
	ds_read_b64 v[42:43], v36 offset:8
.LBB177_176:
	s_or_b32 exec_lo, exec_lo, s4
	v_add_nc_u32_e32 v36, 1, v62
	v_add_nc_u32_e32 v37, 1, v63
	s_waitcnt lgkmcnt(0)
	v_cmp_lt_i64_e64 s4, v[42:43], v[38:39]
                                        ; implicit-def: $vgpr44_vgpr45
	v_cndmask_b32_e64 v64, v36, v62, s3
	v_cndmask_b32_e64 v65, v63, v37, s3
	v_cmp_ge_i32_e64 s5, v64, v48
	v_cmp_lt_i32_e64 s6, v65, v54
	s_or_b32 s4, s5, s4
	s_and_b32 s4, s6, s4
	s_xor_b32 s5, s4, -1
	s_and_saveexec_b32 s6, s5
	s_xor_b32 s5, exec_lo, s6
; %bb.177:
	v_lshl_add_u32 v36, v64, 3, v51
	ds_read_b64 v[44:45], v36 offset:8
; %bb.178:
	s_or_saveexec_b32 s5, s5
	v_mov_b32_e32 v47, v43
	v_mov_b32_e32 v46, v42
	s_xor_b32 exec_lo, exec_lo, s5
	s_cbranch_execz .LBB177_180
; %bb.179:
	v_lshl_add_u32 v36, v65, 3, v51
	s_waitcnt lgkmcnt(0)
	v_mov_b32_e32 v45, v39
	v_mov_b32_e32 v44, v38
	ds_read_b64 v[46:47], v36 offset:8
.LBB177_180:
	s_or_b32 exec_lo, exec_lo, s5
	v_add_nc_u32_e32 v36, 1, v64
	v_add_nc_u32_e32 v37, 1, v65
	s_waitcnt lgkmcnt(0)
	v_cmp_lt_i64_e64 s5, v[46:47], v[44:45]
	v_cndmask_b32_e64 v66, v36, v64, s4
	v_cndmask_b32_e64 v67, v65, v37, s4
                                        ; implicit-def: $vgpr36_vgpr37
	v_cmp_ge_i32_e64 s6, v66, v48
	v_cmp_lt_i32_e64 s7, v67, v54
	s_or_b32 s5, s6, s5
	s_and_b32 s5, s7, s5
	s_xor_b32 s6, s5, -1
	s_and_saveexec_b32 s7, s6
	s_xor_b32 s6, exec_lo, s7
; %bb.181:
	v_lshl_add_u32 v36, v66, 3, v51
	ds_read_b64 v[36:37], v36 offset:8
; %bb.182:
	s_or_saveexec_b32 s6, s6
	v_mov_b32_e32 v40, v46
	v_mov_b32_e32 v41, v47
	s_xor_b32 exec_lo, exec_lo, s6
	s_cbranch_execz .LBB177_184
; %bb.183:
	s_waitcnt lgkmcnt(0)
	v_lshl_add_u32 v36, v67, 3, v51
	ds_read_b64 v[40:41], v36 offset:8
	v_mov_b32_e32 v36, v44
	v_mov_b32_e32 v37, v45
.LBB177_184:
	s_or_b32 exec_lo, exec_lo, s6
	v_add_nc_u32_e32 v69, 1, v66
	v_add_nc_u32_e32 v68, 1, v67
	v_cndmask_b32_e64 v45, v45, v47, s5
	v_cndmask_b32_e64 v44, v44, v46, s5
	;; [unrolled: 1-line block ×7, first 2 shown]
	s_waitcnt lgkmcnt(0)
	v_cmp_lt_i64_e64 s3, v[40:41], v[36:37]
	v_cndmask_b32_e64 v39, v39, v43, s4
	v_cndmask_b32_e64 v38, v38, v42, s4
	;; [unrolled: 1-line block ×3, first 2 shown]
	v_cmp_ge_i32_e64 s4, v47, v48
	v_cndmask_b32_e64 v66, v66, v67, s5
	v_cmp_lt_i32_e64 s5, v46, v54
	v_cndmask_b32_e32 v53, v55, v53, vcc_lo
	v_cndmask_b32_e64 v48, v56, v57, s0
	s_or_b32 s3, s4, s3
	v_cndmask_b32_e64 v43, v58, v59, s1
	v_cndmask_b32_e64 v35, v60, v61, s2
	s_and_b32 s3, s5, s3
	v_cndmask_b32_e64 v29, v29, v31, s2
	v_cndmask_b32_e64 v31, v37, v41, s3
	;; [unrolled: 1-line block ×3, first 2 shown]
	; wave barrier
	ds_write2_b64 v50, v[4:5], v[6:7] offset1:1
	ds_write2_b64 v50, v[0:1], v[2:3] offset0:2 offset1:3
	ds_write2_b64 v50, v[12:13], v[14:15] offset0:4 offset1:5
	;; [unrolled: 1-line block ×3, first 2 shown]
	v_lshl_add_u32 v0, v53, 3, v51
	v_lshl_add_u32 v1, v48, 3, v51
	;; [unrolled: 1-line block ×6, first 2 shown]
	; wave barrier
	v_lshl_add_u32 v34, v66, 3, v51
	v_lshl_add_u32 v35, v37, 3, v51
	ds_read_b64 v[12:13], v0
	ds_read_b64 v[14:15], v1
	;; [unrolled: 1-line block ×8, first 2 shown]
	v_cndmask_b32_e64 v21, v21, v23, s0
	v_cndmask_b32_e64 v20, v20, v22, s0
	v_cndmask_b32_e32 v19, v17, v19, vcc_lo
	v_cndmask_b32_e32 v18, v16, v18, vcc_lo
	v_subrev_nc_u32_e64 v48, 0x80, v52 clamp
	v_min_u32_e32 v16, 0x80, v52
	v_cndmask_b32_e64 v28, v28, v30, s2
	v_cndmask_b32_e64 v25, v25, v27, s1
	;; [unrolled: 1-line block ×4, first 2 shown]
	s_mov_b32 s0, exec_lo
	; wave barrier
	ds_write2_b64 v50, v[18:19], v[20:21] offset1:1
	ds_write2_b64 v50, v[24:25], v[28:29] offset0:2 offset1:3
	ds_write2_b64 v50, v[32:33], v[38:39] offset0:4 offset1:5
	;; [unrolled: 1-line block ×3, first 2 shown]
	; wave barrier
	v_cmpx_lt_u32_e64 v48, v16
	s_cbranch_execz .LBB177_188
; %bb.185:
	s_mov_b32 s1, 0
	.p2align	6
.LBB177_186:                            ; =>This Inner Loop Header: Depth=1
	v_sub_nc_u32_e32 v17, v16, v48
	v_lshrrev_b32_e32 v17, 1, v17
	v_add_nc_u32_e32 v21, v17, v48
	v_not_b32_e32 v17, v21
	v_lshl_add_u32 v18, v21, 3, v51
	v_lshl_add_u32 v19, v17, 3, v50
	ds_read_b64 v[17:18], v18
	ds_read_b64 v[19:20], v19 offset:1024
	s_waitcnt lgkmcnt(0)
	v_cmp_lt_i64_e32 vcc_lo, v[19:20], v[17:18]
	v_add_nc_u32_e32 v17, 1, v21
	v_cndmask_b32_e32 v16, v16, v21, vcc_lo
	v_cndmask_b32_e32 v48, v17, v48, vcc_lo
	v_cmp_ge_i32_e32 vcc_lo, v48, v16
	s_or_b32 s1, vcc_lo, s1
	s_andn2_b32 exec_lo, exec_lo, s1
	s_cbranch_execnz .LBB177_186
; %bb.187:
	s_or_b32 exec_lo, exec_lo, s1
.LBB177_188:
	s_or_b32 exec_lo, exec_lo, s0
	v_sub_nc_u32_e32 v20, v52, v48
	v_lshl_add_u32 v22, v48, 3, v51
	v_cmp_lt_i32_e64 s0, 0x7f, v48
	v_lshl_add_u32 v24, v20, 3, v51
	v_add_nc_u32_e32 v52, 0x80, v20
                                        ; implicit-def: $vgpr20_vgpr21
	ds_read_b64 v[16:17], v22
	ds_read_b64 v[18:19], v24 offset:1024
	v_cmp_gt_i32_e64 s1, 0x100, v52
	s_waitcnt lgkmcnt(0)
	v_cmp_lt_i64_e32 vcc_lo, v[18:19], v[16:17]
	s_or_b32 s0, s0, vcc_lo
	s_and_b32 vcc_lo, s1, s0
	s_xor_b32 s0, vcc_lo, -1
	s_and_saveexec_b32 s1, s0
	s_xor_b32 s0, exec_lo, s1
; %bb.189:
	ds_read_b64 v[20:21], v22 offset:8
                                        ; implicit-def: $vgpr24
; %bb.190:
	s_or_saveexec_b32 s0, s0
	v_mov_b32_e32 v23, v19
	v_mov_b32_e32 v22, v18
	s_xor_b32 exec_lo, exec_lo, s0
	s_cbranch_execz .LBB177_192
; %bb.191:
	ds_read_b64 v[22:23], v24 offset:1032
	s_waitcnt lgkmcnt(1)
	v_mov_b32_e32 v21, v17
	v_mov_b32_e32 v20, v16
.LBB177_192:
	s_or_b32 exec_lo, exec_lo, s0
	v_add_nc_u32_e32 v24, 1, v48
	v_add_nc_u32_e32 v25, 1, v52
	s_waitcnt lgkmcnt(0)
	v_cmp_lt_i64_e64 s0, v[22:23], v[20:21]
	v_cndmask_b32_e32 v53, v24, v48, vcc_lo
	v_cndmask_b32_e32 v54, v52, v25, vcc_lo
                                        ; implicit-def: $vgpr24_vgpr25
	v_cmp_lt_i32_e64 s1, 0x7f, v53
	v_cmp_gt_i32_e64 s2, 0x100, v54
	s_or_b32 s0, s1, s0
	s_and_b32 s0, s2, s0
	s_xor_b32 s1, s0, -1
	s_and_saveexec_b32 s2, s1
	s_xor_b32 s1, exec_lo, s2
; %bb.193:
	v_lshl_add_u32 v24, v53, 3, v51
	ds_read_b64 v[24:25], v24 offset:8
; %bb.194:
	s_or_saveexec_b32 s1, s1
	v_mov_b32_e32 v27, v23
	v_mov_b32_e32 v26, v22
	s_xor_b32 exec_lo, exec_lo, s1
	s_cbranch_execz .LBB177_196
; %bb.195:
	s_waitcnt lgkmcnt(0)
	v_lshl_add_u32 v24, v54, 3, v51
	ds_read_b64 v[26:27], v24 offset:8
	v_mov_b32_e32 v25, v21
	v_mov_b32_e32 v24, v20
.LBB177_196:
	s_or_b32 exec_lo, exec_lo, s1
	v_add_nc_u32_e32 v28, 1, v53
	v_add_nc_u32_e32 v29, 1, v54
	s_waitcnt lgkmcnt(0)
	v_cmp_lt_i64_e64 s1, v[26:27], v[24:25]
	v_cndmask_b32_e64 v55, v28, v53, s0
	v_cndmask_b32_e64 v56, v54, v29, s0
                                        ; implicit-def: $vgpr28_vgpr29
	v_cmp_lt_i32_e64 s2, 0x7f, v55
	v_cmp_gt_i32_e64 s3, 0x100, v56
	s_or_b32 s1, s2, s1
	s_and_b32 s1, s3, s1
	s_xor_b32 s2, s1, -1
	s_and_saveexec_b32 s3, s2
	s_xor_b32 s2, exec_lo, s3
; %bb.197:
	v_lshl_add_u32 v28, v55, 3, v51
	ds_read_b64 v[28:29], v28 offset:8
; %bb.198:
	s_or_saveexec_b32 s2, s2
	v_mov_b32_e32 v31, v27
	v_mov_b32_e32 v30, v26
	s_xor_b32 exec_lo, exec_lo, s2
	s_cbranch_execz .LBB177_200
; %bb.199:
	s_waitcnt lgkmcnt(0)
	v_lshl_add_u32 v28, v56, 3, v51
	ds_read_b64 v[30:31], v28 offset:8
	v_mov_b32_e32 v29, v25
	v_mov_b32_e32 v28, v24
.LBB177_200:
	s_or_b32 exec_lo, exec_lo, s2
	v_add_nc_u32_e32 v32, 1, v55
	v_add_nc_u32_e32 v33, 1, v56
	s_waitcnt lgkmcnt(0)
	v_cmp_lt_i64_e64 s2, v[30:31], v[28:29]
	v_cndmask_b32_e64 v57, v32, v55, s1
	v_cndmask_b32_e64 v58, v56, v33, s1
                                        ; implicit-def: $vgpr32_vgpr33
	v_cmp_lt_i32_e64 s3, 0x7f, v57
	v_cmp_gt_i32_e64 s4, 0x100, v58
	s_or_b32 s2, s3, s2
	s_and_b32 s2, s4, s2
	s_xor_b32 s3, s2, -1
	s_and_saveexec_b32 s4, s3
	s_xor_b32 s3, exec_lo, s4
; %bb.201:
	v_lshl_add_u32 v32, v57, 3, v51
	ds_read_b64 v[32:33], v32 offset:8
; %bb.202:
	s_or_saveexec_b32 s3, s3
	v_mov_b32_e32 v35, v31
	v_mov_b32_e32 v34, v30
	s_xor_b32 exec_lo, exec_lo, s3
	s_cbranch_execz .LBB177_204
; %bb.203:
	s_waitcnt lgkmcnt(0)
	v_lshl_add_u32 v32, v58, 3, v51
	ds_read_b64 v[34:35], v32 offset:8
	v_mov_b32_e32 v33, v29
	v_mov_b32_e32 v32, v28
.LBB177_204:
	s_or_b32 exec_lo, exec_lo, s3
	v_add_nc_u32_e32 v36, 1, v57
	v_add_nc_u32_e32 v37, 1, v58
	s_waitcnt lgkmcnt(0)
	v_cmp_lt_i64_e64 s3, v[34:35], v[32:33]
                                        ; implicit-def: $vgpr38_vgpr39
	v_cndmask_b32_e64 v59, v36, v57, s2
	v_cndmask_b32_e64 v60, v58, v37, s2
	v_cmp_lt_i32_e64 s4, 0x7f, v59
	v_cmp_gt_i32_e64 s5, 0x100, v60
	s_or_b32 s3, s4, s3
	s_and_b32 s3, s5, s3
	s_xor_b32 s4, s3, -1
	s_and_saveexec_b32 s5, s4
	s_xor_b32 s4, exec_lo, s5
; %bb.205:
	v_lshl_add_u32 v36, v59, 3, v51
	ds_read_b64 v[38:39], v36 offset:8
; %bb.206:
	s_or_saveexec_b32 s4, s4
	v_mov_b32_e32 v43, v35
	v_mov_b32_e32 v42, v34
	s_xor_b32 exec_lo, exec_lo, s4
	s_cbranch_execz .LBB177_208
; %bb.207:
	v_lshl_add_u32 v36, v60, 3, v51
	s_waitcnt lgkmcnt(0)
	v_mov_b32_e32 v39, v33
	v_mov_b32_e32 v38, v32
	ds_read_b64 v[42:43], v36 offset:8
.LBB177_208:
	s_or_b32 exec_lo, exec_lo, s4
	v_add_nc_u32_e32 v36, 1, v59
	v_add_nc_u32_e32 v37, 1, v60
	s_waitcnt lgkmcnt(0)
	v_cmp_lt_i64_e64 s4, v[42:43], v[38:39]
                                        ; implicit-def: $vgpr46_vgpr47
	v_cndmask_b32_e64 v62, v36, v59, s3
	v_cndmask_b32_e64 v63, v60, v37, s3
	v_cmp_lt_i32_e64 s5, 0x7f, v62
	v_cmp_gt_i32_e64 s6, 0x100, v63
	s_or_b32 s4, s5, s4
	s_and_b32 s4, s6, s4
	s_xor_b32 s5, s4, -1
	s_and_saveexec_b32 s6, s5
	s_xor_b32 s5, exec_lo, s6
; %bb.209:
	v_lshl_add_u32 v36, v62, 3, v51
	ds_read_b64 v[46:47], v36 offset:8
; %bb.210:
	s_or_saveexec_b32 s5, s5
	v_mov_b32_e32 v36, v42
	v_mov_b32_e32 v37, v43
	s_xor_b32 exec_lo, exec_lo, s5
	s_cbranch_execz .LBB177_212
; %bb.211:
	v_lshl_add_u32 v36, v63, 3, v51
	s_waitcnt lgkmcnt(0)
	v_mov_b32_e32 v47, v39
	v_mov_b32_e32 v46, v38
	ds_read_b64 v[36:37], v36 offset:8
.LBB177_212:
	s_or_b32 exec_lo, exec_lo, s5
	v_add_nc_u32_e32 v40, 1, v62
	v_add_nc_u32_e32 v41, 1, v63
	s_waitcnt lgkmcnt(0)
	v_cmp_ge_i64_e64 s5, v[36:37], v[46:47]
                                        ; implicit-def: $vgpr44_vgpr45
                                        ; implicit-def: $vgpr64
	v_cndmask_b32_e64 v66, v40, v62, s4
	v_cndmask_b32_e64 v61, v63, v41, s4
	v_cmp_gt_i32_e64 s6, 0x80, v66
	v_cmp_lt_i32_e64 s7, 0xff, v61
	s_and_b32 s5, s6, s5
	s_or_b32 s5, s7, s5
	s_and_saveexec_b32 s6, s5
	s_xor_b32 s5, exec_lo, s6
; %bb.213:
	v_lshl_add_u32 v40, v66, 3, v51
	v_add_nc_u32_e32 v64, 1, v66
	ds_read_b64 v[44:45], v40 offset:8
; %bb.214:
	s_or_saveexec_b32 s5, s5
	v_mov_b32_e32 v40, v46
	v_mov_b32_e32 v41, v47
	;; [unrolled: 1-line block ×3, first 2 shown]
	s_xor_b32 exec_lo, exec_lo, s5
	s_cbranch_execz .LBB177_216
; %bb.215:
	v_lshl_add_u32 v40, v61, 3, v51
	s_waitcnt lgkmcnt(0)
	v_add_nc_u32_e32 v44, 1, v61
	v_mov_b32_e32 v65, v61
	v_mov_b32_e32 v64, v66
	ds_read_b64 v[67:68], v40 offset:8
	v_mov_b32_e32 v41, v37
	v_mov_b32_e32 v40, v36
	;; [unrolled: 1-line block ×5, first 2 shown]
	s_waitcnt lgkmcnt(0)
	v_mov_b32_e32 v36, v67
	v_mov_b32_e32 v37, v68
.LBB177_216:
	s_or_b32 exec_lo, exec_lo, s5
	v_cndmask_b32_e64 v25, v25, v27, s1
	v_cndmask_b32_e64 v24, v24, v26, s1
	v_cndmask_b32_e64 v26, v53, v54, s0
	v_cndmask_b32_e32 v27, v48, v52, vcc_lo
	v_cndmask_b32_e64 v21, v21, v23, s0
	v_cndmask_b32_e64 v23, v55, v56, s1
	s_waitcnt lgkmcnt(0)
	v_cmp_lt_i64_e64 s1, v[36:37], v[44:45]
	v_cndmask_b32_e64 v20, v20, v22, s0
	v_cmp_lt_i32_e64 s0, 0x7f, v64
	; wave barrier
	ds_write2_b64 v50, v[12:13], v[14:15] offset1:1
	ds_write2_b64 v50, v[8:9], v[10:11] offset0:2 offset1:3
	ds_write2_b64 v50, v[4:5], v[6:7] offset0:4 offset1:5
	v_lshl_add_u32 v4, v27, 3, v51
	ds_write2_b64 v50, v[0:1], v[2:3] offset0:6 offset1:7
	v_lshl_add_u32 v2, v26, 3, v51
	v_cndmask_b32_e64 v22, v57, v58, s2
	v_cndmask_b32_e32 v17, v17, v19, vcc_lo
	v_cndmask_b32_e32 v16, v16, v18, vcc_lo
	v_cmp_gt_i32_e32 vcc_lo, 0x100, v61
	; wave barrier
	ds_read_b64 v[0:1], v4
	ds_read_b64 v[2:3], v2
	s_or_b32 s0, s0, s1
	v_lshl_add_u32 v4, v23, 3, v51
	v_cndmask_b32_e64 v19, v59, v60, s3
	v_lshl_add_u32 v6, v22, 3, v51
	v_cndmask_b32_e64 v18, v62, v63, s4
	s_and_b32 vcc_lo, vcc_lo, s0
	ds_read_b64 v[4:5], v4
	ds_read_b64 v[6:7], v6
	v_cndmask_b32_e32 v8, v64, v61, vcc_lo
	v_lshl_add_u32 v9, v19, 3, v51
	v_lshl_add_u32 v10, v18, 3, v51
	;; [unrolled: 1-line block ×3, first 2 shown]
	v_cndmask_b32_e32 v22, v45, v37, vcc_lo
	v_lshl_add_u32 v14, v8, 3, v51
	ds_read_b64 v[8:9], v9
	ds_read_b64 v[10:11], v10
	;; [unrolled: 1-line block ×4, first 2 shown]
	v_cndmask_b32_e32 v18, v44, v36, vcc_lo
	v_cndmask_b32_e64 v28, v28, v30, s2
	s_waitcnt lgkmcnt(7)
	v_add_co_u32 v0, vcc_lo, v0, v16
	v_add_co_ci_u32_e64 v1, null, v1, v17, vcc_lo
	s_waitcnt lgkmcnt(6)
	v_add_co_u32 v2, vcc_lo, v2, v20
	v_cndmask_b32_e64 v32, v32, v34, s3
	v_cndmask_b32_e64 v29, v29, v31, s2
	v_add_co_ci_u32_e64 v3, null, v3, v21, vcc_lo
	s_waitcnt lgkmcnt(5)
	v_add_co_u32 v4, vcc_lo, v4, v24
	v_cndmask_b32_e64 v38, v38, v42, s4
	v_cndmask_b32_e64 v33, v33, v35, s3
	v_add_co_ci_u32_e64 v5, null, v5, v25, vcc_lo
	s_waitcnt lgkmcnt(4)
	v_add_co_u32 v6, vcc_lo, v6, v28
	v_cndmask_b32_e64 v39, v39, v43, s4
	v_add_co_ci_u32_e64 v7, null, v7, v29, vcc_lo
	s_waitcnt lgkmcnt(3)
	v_add_co_u32 v8, vcc_lo, v8, v32
	v_add_co_ci_u32_e64 v9, null, v9, v33, vcc_lo
	s_waitcnt lgkmcnt(2)
	v_add_co_u32 v10, vcc_lo, v10, v38
	;; [unrolled: 3-line block ×3, first 2 shown]
	v_lshlrev_b32_e32 v16, 3, v49
	v_add_co_ci_u32_e64 v13, null, v13, v41, vcc_lo
	s_waitcnt lgkmcnt(0)
	v_add_co_u32 v14, vcc_lo, v14, v18
	s_add_u32 s0, s10, s12
	v_add_co_ci_u32_e64 v15, null, v15, v22, vcc_lo
	s_addc_u32 s1, s11, s13
	global_store_dwordx4 v16, v[0:3], s[0:1]
	global_store_dwordx4 v16, v[4:7], s[0:1] offset:16
	global_store_dwordx4 v16, v[8:11], s[0:1] offset:32
	global_store_dwordx4 v16, v[12:15], s[0:1] offset:48
	s_endpgm
	.section	.rodata,"a",@progbits
	.p2align	6, 0x0
	.amdhsa_kernel _Z10sort_pairsILj256ELj32ELj8ExN10test_utils4lessEEvPKT2_PS2_T3_
		.amdhsa_group_segment_fixed_size 16448
		.amdhsa_private_segment_fixed_size 0
		.amdhsa_kernarg_size 20
		.amdhsa_user_sgpr_count 6
		.amdhsa_user_sgpr_private_segment_buffer 1
		.amdhsa_user_sgpr_dispatch_ptr 0
		.amdhsa_user_sgpr_queue_ptr 0
		.amdhsa_user_sgpr_kernarg_segment_ptr 1
		.amdhsa_user_sgpr_dispatch_id 0
		.amdhsa_user_sgpr_flat_scratch_init 0
		.amdhsa_user_sgpr_private_segment_size 0
		.amdhsa_wavefront_size32 1
		.amdhsa_uses_dynamic_stack 0
		.amdhsa_system_sgpr_private_segment_wavefront_offset 0
		.amdhsa_system_sgpr_workgroup_id_x 1
		.amdhsa_system_sgpr_workgroup_id_y 0
		.amdhsa_system_sgpr_workgroup_id_z 0
		.amdhsa_system_sgpr_workgroup_info 0
		.amdhsa_system_vgpr_workitem_id 0
		.amdhsa_next_free_vgpr 70
		.amdhsa_next_free_sgpr 14
		.amdhsa_reserve_vcc 1
		.amdhsa_reserve_flat_scratch 0
		.amdhsa_float_round_mode_32 0
		.amdhsa_float_round_mode_16_64 0
		.amdhsa_float_denorm_mode_32 3
		.amdhsa_float_denorm_mode_16_64 3
		.amdhsa_dx10_clamp 1
		.amdhsa_ieee_mode 1
		.amdhsa_fp16_overflow 0
		.amdhsa_workgroup_processor_mode 1
		.amdhsa_memory_ordered 1
		.amdhsa_forward_progress 1
		.amdhsa_shared_vgpr_count 0
		.amdhsa_exception_fp_ieee_invalid_op 0
		.amdhsa_exception_fp_denorm_src 0
		.amdhsa_exception_fp_ieee_div_zero 0
		.amdhsa_exception_fp_ieee_overflow 0
		.amdhsa_exception_fp_ieee_underflow 0
		.amdhsa_exception_fp_ieee_inexact 0
		.amdhsa_exception_int_div_zero 0
	.end_amdhsa_kernel
	.section	.text._Z10sort_pairsILj256ELj32ELj8ExN10test_utils4lessEEvPKT2_PS2_T3_,"axG",@progbits,_Z10sort_pairsILj256ELj32ELj8ExN10test_utils4lessEEvPKT2_PS2_T3_,comdat
.Lfunc_end177:
	.size	_Z10sort_pairsILj256ELj32ELj8ExN10test_utils4lessEEvPKT2_PS2_T3_, .Lfunc_end177-_Z10sort_pairsILj256ELj32ELj8ExN10test_utils4lessEEvPKT2_PS2_T3_
                                        ; -- End function
	.set _Z10sort_pairsILj256ELj32ELj8ExN10test_utils4lessEEvPKT2_PS2_T3_.num_vgpr, 70
	.set _Z10sort_pairsILj256ELj32ELj8ExN10test_utils4lessEEvPKT2_PS2_T3_.num_agpr, 0
	.set _Z10sort_pairsILj256ELj32ELj8ExN10test_utils4lessEEvPKT2_PS2_T3_.numbered_sgpr, 14
	.set _Z10sort_pairsILj256ELj32ELj8ExN10test_utils4lessEEvPKT2_PS2_T3_.num_named_barrier, 0
	.set _Z10sort_pairsILj256ELj32ELj8ExN10test_utils4lessEEvPKT2_PS2_T3_.private_seg_size, 0
	.set _Z10sort_pairsILj256ELj32ELj8ExN10test_utils4lessEEvPKT2_PS2_T3_.uses_vcc, 1
	.set _Z10sort_pairsILj256ELj32ELj8ExN10test_utils4lessEEvPKT2_PS2_T3_.uses_flat_scratch, 0
	.set _Z10sort_pairsILj256ELj32ELj8ExN10test_utils4lessEEvPKT2_PS2_T3_.has_dyn_sized_stack, 0
	.set _Z10sort_pairsILj256ELj32ELj8ExN10test_utils4lessEEvPKT2_PS2_T3_.has_recursion, 0
	.set _Z10sort_pairsILj256ELj32ELj8ExN10test_utils4lessEEvPKT2_PS2_T3_.has_indirect_call, 0
	.section	.AMDGPU.csdata,"",@progbits
; Kernel info:
; codeLenInByte = 10416
; TotalNumSgprs: 16
; NumVgprs: 70
; ScratchSize: 0
; MemoryBound: 1
; FloatMode: 240
; IeeeMode: 1
; LDSByteSize: 16448 bytes/workgroup (compile time only)
; SGPRBlocks: 0
; VGPRBlocks: 8
; NumSGPRsForWavesPerEU: 16
; NumVGPRsForWavesPerEU: 70
; Occupancy: 12
; WaveLimiterHint : 0
; COMPUTE_PGM_RSRC2:SCRATCH_EN: 0
; COMPUTE_PGM_RSRC2:USER_SGPR: 6
; COMPUTE_PGM_RSRC2:TRAP_HANDLER: 0
; COMPUTE_PGM_RSRC2:TGID_X_EN: 1
; COMPUTE_PGM_RSRC2:TGID_Y_EN: 0
; COMPUTE_PGM_RSRC2:TGID_Z_EN: 0
; COMPUTE_PGM_RSRC2:TIDIG_COMP_CNT: 0
	.section	.text._Z19sort_keys_segmentedILj256ELj32ELj8ExN10test_utils4lessEEvPKT2_PS2_PKjT3_,"axG",@progbits,_Z19sort_keys_segmentedILj256ELj32ELj8ExN10test_utils4lessEEvPKT2_PS2_PKjT3_,comdat
	.protected	_Z19sort_keys_segmentedILj256ELj32ELj8ExN10test_utils4lessEEvPKT2_PS2_PKjT3_ ; -- Begin function _Z19sort_keys_segmentedILj256ELj32ELj8ExN10test_utils4lessEEvPKT2_PS2_PKjT3_
	.globl	_Z19sort_keys_segmentedILj256ELj32ELj8ExN10test_utils4lessEEvPKT2_PS2_PKjT3_
	.p2align	8
	.type	_Z19sort_keys_segmentedILj256ELj32ELj8ExN10test_utils4lessEEvPKT2_PS2_PKjT3_,@function
_Z19sort_keys_segmentedILj256ELj32ELj8ExN10test_utils4lessEEvPKT2_PS2_PKjT3_: ; @_Z19sort_keys_segmentedILj256ELj32ELj8ExN10test_utils4lessEEvPKT2_PS2_PKjT3_
; %bb.0:
	s_clause 0x1
	s_load_dwordx2 s[0:1], s[4:5], 0x10
	s_load_dwordx4 s[16:19], s[4:5], 0x0
	v_lshrrev_b32_e32 v24, 5, v0
	v_mov_b32_e32 v1, 0
	v_lshl_or_b32 v0, s6, 3, v24
	v_lshlrev_b64 v[2:3], 2, v[0:1]
	v_lshlrev_b32_e32 v0, 8, v0
	v_lshlrev_b64 v[0:1], 3, v[0:1]
	s_waitcnt lgkmcnt(0)
	v_add_co_u32 v2, vcc_lo, s0, v2
	v_add_co_ci_u32_e64 v3, null, s1, v3, vcc_lo
	v_add_co_u32 v4, vcc_lo, s16, v0
	v_add_co_ci_u32_e64 v5, null, s17, v1, vcc_lo
	global_load_dword v34, v[2:3], off
	v_mbcnt_lo_u32_b32 v2, -1, 0
	v_lshlrev_b32_e32 v3, 6, v2
	v_lshlrev_b32_e32 v35, 3, v2
	v_add_co_u32 v4, vcc_lo, v4, v3
	v_add_co_ci_u32_e64 v5, null, 0, v5, vcc_lo
                                        ; implicit-def: $vgpr2_vgpr3
	s_waitcnt vmcnt(0)
	v_cmp_lt_u32_e32 vcc_lo, v35, v34
	s_and_saveexec_b32 s0, vcc_lo
	s_cbranch_execz .LBB178_2
; %bb.1:
	global_load_dwordx2 v[2:3], v[4:5], off
.LBB178_2:
	s_or_b32 exec_lo, exec_lo, s0
	v_or_b32_e32 v10, 1, v35
                                        ; implicit-def: $vgpr6_vgpr7
	v_cmp_lt_u32_e64 s0, v10, v34
	s_and_saveexec_b32 s1, s0
	s_cbranch_execz .LBB178_4
; %bb.3:
	global_load_dwordx2 v[6:7], v[4:5], off offset:8
.LBB178_4:
	s_or_b32 exec_lo, exec_lo, s1
	v_or_b32_e32 v11, 2, v35
                                        ; implicit-def: $vgpr8_vgpr9
	v_cmp_lt_u32_e64 s1, v11, v34
	s_and_saveexec_b32 s2, s1
	s_cbranch_execz .LBB178_6
; %bb.5:
	global_load_dwordx2 v[8:9], v[4:5], off offset:16
.LBB178_6:
	s_or_b32 exec_lo, exec_lo, s2
	v_or_b32_e32 v14, 3, v35
                                        ; implicit-def: $vgpr12_vgpr13
	v_cmp_lt_u32_e64 s2, v14, v34
	s_and_saveexec_b32 s3, s2
	s_cbranch_execz .LBB178_8
; %bb.7:
	global_load_dwordx2 v[12:13], v[4:5], off offset:24
.LBB178_8:
	s_or_b32 exec_lo, exec_lo, s3
	v_or_b32_e32 v15, 4, v35
                                        ; implicit-def: $vgpr16_vgpr17
	v_cmp_lt_u32_e64 s3, v15, v34
	s_and_saveexec_b32 s4, s3
	s_cbranch_execz .LBB178_10
; %bb.9:
	global_load_dwordx2 v[16:17], v[4:5], off offset:32
.LBB178_10:
	s_or_b32 exec_lo, exec_lo, s4
	v_or_b32_e32 v25, 5, v35
                                        ; implicit-def: $vgpr18_vgpr19
	v_cmp_lt_u32_e64 s4, v25, v34
	s_and_saveexec_b32 s5, s4
	s_cbranch_execz .LBB178_12
; %bb.11:
	global_load_dwordx2 v[18:19], v[4:5], off offset:40
.LBB178_12:
	s_or_b32 exec_lo, exec_lo, s5
	v_or_b32_e32 v26, 6, v35
                                        ; implicit-def: $vgpr20_vgpr21
	v_cmp_lt_u32_e64 s5, v26, v34
	s_and_saveexec_b32 s6, s5
	s_cbranch_execz .LBB178_14
; %bb.13:
	global_load_dwordx2 v[20:21], v[4:5], off offset:48
.LBB178_14:
	s_or_b32 exec_lo, exec_lo, s6
	v_or_b32_e32 v27, 7, v35
                                        ; implicit-def: $vgpr22_vgpr23
	v_cmp_lt_u32_e64 s6, v27, v34
	s_and_saveexec_b32 s7, s6
	s_cbranch_execz .LBB178_16
; %bb.15:
	global_load_dwordx2 v[22:23], v[4:5], off offset:56
.LBB178_16:
	s_or_b32 exec_lo, exec_lo, s7
	v_cmp_lt_i32_e64 s7, v10, v34
	v_cmp_lt_i32_e64 s8, v11, v34
	;; [unrolled: 1-line block ×3, first 2 shown]
	s_mov_b32 s10, exec_lo
	s_waitcnt vmcnt(0)
	v_cndmask_b32_e64 v11, 0x7fffffff, v7, s7
	v_cndmask_b32_e64 v10, -1, v6, s7
	v_cmp_lt_i32_e64 s7, v15, v34
	v_cndmask_b32_e64 v7, 0x7fffffff, v9, s8
	v_cndmask_b32_e64 v6, -1, v8, s8
	v_cndmask_b32_e64 v15, 0x7fffffff, v13, s9
	v_cndmask_b32_e64 v14, -1, v12, s9
	v_cndmask_b32_e64 v9, 0x7fffffff, v17, s7
	v_cmp_lt_i32_e64 s8, v25, v34
	v_cndmask_b32_e64 v8, -1, v16, s7
	v_cmp_lt_i32_e64 s7, v26, v34
	v_cmp_lt_i32_e64 s9, v27, v34
	v_cndmask_b32_e64 v17, 0x7fffffff, v19, s8
	v_cndmask_b32_e64 v16, -1, v18, s8
	v_cndmask_b32_e64 v13, 0x7fffffff, v21, s7
	v_cndmask_b32_e64 v12, -1, v20, s7
	;; [unrolled: 2-line block ×3, first 2 shown]
	v_cmpx_lt_i32_e64 v35, v34
	s_cbranch_execz .LBB178_18
; %bb.17:
	v_cmp_gt_i64_e64 s7, v[10:11], v[2:3]
	v_cmp_lt_i64_e64 s8, v[10:11], v[2:3]
	v_cmp_gt_i64_e64 s9, v[14:15], v[6:7]
	v_cndmask_b32_e64 v19, v3, v11, s7
	v_cndmask_b32_e64 v18, v2, v10, s7
	v_cmp_lt_i64_e64 s7, v[14:15], v[6:7]
	v_cndmask_b32_e64 v3, v3, v11, s8
	v_cndmask_b32_e64 v2, v2, v10, s8
	v_cmp_gt_i64_e64 s8, v[16:17], v[8:9]
	v_cndmask_b32_e64 v11, v7, v15, s9
	v_cndmask_b32_e64 v10, v6, v14, s9
	;; [unrolled: 1-line block ×3, first 2 shown]
	v_cmp_lt_i64_e64 s9, v[16:17], v[8:9]
	v_cndmask_b32_e64 v6, v6, v14, s7
	v_cmp_gt_i64_e64 s7, v[4:5], v[12:13]
	v_cndmask_b32_e64 v15, v9, v17, s8
	v_cndmask_b32_e64 v14, v8, v16, s8
	v_cmp_lt_i64_e64 s8, v[4:5], v[12:13]
	v_cndmask_b32_e64 v9, v9, v17, s9
	v_cndmask_b32_e64 v8, v8, v16, s9
	;; [unrolled: 1-line block ×4, first 2 shown]
	v_cmp_gt_i64_e64 s7, v[6:7], v[18:19]
	v_cndmask_b32_e64 v5, v13, v5, s8
	v_cmp_lt_i64_e64 s9, v[6:7], v[18:19]
	v_cndmask_b32_e64 v4, v12, v4, s8
	v_cmp_gt_i64_e64 s8, v[8:9], v[10:11]
	v_cndmask_b32_e64 v13, v19, v7, s7
	v_cndmask_b32_e64 v12, v18, v6, s7
	v_cmp_lt_i64_e64 s7, v[8:9], v[10:11]
	v_cndmask_b32_e64 v20, v18, v6, s9
	v_cndmask_b32_e64 v21, v19, v7, s9
	;; [unrolled: 1-line block ×4, first 2 shown]
	v_cmp_gt_i64_e64 s8, v[4:5], v[14:15]
	v_cndmask_b32_e64 v9, v11, v9, s7
	v_cmp_lt_i64_e64 s9, v[4:5], v[14:15]
	v_cndmask_b32_e64 v8, v10, v8, s7
	v_cmp_lt_i64_e64 s7, v[6:7], v[2:3]
	v_cndmask_b32_e64 v22, v14, v4, s8
	v_cndmask_b32_e64 v23, v15, v5, s8
	v_cmp_gt_i64_e64 s8, v[8:9], v[12:13]
	v_cndmask_b32_e64 v5, v15, v5, s9
	v_cndmask_b32_e64 v4, v14, v4, s9
	;; [unrolled: 1-line block ×6, first 2 shown]
	v_cmp_lt_i64_e64 s7, v[8:9], v[12:13]
	v_cndmask_b32_e64 v11, v13, v9, s8
	v_cndmask_b32_e64 v10, v12, v8, s8
	v_cmp_gt_i64_e64 s8, v[4:5], v[18:19]
	v_cmp_lt_i64_e64 s9, v[4:5], v[18:19]
	v_cndmask_b32_e64 v9, v13, v9, s7
	v_cndmask_b32_e64 v8, v12, v8, s7
	v_cmp_gt_i64_e64 s7, v[14:15], v[16:17]
	v_cndmask_b32_e64 v13, v19, v5, s8
	v_cndmask_b32_e64 v12, v18, v4, s8
	;; [unrolled: 1-line block ×3, first 2 shown]
	v_cmp_gt_i64_e64 s8, v[8:9], v[6:7]
	v_cndmask_b32_e64 v4, v18, v4, s9
	v_cndmask_b32_e64 v15, v17, v23, s7
	v_cndmask_b32_e64 v14, v16, v22, s7
	v_cndmask_b32_e64 v17, v23, v17, s7
	v_cndmask_b32_e64 v16, v22, v16, s7
	v_cmp_lt_i64_e64 s7, v[8:9], v[6:7]
	v_cndmask_b32_e64 v19, v7, v9, s8
	v_cmp_gt_i64_e64 s9, v[4:5], v[10:11]
	v_cndmask_b32_e64 v18, v6, v8, s8
	v_cmp_lt_i64_e64 s8, v[4:5], v[10:11]
	v_cndmask_b32_e64 v7, v7, v9, s7
	v_cndmask_b32_e64 v6, v6, v8, s7
	v_cmp_gt_i64_e64 s7, v[16:17], v[12:13]
	v_cndmask_b32_e64 v9, v11, v5, s9
	v_cndmask_b32_e64 v8, v10, v4, s9
	v_cndmask_b32_e64 v5, v11, v5, s8
	v_cndmask_b32_e64 v4, v10, v4, s8
	v_cmp_lt_i64_e64 s8, v[16:17], v[12:13]
	v_cndmask_b32_e64 v11, v13, v17, s7
	v_cmp_gt_i64_e64 s9, v[6:7], v[2:3]
	v_cndmask_b32_e64 v10, v12, v16, s7
	v_cmp_lt_i64_e64 s7, v[6:7], v[2:3]
	v_cndmask_b32_e64 v13, v13, v17, s8
	v_cndmask_b32_e64 v12, v12, v16, s8
	v_cmp_gt_i64_e64 s8, v[4:5], v[18:19]
	v_cndmask_b32_e64 v17, v3, v7, s9
	v_cndmask_b32_e64 v16, v2, v6, s9
	v_cndmask_b32_e64 v7, v3, v7, s7
	v_cndmask_b32_e64 v6, v2, v6, s7
	;; [unrolled: 12-line block ×4, first 2 shown]
	v_cmp_lt_i64_e64 s7, v[8:9], v[2:3]
	v_cndmask_b32_e64 v21, v3, v9, s8
	v_cndmask_b32_e64 v20, v2, v8, s8
	v_cmp_lt_i64_e64 s8, v[10:11], v[18:19]
	v_cmp_gt_i64_e64 s9, v[10:11], v[18:19]
	v_cndmask_b32_e64 v9, v3, v9, s7
	v_cndmask_b32_e64 v8, v2, v8, s7
	v_cmp_lt_i64_e64 s7, v[4:5], v[6:7]
	v_cndmask_b32_e64 v5, v19, v11, s8
	v_cndmask_b32_e64 v4, v18, v10, s8
	v_cmp_lt_i64_e64 s8, v[16:17], v[6:7]
	v_cndmask_b32_e64 v25, v18, v10, s9
	v_cndmask_b32_e64 v26, v19, v11, s9
	;; [unrolled: 1-line block ×3, first 2 shown]
	v_cmp_gt_i64_e64 s9, v[16:17], v[6:7]
	v_cndmask_b32_e64 v11, v17, v7, s7
	v_cmp_gt_i64_e64 s7, v[8:9], v[14:15]
	v_cndmask_b32_e64 v3, v7, v17, s8
	v_cndmask_b32_e64 v2, v6, v16, s8
	v_cmp_lt_i64_e64 s8, v[8:9], v[14:15]
	v_cndmask_b32_e64 v7, v7, v17, s9
	v_cndmask_b32_e64 v6, v6, v16, s9
	;; [unrolled: 1-line block ×4, first 2 shown]
	v_cmp_gt_i64_e64 s7, v[4:5], v[20:21]
	v_cndmask_b32_e64 v9, v15, v9, s8
	v_cmp_lt_i64_e64 s9, v[4:5], v[20:21]
	v_cndmask_b32_e64 v8, v14, v8, s8
	v_cmp_gt_i64_e64 s8, v[18:19], v[12:13]
	v_cndmask_b32_e64 v23, v21, v5, s7
	v_cndmask_b32_e64 v22, v20, v4, s7
	v_cmp_gt_i64_e64 s7, v[8:9], v[6:7]
	v_cndmask_b32_e64 v15, v21, v5, s9
	v_cndmask_b32_e64 v14, v20, v4, s9
	v_cmp_lt_i64_e64 s9, v[8:9], v[6:7]
	v_cndmask_b32_e64 v19, v26, v13, s8
	v_cndmask_b32_e64 v18, v25, v12, s8
	;; [unrolled: 1-line block ×4, first 2 shown]
	v_cmp_gt_i64_e64 s7, v[14:15], v[16:17]
	v_cndmask_b32_e64 v5, v13, v26, s8
	v_cndmask_b32_e64 v4, v12, v25, s8
	;; [unrolled: 1-line block ×4, first 2 shown]
	v_cmp_lt_i64_e64 s8, v[14:15], v[16:17]
	v_cndmask_b32_e64 v9, v17, v15, s7
	v_cmp_gt_i64_e64 s9, v[18:19], v[22:23]
	v_cndmask_b32_e64 v8, v16, v14, s7
	v_cmp_lt_i64_e64 s7, v[18:19], v[22:23]
	v_cndmask_b32_e64 v15, v17, v15, s8
	v_cndmask_b32_e64 v14, v16, v14, s8
	;; [unrolled: 1-line block ×6, first 2 shown]
.LBB178_18:
	s_or_b32 exec_lo, exec_lo, s10
	v_and_b32_e32 v18, 0xf0, v35
	v_and_b32_e32 v20, 8, v35
	v_lshlrev_b32_e32 v36, 3, v35
	v_mul_u32_u24_e32 v37, 0x808, v24
	v_min_i32_e32 v18, v34, v18
	; wave barrier
	v_mad_u32_u24 v38, 0x808, v24, v36
	s_mov_b32 s9, 0
	s_mov_b32 s8, exec_lo
	v_add_nc_u32_e32 v19, 8, v18
	v_lshlrev_b32_e32 v23, 3, v18
	ds_write2_b64 v38, v[2:3], v[10:11] offset1:1
	ds_write2_b64 v38, v[6:7], v[14:15] offset0:2 offset1:3
	ds_write2_b64 v38, v[8:9], v[16:17] offset0:4 offset1:5
	;; [unrolled: 1-line block ×3, first 2 shown]
	v_min_i32_e32 v42, v34, v19
	v_mad_u32_u24 v2, 0x808, v24, v23
	; wave barrier
	v_add_nc_u32_e32 v19, 8, v42
	v_sub_nc_u32_e32 v22, v42, v18
	v_min_i32_e32 v40, v34, v19
	v_min_i32_e32 v19, v34, v20
	v_sub_nc_u32_e32 v20, v40, v42
	v_sub_nc_u32_e32 v21, v19, v20
	v_cmp_ge_i32_e64 s7, v19, v20
	v_cndmask_b32_e64 v20, 0, v21, s7
	v_min_i32_e32 v21, v19, v22
	v_cmpx_lt_i32_e64 v20, v21
	s_cbranch_execz .LBB178_22
; %bb.19:
	v_lshlrev_b32_e32 v3, 3, v42
	v_lshlrev_b32_e32 v4, 3, v19
	v_add3_u32 v3, v37, v3, v4
	.p2align	6
.LBB178_20:                             ; =>This Inner Loop Header: Depth=1
	v_sub_nc_u32_e32 v4, v21, v20
	v_lshrrev_b32_e32 v4, 1, v4
	v_add_nc_u32_e32 v8, v4, v20
	v_not_b32_e32 v4, v8
	v_lshl_add_u32 v5, v8, 3, v2
	v_lshl_add_u32 v6, v4, 3, v3
	ds_read_b64 v[4:5], v5
	ds_read_b64 v[6:7], v6
	s_waitcnt lgkmcnt(0)
	v_cmp_lt_i64_e64 s7, v[6:7], v[4:5]
	v_add_nc_u32_e32 v4, 1, v8
	v_cndmask_b32_e64 v21, v21, v8, s7
	v_cndmask_b32_e64 v20, v4, v20, s7
	v_cmp_ge_i32_e64 s7, v20, v21
	s_or_b32 s9, s7, s9
	s_andn2_b32 exec_lo, exec_lo, s9
	s_cbranch_execnz .LBB178_20
; %bb.21:
	s_or_b32 exec_lo, exec_lo, s9
.LBB178_22:
	s_or_b32 exec_lo, exec_lo, s8
	v_add_nc_u32_e32 v3, v42, v19
	v_lshl_add_u32 v8, v20, 3, v2
	v_add_nc_u32_e32 v11, v20, v18
                                        ; implicit-def: $vgpr6_vgpr7
	v_sub_nc_u32_e32 v10, v3, v20
	v_cmp_le_i32_e64 s8, v42, v11
	v_lshl_add_u32 v12, v10, 3, v37
	v_cmp_gt_i32_e64 s9, v40, v10
	ds_read_b64 v[2:3], v8
	ds_read_b64 v[4:5], v12
	s_waitcnt lgkmcnt(0)
	v_cmp_lt_i64_e64 s7, v[4:5], v[2:3]
	s_or_b32 s7, s8, s7
	s_and_b32 s7, s9, s7
	s_xor_b32 s8, s7, -1
	s_and_saveexec_b32 s9, s8
	s_xor_b32 s8, exec_lo, s9
; %bb.23:
	ds_read_b64 v[6:7], v8 offset:8
                                        ; implicit-def: $vgpr12
; %bb.24:
	s_or_saveexec_b32 s8, s8
	v_mov_b32_e32 v9, v5
	v_mov_b32_e32 v8, v4
	s_xor_b32 exec_lo, exec_lo, s8
	s_cbranch_execz .LBB178_26
; %bb.25:
	ds_read_b64 v[8:9], v12 offset:8
	s_waitcnt lgkmcnt(1)
	v_mov_b32_e32 v7, v3
	v_mov_b32_e32 v6, v2
.LBB178_26:
	s_or_b32 exec_lo, exec_lo, s8
	v_add_nc_u32_e32 v12, 1, v11
	v_add_nc_u32_e32 v13, 1, v10
	s_waitcnt lgkmcnt(0)
	v_cmp_lt_i64_e64 s8, v[8:9], v[6:7]
	v_cndmask_b32_e64 v15, v12, v11, s7
	v_cndmask_b32_e64 v14, v10, v13, s7
                                        ; implicit-def: $vgpr10_vgpr11
	v_cmp_ge_i32_e64 s9, v15, v42
	v_cmp_lt_i32_e64 s10, v14, v40
	s_or_b32 s8, s9, s8
	s_and_b32 s8, s10, s8
	s_xor_b32 s9, s8, -1
	s_and_saveexec_b32 s10, s9
	s_xor_b32 s9, exec_lo, s10
; %bb.27:
	v_lshl_add_u32 v10, v15, 3, v37
	ds_read_b64 v[10:11], v10 offset:8
; %bb.28:
	s_or_saveexec_b32 s9, s9
	v_mov_b32_e32 v13, v9
	v_mov_b32_e32 v12, v8
	s_xor_b32 exec_lo, exec_lo, s9
	s_cbranch_execz .LBB178_30
; %bb.29:
	s_waitcnt lgkmcnt(0)
	v_lshl_add_u32 v10, v14, 3, v37
	ds_read_b64 v[12:13], v10 offset:8
	v_mov_b32_e32 v11, v7
	v_mov_b32_e32 v10, v6
.LBB178_30:
	s_or_b32 exec_lo, exec_lo, s9
	v_add_nc_u32_e32 v16, 1, v15
	v_add_nc_u32_e32 v17, 1, v14
	s_waitcnt lgkmcnt(0)
	v_cmp_lt_i64_e64 s9, v[12:13], v[10:11]
	v_cndmask_b32_e64 v19, v16, v15, s8
	v_cndmask_b32_e64 v18, v14, v17, s8
                                        ; implicit-def: $vgpr14_vgpr15
	v_cmp_ge_i32_e64 s10, v19, v42
	v_cmp_lt_i32_e64 s11, v18, v40
	s_or_b32 s9, s10, s9
	s_and_b32 s9, s11, s9
	s_xor_b32 s10, s9, -1
	s_and_saveexec_b32 s11, s10
	s_xor_b32 s10, exec_lo, s11
; %bb.31:
	v_lshl_add_u32 v14, v19, 3, v37
	ds_read_b64 v[14:15], v14 offset:8
; %bb.32:
	s_or_saveexec_b32 s10, s10
	v_mov_b32_e32 v17, v13
	v_mov_b32_e32 v16, v12
	s_xor_b32 exec_lo, exec_lo, s10
	s_cbranch_execz .LBB178_34
; %bb.33:
	s_waitcnt lgkmcnt(0)
	v_lshl_add_u32 v14, v18, 3, v37
	ds_read_b64 v[16:17], v14 offset:8
	v_mov_b32_e32 v15, v11
	v_mov_b32_e32 v14, v10
.LBB178_34:
	s_or_b32 exec_lo, exec_lo, s10
	v_add_nc_u32_e32 v20, 1, v19
	v_add_nc_u32_e32 v21, 1, v18
	s_waitcnt lgkmcnt(0)
	v_cmp_lt_i64_e64 s10, v[16:17], v[14:15]
	v_cndmask_b32_e64 v23, v20, v19, s9
	v_cndmask_b32_e64 v22, v18, v21, s9
                                        ; implicit-def: $vgpr18_vgpr19
	v_cmp_ge_i32_e64 s11, v23, v42
	v_cmp_lt_i32_e64 s12, v22, v40
	s_or_b32 s10, s11, s10
	s_and_b32 s10, s12, s10
	s_xor_b32 s11, s10, -1
	s_and_saveexec_b32 s12, s11
	s_xor_b32 s11, exec_lo, s12
; %bb.35:
	v_lshl_add_u32 v18, v23, 3, v37
	ds_read_b64 v[18:19], v18 offset:8
; %bb.36:
	s_or_saveexec_b32 s11, s11
	v_mov_b32_e32 v21, v17
	v_mov_b32_e32 v20, v16
	s_xor_b32 exec_lo, exec_lo, s11
	s_cbranch_execz .LBB178_38
; %bb.37:
	s_waitcnt lgkmcnt(0)
	v_lshl_add_u32 v18, v22, 3, v37
	ds_read_b64 v[20:21], v18 offset:8
	v_mov_b32_e32 v19, v15
	v_mov_b32_e32 v18, v14
.LBB178_38:
	s_or_b32 exec_lo, exec_lo, s11
	v_add_nc_u32_e32 v24, 1, v23
	v_add_nc_u32_e32 v25, 1, v22
	s_waitcnt lgkmcnt(0)
	v_cmp_lt_i64_e64 s11, v[20:21], v[18:19]
	v_cndmask_b32_e64 v27, v24, v23, s10
	v_cndmask_b32_e64 v26, v22, v25, s10
                                        ; implicit-def: $vgpr22_vgpr23
	v_cmp_ge_i32_e64 s12, v27, v42
	v_cmp_lt_i32_e64 s13, v26, v40
	s_or_b32 s11, s12, s11
	s_and_b32 s11, s13, s11
	s_xor_b32 s12, s11, -1
	s_and_saveexec_b32 s13, s12
	s_xor_b32 s12, exec_lo, s13
; %bb.39:
	v_lshl_add_u32 v22, v27, 3, v37
	ds_read_b64 v[22:23], v22 offset:8
; %bb.40:
	s_or_saveexec_b32 s12, s12
	v_mov_b32_e32 v25, v21
	v_mov_b32_e32 v24, v20
	s_xor_b32 exec_lo, exec_lo, s12
	s_cbranch_execz .LBB178_42
; %bb.41:
	s_waitcnt lgkmcnt(0)
	v_lshl_add_u32 v22, v26, 3, v37
	ds_read_b64 v[24:25], v22 offset:8
	v_mov_b32_e32 v23, v19
	v_mov_b32_e32 v22, v18
.LBB178_42:
	s_or_b32 exec_lo, exec_lo, s12
	v_add_nc_u32_e32 v28, 1, v27
	v_add_nc_u32_e32 v30, 1, v26
	s_waitcnt lgkmcnt(0)
	v_cmp_lt_i64_e64 s12, v[24:25], v[22:23]
	v_cndmask_b32_e64 v29, v28, v27, s11
	v_cndmask_b32_e64 v28, v26, v30, s11
                                        ; implicit-def: $vgpr26_vgpr27
	v_cmp_ge_i32_e64 s13, v29, v42
	v_cmp_lt_i32_e64 s14, v28, v40
	s_or_b32 s12, s13, s12
	s_and_b32 s12, s14, s12
	s_xor_b32 s13, s12, -1
	s_and_saveexec_b32 s14, s13
	s_xor_b32 s13, exec_lo, s14
; %bb.43:
	v_lshl_add_u32 v26, v29, 3, v37
	ds_read_b64 v[26:27], v26 offset:8
; %bb.44:
	s_or_saveexec_b32 s13, s13
	v_mov_b32_e32 v31, v25
	v_mov_b32_e32 v30, v24
	s_xor_b32 exec_lo, exec_lo, s13
	s_cbranch_execz .LBB178_46
; %bb.45:
	s_waitcnt lgkmcnt(0)
	v_lshl_add_u32 v26, v28, 3, v37
	ds_read_b64 v[30:31], v26 offset:8
	v_mov_b32_e32 v27, v23
	v_mov_b32_e32 v26, v22
.LBB178_46:
	s_or_b32 exec_lo, exec_lo, s13
	v_add_nc_u32_e32 v32, 1, v29
	v_add_nc_u32_e32 v33, 1, v28
	s_waitcnt lgkmcnt(0)
	v_cmp_lt_i64_e64 s13, v[30:31], v[26:27]
	v_cndmask_b32_e64 v41, v32, v29, s12
	v_cndmask_b32_e64 v43, v28, v33, s12
                                        ; implicit-def: $vgpr28_vgpr29
	v_cmp_ge_i32_e64 s14, v41, v42
	v_cmp_lt_i32_e64 s15, v43, v40
	s_or_b32 s13, s14, s13
	s_and_b32 s13, s15, s13
	s_xor_b32 s14, s13, -1
	s_and_saveexec_b32 s15, s14
	s_xor_b32 s14, exec_lo, s15
; %bb.47:
	v_lshl_add_u32 v28, v41, 3, v37
	ds_read_b64 v[28:29], v28 offset:8
; %bb.48:
	s_or_saveexec_b32 s14, s14
	v_mov_b32_e32 v33, v31
	v_mov_b32_e32 v32, v30
	s_xor_b32 exec_lo, exec_lo, s14
	s_cbranch_execz .LBB178_50
; %bb.49:
	s_waitcnt lgkmcnt(0)
	v_lshl_add_u32 v28, v43, 3, v37
	ds_read_b64 v[32:33], v28 offset:8
	v_mov_b32_e32 v29, v27
	v_mov_b32_e32 v28, v26
.LBB178_50:
	s_or_b32 exec_lo, exec_lo, s14
	v_and_b32_e32 v39, 0xe0, v35
	v_cndmask_b32_e64 v30, v26, v30, s13
	v_cndmask_b32_e64 v19, v19, v21, s11
	v_add_nc_u32_e32 v44, 1, v41
	v_cndmask_b32_e64 v31, v27, v31, s13
	v_min_i32_e32 v26, v34, v39
	v_add_nc_u32_e32 v27, 1, v43
	v_cndmask_b32_e64 v11, v11, v13, s9
	v_cndmask_b32_e64 v13, v3, v5, s7
	;; [unrolled: 1-line block ×3, first 2 shown]
	v_add_nc_u32_e32 v21, 16, v26
	v_cndmask_b32_e64 v12, v2, v4, s7
	v_cndmask_b32_e64 v2, v44, v41, s13
	s_waitcnt lgkmcnt(0)
	v_cmp_lt_i64_e64 s7, v[32:33], v[28:29]
	v_and_b32_e32 v4, 24, v35
	v_min_i32_e32 v39, v34, v21
	v_cndmask_b32_e64 v9, v7, v9, s8
	v_cndmask_b32_e64 v8, v6, v8, s8
	v_cmp_ge_i32_e64 s8, v2, v42
	v_min_i32_e32 v2, v34, v4
	v_add_nc_u32_e32 v3, 16, v39
	v_cndmask_b32_e64 v15, v15, v17, s10
	v_cndmask_b32_e64 v14, v14, v16, s10
	s_or_b32 s7, s8, s7
	v_cndmask_b32_e64 v23, v23, v25, s12
	v_min_i32_e32 v41, v34, v3
	v_cndmask_b32_e64 v3, v43, v27, s13
	v_cndmask_b32_e64 v22, v22, v24, s12
	;; [unrolled: 1-line block ×3, first 2 shown]
	s_mov_b32 s8, exec_lo
	v_sub_nc_u32_e32 v4, v41, v39
	v_cmp_lt_i32_e64 s9, v3, v40
	v_sub_nc_u32_e32 v3, v39, v26
	; wave barrier
	v_sub_nc_u32_e32 v5, v2, v4
	s_and_b32 s7, s9, s7
	s_mov_b32 s9, 0
	v_cndmask_b32_e64 v17, v29, v33, s7
	v_cndmask_b32_e64 v16, v28, v32, s7
	v_cmp_ge_i32_e64 s7, v2, v4
	v_min_i32_e32 v4, v2, v3
	v_lshl_add_u32 v3, v26, 3, v37
	ds_write2_b64 v38, v[12:13], v[8:9] offset1:1
	ds_write2_b64 v38, v[10:11], v[14:15] offset0:2 offset1:3
	ds_write2_b64 v38, v[18:19], v[22:23] offset0:4 offset1:5
	;; [unrolled: 1-line block ×3, first 2 shown]
	v_cndmask_b32_e64 v6, 0, v5, s7
	; wave barrier
	v_cmpx_lt_i32_e64 v6, v4
	s_cbranch_execz .LBB178_54
; %bb.51:
	v_lshlrev_b32_e32 v5, 3, v39
	v_lshlrev_b32_e32 v7, 3, v2
	v_add3_u32 v5, v37, v5, v7
	.p2align	6
.LBB178_52:                             ; =>This Inner Loop Header: Depth=1
	v_sub_nc_u32_e32 v7, v4, v6
	v_lshrrev_b32_e32 v7, 1, v7
	v_add_nc_u32_e32 v11, v7, v6
	v_not_b32_e32 v7, v11
	v_lshl_add_u32 v8, v11, 3, v3
	v_lshl_add_u32 v9, v7, 3, v5
	ds_read_b64 v[7:8], v8
	ds_read_b64 v[9:10], v9
	s_waitcnt lgkmcnt(0)
	v_cmp_lt_i64_e64 s7, v[9:10], v[7:8]
	v_add_nc_u32_e32 v7, 1, v11
	v_cndmask_b32_e64 v4, v4, v11, s7
	v_cndmask_b32_e64 v6, v7, v6, s7
	v_cmp_ge_i32_e64 s7, v6, v4
	s_or_b32 s9, s7, s9
	s_andn2_b32 exec_lo, exec_lo, s9
	s_cbranch_execnz .LBB178_52
; %bb.53:
	s_or_b32 exec_lo, exec_lo, s9
.LBB178_54:
	s_or_b32 exec_lo, exec_lo, s8
	v_add_nc_u32_e32 v2, v39, v2
	v_lshl_add_u32 v8, v6, 3, v3
	v_add_nc_u32_e32 v11, v6, v26
	v_sub_nc_u32_e32 v10, v2, v6
                                        ; implicit-def: $vgpr6_vgpr7
	v_cmp_le_i32_e64 s8, v39, v11
	v_lshl_add_u32 v12, v10, 3, v37
	v_cmp_gt_i32_e64 s9, v41, v10
	ds_read_b64 v[2:3], v8
	ds_read_b64 v[4:5], v12
	s_waitcnt lgkmcnt(0)
	v_cmp_lt_i64_e64 s7, v[4:5], v[2:3]
	s_or_b32 s7, s8, s7
	s_and_b32 s7, s9, s7
	s_xor_b32 s8, s7, -1
	s_and_saveexec_b32 s9, s8
	s_xor_b32 s8, exec_lo, s9
; %bb.55:
	ds_read_b64 v[6:7], v8 offset:8
                                        ; implicit-def: $vgpr12
; %bb.56:
	s_or_saveexec_b32 s8, s8
	v_mov_b32_e32 v9, v5
	v_mov_b32_e32 v8, v4
	s_xor_b32 exec_lo, exec_lo, s8
	s_cbranch_execz .LBB178_58
; %bb.57:
	ds_read_b64 v[8:9], v12 offset:8
	s_waitcnt lgkmcnt(1)
	v_mov_b32_e32 v7, v3
	v_mov_b32_e32 v6, v2
.LBB178_58:
	s_or_b32 exec_lo, exec_lo, s8
	v_add_nc_u32_e32 v12, 1, v11
	v_add_nc_u32_e32 v13, 1, v10
	s_waitcnt lgkmcnt(0)
	v_cmp_lt_i64_e64 s8, v[8:9], v[6:7]
	v_cndmask_b32_e64 v15, v12, v11, s7
	v_cndmask_b32_e64 v14, v10, v13, s7
                                        ; implicit-def: $vgpr10_vgpr11
	v_cmp_ge_i32_e64 s9, v15, v39
	v_cmp_lt_i32_e64 s10, v14, v41
	s_or_b32 s8, s9, s8
	s_and_b32 s8, s10, s8
	s_xor_b32 s9, s8, -1
	s_and_saveexec_b32 s10, s9
	s_xor_b32 s9, exec_lo, s10
; %bb.59:
	v_lshl_add_u32 v10, v15, 3, v37
	ds_read_b64 v[10:11], v10 offset:8
; %bb.60:
	s_or_saveexec_b32 s9, s9
	v_mov_b32_e32 v13, v9
	v_mov_b32_e32 v12, v8
	s_xor_b32 exec_lo, exec_lo, s9
	s_cbranch_execz .LBB178_62
; %bb.61:
	s_waitcnt lgkmcnt(0)
	v_lshl_add_u32 v10, v14, 3, v37
	ds_read_b64 v[12:13], v10 offset:8
	v_mov_b32_e32 v11, v7
	v_mov_b32_e32 v10, v6
.LBB178_62:
	s_or_b32 exec_lo, exec_lo, s9
	v_add_nc_u32_e32 v16, 1, v15
	v_add_nc_u32_e32 v17, 1, v14
	s_waitcnt lgkmcnt(0)
	v_cmp_lt_i64_e64 s9, v[12:13], v[10:11]
	v_cndmask_b32_e64 v19, v16, v15, s8
	v_cndmask_b32_e64 v18, v14, v17, s8
                                        ; implicit-def: $vgpr14_vgpr15
	v_cmp_ge_i32_e64 s10, v19, v39
	v_cmp_lt_i32_e64 s11, v18, v41
	s_or_b32 s9, s10, s9
	s_and_b32 s9, s11, s9
	s_xor_b32 s10, s9, -1
	s_and_saveexec_b32 s11, s10
	s_xor_b32 s10, exec_lo, s11
; %bb.63:
	v_lshl_add_u32 v14, v19, 3, v37
	ds_read_b64 v[14:15], v14 offset:8
; %bb.64:
	s_or_saveexec_b32 s10, s10
	v_mov_b32_e32 v17, v13
	v_mov_b32_e32 v16, v12
	s_xor_b32 exec_lo, exec_lo, s10
	s_cbranch_execz .LBB178_66
; %bb.65:
	s_waitcnt lgkmcnt(0)
	v_lshl_add_u32 v14, v18, 3, v37
	ds_read_b64 v[16:17], v14 offset:8
	v_mov_b32_e32 v15, v11
	v_mov_b32_e32 v14, v10
.LBB178_66:
	s_or_b32 exec_lo, exec_lo, s10
	v_add_nc_u32_e32 v20, 1, v19
	v_add_nc_u32_e32 v21, 1, v18
	s_waitcnt lgkmcnt(0)
	v_cmp_lt_i64_e64 s10, v[16:17], v[14:15]
	v_cndmask_b32_e64 v23, v20, v19, s9
	v_cndmask_b32_e64 v22, v18, v21, s9
                                        ; implicit-def: $vgpr18_vgpr19
	v_cmp_ge_i32_e64 s11, v23, v39
	v_cmp_lt_i32_e64 s12, v22, v41
	s_or_b32 s10, s11, s10
	s_and_b32 s10, s12, s10
	s_xor_b32 s11, s10, -1
	s_and_saveexec_b32 s12, s11
	s_xor_b32 s11, exec_lo, s12
; %bb.67:
	v_lshl_add_u32 v18, v23, 3, v37
	ds_read_b64 v[18:19], v18 offset:8
; %bb.68:
	s_or_saveexec_b32 s11, s11
	v_mov_b32_e32 v21, v17
	v_mov_b32_e32 v20, v16
	s_xor_b32 exec_lo, exec_lo, s11
	s_cbranch_execz .LBB178_70
; %bb.69:
	s_waitcnt lgkmcnt(0)
	v_lshl_add_u32 v18, v22, 3, v37
	ds_read_b64 v[20:21], v18 offset:8
	v_mov_b32_e32 v19, v15
	v_mov_b32_e32 v18, v14
.LBB178_70:
	s_or_b32 exec_lo, exec_lo, s11
	v_add_nc_u32_e32 v24, 1, v23
	v_add_nc_u32_e32 v25, 1, v22
	s_waitcnt lgkmcnt(0)
	v_cmp_lt_i64_e64 s11, v[20:21], v[18:19]
	v_cndmask_b32_e64 v27, v24, v23, s10
	v_cndmask_b32_e64 v26, v22, v25, s10
                                        ; implicit-def: $vgpr22_vgpr23
	v_cmp_ge_i32_e64 s12, v27, v39
	v_cmp_lt_i32_e64 s13, v26, v41
	s_or_b32 s11, s12, s11
	s_and_b32 s11, s13, s11
	s_xor_b32 s12, s11, -1
	s_and_saveexec_b32 s13, s12
	s_xor_b32 s12, exec_lo, s13
; %bb.71:
	v_lshl_add_u32 v22, v27, 3, v37
	ds_read_b64 v[22:23], v22 offset:8
; %bb.72:
	s_or_saveexec_b32 s12, s12
	v_mov_b32_e32 v25, v21
	v_mov_b32_e32 v24, v20
	s_xor_b32 exec_lo, exec_lo, s12
	s_cbranch_execz .LBB178_74
; %bb.73:
	s_waitcnt lgkmcnt(0)
	v_lshl_add_u32 v22, v26, 3, v37
	ds_read_b64 v[24:25], v22 offset:8
	v_mov_b32_e32 v23, v19
	v_mov_b32_e32 v22, v18
.LBB178_74:
	s_or_b32 exec_lo, exec_lo, s12
	v_add_nc_u32_e32 v28, 1, v27
	v_add_nc_u32_e32 v30, 1, v26
	s_waitcnt lgkmcnt(0)
	v_cmp_lt_i64_e64 s12, v[24:25], v[22:23]
	v_cndmask_b32_e64 v29, v28, v27, s11
	v_cndmask_b32_e64 v28, v26, v30, s11
                                        ; implicit-def: $vgpr26_vgpr27
	v_cmp_ge_i32_e64 s13, v29, v39
	v_cmp_lt_i32_e64 s14, v28, v41
	s_or_b32 s12, s13, s12
	s_and_b32 s12, s14, s12
	s_xor_b32 s13, s12, -1
	s_and_saveexec_b32 s14, s13
	s_xor_b32 s13, exec_lo, s14
; %bb.75:
	v_lshl_add_u32 v26, v29, 3, v37
	ds_read_b64 v[26:27], v26 offset:8
; %bb.76:
	s_or_saveexec_b32 s13, s13
	v_mov_b32_e32 v31, v25
	v_mov_b32_e32 v30, v24
	s_xor_b32 exec_lo, exec_lo, s13
	s_cbranch_execz .LBB178_78
; %bb.77:
	s_waitcnt lgkmcnt(0)
	v_lshl_add_u32 v26, v28, 3, v37
	ds_read_b64 v[30:31], v26 offset:8
	v_mov_b32_e32 v27, v23
	v_mov_b32_e32 v26, v22
.LBB178_78:
	s_or_b32 exec_lo, exec_lo, s13
	v_add_nc_u32_e32 v32, 1, v29
	v_add_nc_u32_e32 v33, 1, v28
	s_waitcnt lgkmcnt(0)
	v_cmp_lt_i64_e64 s13, v[30:31], v[26:27]
	v_cndmask_b32_e64 v42, v32, v29, s12
	v_cndmask_b32_e64 v43, v28, v33, s12
                                        ; implicit-def: $vgpr28_vgpr29
	v_cmp_ge_i32_e64 s14, v42, v39
	v_cmp_lt_i32_e64 s15, v43, v41
	s_or_b32 s13, s14, s13
	s_and_b32 s13, s15, s13
	s_xor_b32 s14, s13, -1
	s_and_saveexec_b32 s15, s14
	s_xor_b32 s14, exec_lo, s15
; %bb.79:
	v_lshl_add_u32 v28, v42, 3, v37
	ds_read_b64 v[28:29], v28 offset:8
; %bb.80:
	s_or_saveexec_b32 s14, s14
	v_mov_b32_e32 v33, v31
	v_mov_b32_e32 v32, v30
	s_xor_b32 exec_lo, exec_lo, s14
	s_cbranch_execz .LBB178_82
; %bb.81:
	s_waitcnt lgkmcnt(0)
	v_lshl_add_u32 v28, v43, 3, v37
	ds_read_b64 v[32:33], v28 offset:8
	v_mov_b32_e32 v29, v27
	v_mov_b32_e32 v28, v26
.LBB178_82:
	s_or_b32 exec_lo, exec_lo, s14
	v_and_b32_e32 v40, 0xc0, v35
	v_cndmask_b32_e64 v30, v26, v30, s13
	v_cndmask_b32_e64 v19, v19, v21, s11
	v_add_nc_u32_e32 v44, 1, v42
	v_cndmask_b32_e64 v31, v27, v31, s13
	v_min_i32_e32 v26, v34, v40
	v_add_nc_u32_e32 v27, 1, v43
	v_cndmask_b32_e64 v11, v11, v13, s9
	v_cndmask_b32_e64 v13, v3, v5, s7
	v_cndmask_b32_e64 v10, v10, v12, s9
	v_add_nc_u32_e32 v21, 32, v26
	v_cndmask_b32_e64 v12, v2, v4, s7
	v_cndmask_b32_e64 v2, v44, v42, s13
	s_waitcnt lgkmcnt(0)
	v_cmp_lt_i64_e64 s7, v[32:33], v[28:29]
	v_and_b32_e32 v4, 56, v35
	v_min_i32_e32 v40, v34, v21
	v_cndmask_b32_e64 v9, v7, v9, s8
	v_cndmask_b32_e64 v8, v6, v8, s8
	v_cmp_ge_i32_e64 s8, v2, v39
	v_min_i32_e32 v2, v34, v4
	v_add_nc_u32_e32 v3, 32, v40
	v_cndmask_b32_e64 v15, v15, v17, s10
	v_cndmask_b32_e64 v14, v14, v16, s10
	s_or_b32 s7, s8, s7
	v_cndmask_b32_e64 v23, v23, v25, s12
	v_min_i32_e32 v42, v34, v3
	v_cndmask_b32_e64 v3, v43, v27, s13
	v_cndmask_b32_e64 v22, v22, v24, s12
	;; [unrolled: 1-line block ×3, first 2 shown]
	s_mov_b32 s8, exec_lo
	v_sub_nc_u32_e32 v4, v42, v40
	v_cmp_lt_i32_e64 s9, v3, v41
	v_sub_nc_u32_e32 v3, v40, v26
	; wave barrier
	v_sub_nc_u32_e32 v5, v2, v4
	s_and_b32 s7, s9, s7
	s_mov_b32 s9, 0
	v_cndmask_b32_e64 v17, v29, v33, s7
	v_cndmask_b32_e64 v16, v28, v32, s7
	v_cmp_ge_i32_e64 s7, v2, v4
	v_min_i32_e32 v4, v2, v3
	v_lshl_add_u32 v3, v26, 3, v37
	ds_write2_b64 v38, v[12:13], v[8:9] offset1:1
	ds_write2_b64 v38, v[10:11], v[14:15] offset0:2 offset1:3
	ds_write2_b64 v38, v[18:19], v[22:23] offset0:4 offset1:5
	;; [unrolled: 1-line block ×3, first 2 shown]
	v_cndmask_b32_e64 v6, 0, v5, s7
	; wave barrier
	v_cmpx_lt_i32_e64 v6, v4
	s_cbranch_execz .LBB178_86
; %bb.83:
	v_lshlrev_b32_e32 v5, 3, v40
	v_lshlrev_b32_e32 v7, 3, v2
	v_add3_u32 v5, v37, v5, v7
	.p2align	6
.LBB178_84:                             ; =>This Inner Loop Header: Depth=1
	v_sub_nc_u32_e32 v7, v4, v6
	v_lshrrev_b32_e32 v7, 1, v7
	v_add_nc_u32_e32 v11, v7, v6
	v_not_b32_e32 v7, v11
	v_lshl_add_u32 v8, v11, 3, v3
	v_lshl_add_u32 v9, v7, 3, v5
	ds_read_b64 v[7:8], v8
	ds_read_b64 v[9:10], v9
	s_waitcnt lgkmcnt(0)
	v_cmp_lt_i64_e64 s7, v[9:10], v[7:8]
	v_add_nc_u32_e32 v7, 1, v11
	v_cndmask_b32_e64 v4, v4, v11, s7
	v_cndmask_b32_e64 v6, v7, v6, s7
	v_cmp_ge_i32_e64 s7, v6, v4
	s_or_b32 s9, s7, s9
	s_andn2_b32 exec_lo, exec_lo, s9
	s_cbranch_execnz .LBB178_84
; %bb.85:
	s_or_b32 exec_lo, exec_lo, s9
.LBB178_86:
	s_or_b32 exec_lo, exec_lo, s8
	v_add_nc_u32_e32 v2, v40, v2
	v_lshl_add_u32 v8, v6, 3, v3
	v_add_nc_u32_e32 v11, v6, v26
	v_sub_nc_u32_e32 v10, v2, v6
                                        ; implicit-def: $vgpr6_vgpr7
	v_cmp_le_i32_e64 s8, v40, v11
	v_lshl_add_u32 v12, v10, 3, v37
	v_cmp_gt_i32_e64 s9, v42, v10
	ds_read_b64 v[2:3], v8
	ds_read_b64 v[4:5], v12
	s_waitcnt lgkmcnt(0)
	v_cmp_lt_i64_e64 s7, v[4:5], v[2:3]
	s_or_b32 s7, s8, s7
	s_and_b32 s7, s9, s7
	s_xor_b32 s8, s7, -1
	s_and_saveexec_b32 s9, s8
	s_xor_b32 s8, exec_lo, s9
; %bb.87:
	ds_read_b64 v[6:7], v8 offset:8
                                        ; implicit-def: $vgpr12
; %bb.88:
	s_or_saveexec_b32 s8, s8
	v_mov_b32_e32 v9, v5
	v_mov_b32_e32 v8, v4
	s_xor_b32 exec_lo, exec_lo, s8
	s_cbranch_execz .LBB178_90
; %bb.89:
	ds_read_b64 v[8:9], v12 offset:8
	s_waitcnt lgkmcnt(1)
	v_mov_b32_e32 v7, v3
	v_mov_b32_e32 v6, v2
.LBB178_90:
	s_or_b32 exec_lo, exec_lo, s8
	v_add_nc_u32_e32 v12, 1, v11
	v_add_nc_u32_e32 v13, 1, v10
	s_waitcnt lgkmcnt(0)
	v_cmp_lt_i64_e64 s8, v[8:9], v[6:7]
	v_cndmask_b32_e64 v15, v12, v11, s7
	v_cndmask_b32_e64 v14, v10, v13, s7
                                        ; implicit-def: $vgpr10_vgpr11
	v_cmp_ge_i32_e64 s9, v15, v40
	v_cmp_lt_i32_e64 s10, v14, v42
	s_or_b32 s8, s9, s8
	s_and_b32 s8, s10, s8
	s_xor_b32 s9, s8, -1
	s_and_saveexec_b32 s10, s9
	s_xor_b32 s9, exec_lo, s10
; %bb.91:
	v_lshl_add_u32 v10, v15, 3, v37
	ds_read_b64 v[10:11], v10 offset:8
; %bb.92:
	s_or_saveexec_b32 s9, s9
	v_mov_b32_e32 v13, v9
	v_mov_b32_e32 v12, v8
	s_xor_b32 exec_lo, exec_lo, s9
	s_cbranch_execz .LBB178_94
; %bb.93:
	s_waitcnt lgkmcnt(0)
	v_lshl_add_u32 v10, v14, 3, v37
	ds_read_b64 v[12:13], v10 offset:8
	v_mov_b32_e32 v11, v7
	v_mov_b32_e32 v10, v6
.LBB178_94:
	s_or_b32 exec_lo, exec_lo, s9
	v_add_nc_u32_e32 v16, 1, v15
	v_add_nc_u32_e32 v17, 1, v14
	s_waitcnt lgkmcnt(0)
	v_cmp_lt_i64_e64 s9, v[12:13], v[10:11]
	v_cndmask_b32_e64 v19, v16, v15, s8
	v_cndmask_b32_e64 v18, v14, v17, s8
                                        ; implicit-def: $vgpr14_vgpr15
	v_cmp_ge_i32_e64 s10, v19, v40
	v_cmp_lt_i32_e64 s11, v18, v42
	s_or_b32 s9, s10, s9
	s_and_b32 s9, s11, s9
	s_xor_b32 s10, s9, -1
	s_and_saveexec_b32 s11, s10
	s_xor_b32 s10, exec_lo, s11
; %bb.95:
	v_lshl_add_u32 v14, v19, 3, v37
	ds_read_b64 v[14:15], v14 offset:8
; %bb.96:
	s_or_saveexec_b32 s10, s10
	v_mov_b32_e32 v17, v13
	v_mov_b32_e32 v16, v12
	s_xor_b32 exec_lo, exec_lo, s10
	s_cbranch_execz .LBB178_98
; %bb.97:
	s_waitcnt lgkmcnt(0)
	v_lshl_add_u32 v14, v18, 3, v37
	ds_read_b64 v[16:17], v14 offset:8
	v_mov_b32_e32 v15, v11
	v_mov_b32_e32 v14, v10
.LBB178_98:
	s_or_b32 exec_lo, exec_lo, s10
	v_add_nc_u32_e32 v20, 1, v19
	v_add_nc_u32_e32 v21, 1, v18
	s_waitcnt lgkmcnt(0)
	v_cmp_lt_i64_e64 s10, v[16:17], v[14:15]
	v_cndmask_b32_e64 v23, v20, v19, s9
	v_cndmask_b32_e64 v22, v18, v21, s9
                                        ; implicit-def: $vgpr18_vgpr19
	v_cmp_ge_i32_e64 s11, v23, v40
	v_cmp_lt_i32_e64 s12, v22, v42
	s_or_b32 s10, s11, s10
	s_and_b32 s10, s12, s10
	s_xor_b32 s11, s10, -1
	s_and_saveexec_b32 s12, s11
	s_xor_b32 s11, exec_lo, s12
; %bb.99:
	v_lshl_add_u32 v18, v23, 3, v37
	ds_read_b64 v[18:19], v18 offset:8
; %bb.100:
	s_or_saveexec_b32 s11, s11
	v_mov_b32_e32 v21, v17
	v_mov_b32_e32 v20, v16
	s_xor_b32 exec_lo, exec_lo, s11
	s_cbranch_execz .LBB178_102
; %bb.101:
	s_waitcnt lgkmcnt(0)
	v_lshl_add_u32 v18, v22, 3, v37
	ds_read_b64 v[20:21], v18 offset:8
	v_mov_b32_e32 v19, v15
	v_mov_b32_e32 v18, v14
.LBB178_102:
	s_or_b32 exec_lo, exec_lo, s11
	v_add_nc_u32_e32 v24, 1, v23
	v_add_nc_u32_e32 v25, 1, v22
	s_waitcnt lgkmcnt(0)
	v_cmp_lt_i64_e64 s11, v[20:21], v[18:19]
	v_cndmask_b32_e64 v27, v24, v23, s10
	v_cndmask_b32_e64 v26, v22, v25, s10
                                        ; implicit-def: $vgpr22_vgpr23
	v_cmp_ge_i32_e64 s12, v27, v40
	v_cmp_lt_i32_e64 s13, v26, v42
	s_or_b32 s11, s12, s11
	s_and_b32 s11, s13, s11
	s_xor_b32 s12, s11, -1
	s_and_saveexec_b32 s13, s12
	s_xor_b32 s12, exec_lo, s13
; %bb.103:
	v_lshl_add_u32 v22, v27, 3, v37
	ds_read_b64 v[22:23], v22 offset:8
; %bb.104:
	s_or_saveexec_b32 s12, s12
	v_mov_b32_e32 v25, v21
	v_mov_b32_e32 v24, v20
	s_xor_b32 exec_lo, exec_lo, s12
	s_cbranch_execz .LBB178_106
; %bb.105:
	s_waitcnt lgkmcnt(0)
	v_lshl_add_u32 v22, v26, 3, v37
	ds_read_b64 v[24:25], v22 offset:8
	v_mov_b32_e32 v23, v19
	v_mov_b32_e32 v22, v18
.LBB178_106:
	s_or_b32 exec_lo, exec_lo, s12
	v_add_nc_u32_e32 v28, 1, v27
	v_add_nc_u32_e32 v30, 1, v26
	s_waitcnt lgkmcnt(0)
	v_cmp_lt_i64_e64 s12, v[24:25], v[22:23]
	v_cndmask_b32_e64 v29, v28, v27, s11
	v_cndmask_b32_e64 v28, v26, v30, s11
                                        ; implicit-def: $vgpr26_vgpr27
	v_cmp_ge_i32_e64 s13, v29, v40
	v_cmp_lt_i32_e64 s14, v28, v42
	s_or_b32 s12, s13, s12
	s_and_b32 s12, s14, s12
	s_xor_b32 s13, s12, -1
	s_and_saveexec_b32 s14, s13
	s_xor_b32 s13, exec_lo, s14
; %bb.107:
	v_lshl_add_u32 v26, v29, 3, v37
	ds_read_b64 v[26:27], v26 offset:8
; %bb.108:
	s_or_saveexec_b32 s13, s13
	v_mov_b32_e32 v31, v25
	v_mov_b32_e32 v30, v24
	s_xor_b32 exec_lo, exec_lo, s13
	s_cbranch_execz .LBB178_110
; %bb.109:
	s_waitcnt lgkmcnt(0)
	v_lshl_add_u32 v26, v28, 3, v37
	ds_read_b64 v[30:31], v26 offset:8
	v_mov_b32_e32 v27, v23
	v_mov_b32_e32 v26, v22
.LBB178_110:
	s_or_b32 exec_lo, exec_lo, s13
	v_add_nc_u32_e32 v32, 1, v29
	v_add_nc_u32_e32 v33, 1, v28
	s_waitcnt lgkmcnt(0)
	v_cmp_lt_i64_e64 s13, v[30:31], v[26:27]
	v_cndmask_b32_e64 v43, v32, v29, s12
	v_cndmask_b32_e64 v39, v28, v33, s12
                                        ; implicit-def: $vgpr28_vgpr29
	v_cmp_ge_i32_e64 s14, v43, v40
	v_cmp_lt_i32_e64 s15, v39, v42
	s_or_b32 s13, s14, s13
	s_and_b32 s13, s15, s13
	s_xor_b32 s14, s13, -1
	s_and_saveexec_b32 s15, s14
	s_xor_b32 s14, exec_lo, s15
; %bb.111:
	v_lshl_add_u32 v28, v43, 3, v37
	ds_read_b64 v[28:29], v28 offset:8
; %bb.112:
	s_or_saveexec_b32 s14, s14
	v_mov_b32_e32 v33, v31
	v_mov_b32_e32 v32, v30
	s_xor_b32 exec_lo, exec_lo, s14
	s_cbranch_execz .LBB178_114
; %bb.113:
	s_waitcnt lgkmcnt(0)
	v_lshl_add_u32 v28, v39, 3, v37
	ds_read_b64 v[32:33], v28 offset:8
	v_mov_b32_e32 v29, v27
	v_mov_b32_e32 v28, v26
.LBB178_114:
	s_or_b32 exec_lo, exec_lo, s14
	v_and_b32_e32 v41, 0x80, v35
	v_cndmask_b32_e64 v30, v26, v30, s13
	v_cndmask_b32_e64 v19, v19, v21, s11
	v_add_nc_u32_e32 v44, 1, v43
	v_cndmask_b32_e64 v31, v27, v31, s13
	v_min_i32_e32 v26, v34, v41
	v_add_nc_u32_e32 v27, 1, v39
	v_cndmask_b32_e64 v11, v11, v13, s9
	v_cndmask_b32_e64 v13, v3, v5, s7
	;; [unrolled: 1-line block ×3, first 2 shown]
	v_add_nc_u32_e32 v21, 64, v26
	v_cndmask_b32_e64 v12, v2, v4, s7
	v_cndmask_b32_e64 v2, v44, v43, s13
	s_waitcnt lgkmcnt(0)
	v_cmp_lt_i64_e64 s7, v[32:33], v[28:29]
	v_and_b32_e32 v4, 0x78, v35
	v_min_i32_e32 v41, v34, v21
	v_cndmask_b32_e64 v9, v7, v9, s8
	v_cndmask_b32_e64 v8, v6, v8, s8
	v_cmp_ge_i32_e64 s8, v2, v40
	v_min_i32_e32 v2, v34, v4
	v_add_nc_u32_e32 v3, 64, v41
	v_cndmask_b32_e64 v15, v15, v17, s10
	v_cndmask_b32_e64 v14, v14, v16, s10
	s_or_b32 s7, s8, s7
	v_cndmask_b32_e64 v23, v23, v25, s12
	v_min_i32_e32 v43, v34, v3
	v_cndmask_b32_e64 v3, v39, v27, s13
	v_cndmask_b32_e64 v22, v22, v24, s12
	;; [unrolled: 1-line block ×3, first 2 shown]
	s_mov_b32 s8, exec_lo
	v_sub_nc_u32_e32 v4, v43, v41
	v_cmp_lt_i32_e64 s9, v3, v42
	v_sub_nc_u32_e32 v3, v41, v26
	; wave barrier
	v_sub_nc_u32_e32 v5, v2, v4
	s_and_b32 s7, s9, s7
	s_mov_b32 s9, 0
	v_cndmask_b32_e64 v17, v29, v33, s7
	v_cndmask_b32_e64 v16, v28, v32, s7
	v_cmp_ge_i32_e64 s7, v2, v4
	v_min_i32_e32 v4, v2, v3
	v_lshl_add_u32 v3, v26, 3, v37
	ds_write2_b64 v38, v[12:13], v[8:9] offset1:1
	ds_write2_b64 v38, v[10:11], v[14:15] offset0:2 offset1:3
	ds_write2_b64 v38, v[18:19], v[22:23] offset0:4 offset1:5
	;; [unrolled: 1-line block ×3, first 2 shown]
	v_cndmask_b32_e64 v6, 0, v5, s7
	; wave barrier
	v_cmpx_lt_i32_e64 v6, v4
	s_cbranch_execz .LBB178_118
; %bb.115:
	v_lshlrev_b32_e32 v5, 3, v41
	v_lshlrev_b32_e32 v7, 3, v2
	v_add3_u32 v5, v37, v5, v7
	.p2align	6
.LBB178_116:                            ; =>This Inner Loop Header: Depth=1
	v_sub_nc_u32_e32 v7, v4, v6
	v_lshrrev_b32_e32 v7, 1, v7
	v_add_nc_u32_e32 v11, v7, v6
	v_not_b32_e32 v7, v11
	v_lshl_add_u32 v8, v11, 3, v3
	v_lshl_add_u32 v9, v7, 3, v5
	ds_read_b64 v[7:8], v8
	ds_read_b64 v[9:10], v9
	s_waitcnt lgkmcnt(0)
	v_cmp_lt_i64_e64 s7, v[9:10], v[7:8]
	v_add_nc_u32_e32 v7, 1, v11
	v_cndmask_b32_e64 v4, v4, v11, s7
	v_cndmask_b32_e64 v6, v7, v6, s7
	v_cmp_ge_i32_e64 s7, v6, v4
	s_or_b32 s9, s7, s9
	s_andn2_b32 exec_lo, exec_lo, s9
	s_cbranch_execnz .LBB178_116
; %bb.117:
	s_or_b32 exec_lo, exec_lo, s9
.LBB178_118:
	s_or_b32 exec_lo, exec_lo, s8
	v_add_nc_u32_e32 v2, v41, v2
	v_lshl_add_u32 v8, v6, 3, v3
	v_add_nc_u32_e32 v11, v6, v26
	v_sub_nc_u32_e32 v10, v2, v6
                                        ; implicit-def: $vgpr6_vgpr7
	v_cmp_le_i32_e64 s8, v41, v11
	v_lshl_add_u32 v12, v10, 3, v37
	v_cmp_gt_i32_e64 s9, v43, v10
	ds_read_b64 v[2:3], v8
	ds_read_b64 v[4:5], v12
	s_waitcnt lgkmcnt(0)
	v_cmp_lt_i64_e64 s7, v[4:5], v[2:3]
	s_or_b32 s7, s8, s7
	s_and_b32 s7, s9, s7
	s_xor_b32 s8, s7, -1
	s_and_saveexec_b32 s9, s8
	s_xor_b32 s8, exec_lo, s9
; %bb.119:
	ds_read_b64 v[6:7], v8 offset:8
                                        ; implicit-def: $vgpr12
; %bb.120:
	s_or_saveexec_b32 s8, s8
	v_mov_b32_e32 v9, v5
	v_mov_b32_e32 v8, v4
	s_xor_b32 exec_lo, exec_lo, s8
	s_cbranch_execz .LBB178_122
; %bb.121:
	ds_read_b64 v[8:9], v12 offset:8
	s_waitcnt lgkmcnt(1)
	v_mov_b32_e32 v7, v3
	v_mov_b32_e32 v6, v2
.LBB178_122:
	s_or_b32 exec_lo, exec_lo, s8
	v_add_nc_u32_e32 v12, 1, v11
	v_add_nc_u32_e32 v13, 1, v10
	s_waitcnt lgkmcnt(0)
	v_cmp_lt_i64_e64 s8, v[8:9], v[6:7]
	v_cndmask_b32_e64 v15, v12, v11, s7
	v_cndmask_b32_e64 v14, v10, v13, s7
                                        ; implicit-def: $vgpr10_vgpr11
	v_cmp_ge_i32_e64 s9, v15, v41
	v_cmp_lt_i32_e64 s10, v14, v43
	s_or_b32 s8, s9, s8
	s_and_b32 s8, s10, s8
	s_xor_b32 s9, s8, -1
	s_and_saveexec_b32 s10, s9
	s_xor_b32 s9, exec_lo, s10
; %bb.123:
	v_lshl_add_u32 v10, v15, 3, v37
	ds_read_b64 v[10:11], v10 offset:8
; %bb.124:
	s_or_saveexec_b32 s9, s9
	v_mov_b32_e32 v13, v9
	v_mov_b32_e32 v12, v8
	s_xor_b32 exec_lo, exec_lo, s9
	s_cbranch_execz .LBB178_126
; %bb.125:
	s_waitcnt lgkmcnt(0)
	v_lshl_add_u32 v10, v14, 3, v37
	ds_read_b64 v[12:13], v10 offset:8
	v_mov_b32_e32 v11, v7
	v_mov_b32_e32 v10, v6
.LBB178_126:
	s_or_b32 exec_lo, exec_lo, s9
	v_add_nc_u32_e32 v16, 1, v15
	v_add_nc_u32_e32 v17, 1, v14
	s_waitcnt lgkmcnt(0)
	v_cmp_lt_i64_e64 s9, v[12:13], v[10:11]
	v_cndmask_b32_e64 v19, v16, v15, s8
	v_cndmask_b32_e64 v18, v14, v17, s8
                                        ; implicit-def: $vgpr14_vgpr15
	v_cmp_ge_i32_e64 s10, v19, v41
	v_cmp_lt_i32_e64 s11, v18, v43
	s_or_b32 s9, s10, s9
	s_and_b32 s9, s11, s9
	s_xor_b32 s10, s9, -1
	s_and_saveexec_b32 s11, s10
	s_xor_b32 s10, exec_lo, s11
; %bb.127:
	v_lshl_add_u32 v14, v19, 3, v37
	ds_read_b64 v[14:15], v14 offset:8
; %bb.128:
	s_or_saveexec_b32 s10, s10
	v_mov_b32_e32 v17, v13
	v_mov_b32_e32 v16, v12
	s_xor_b32 exec_lo, exec_lo, s10
	s_cbranch_execz .LBB178_130
; %bb.129:
	s_waitcnt lgkmcnt(0)
	v_lshl_add_u32 v14, v18, 3, v37
	ds_read_b64 v[16:17], v14 offset:8
	v_mov_b32_e32 v15, v11
	v_mov_b32_e32 v14, v10
.LBB178_130:
	s_or_b32 exec_lo, exec_lo, s10
	v_add_nc_u32_e32 v20, 1, v19
	v_add_nc_u32_e32 v21, 1, v18
	s_waitcnt lgkmcnt(0)
	v_cmp_lt_i64_e64 s10, v[16:17], v[14:15]
	v_cndmask_b32_e64 v23, v20, v19, s9
	v_cndmask_b32_e64 v22, v18, v21, s9
                                        ; implicit-def: $vgpr18_vgpr19
	v_cmp_ge_i32_e64 s11, v23, v41
	v_cmp_lt_i32_e64 s12, v22, v43
	s_or_b32 s10, s11, s10
	s_and_b32 s10, s12, s10
	s_xor_b32 s11, s10, -1
	s_and_saveexec_b32 s12, s11
	s_xor_b32 s11, exec_lo, s12
; %bb.131:
	v_lshl_add_u32 v18, v23, 3, v37
	ds_read_b64 v[18:19], v18 offset:8
; %bb.132:
	s_or_saveexec_b32 s11, s11
	v_mov_b32_e32 v21, v17
	v_mov_b32_e32 v20, v16
	s_xor_b32 exec_lo, exec_lo, s11
	s_cbranch_execz .LBB178_134
; %bb.133:
	s_waitcnt lgkmcnt(0)
	v_lshl_add_u32 v18, v22, 3, v37
	ds_read_b64 v[20:21], v18 offset:8
	v_mov_b32_e32 v19, v15
	v_mov_b32_e32 v18, v14
.LBB178_134:
	s_or_b32 exec_lo, exec_lo, s11
	v_add_nc_u32_e32 v24, 1, v23
	v_add_nc_u32_e32 v25, 1, v22
	s_waitcnt lgkmcnt(0)
	v_cmp_lt_i64_e64 s11, v[20:21], v[18:19]
	v_cndmask_b32_e64 v27, v24, v23, s10
	v_cndmask_b32_e64 v26, v22, v25, s10
                                        ; implicit-def: $vgpr22_vgpr23
	v_cmp_ge_i32_e64 s12, v27, v41
	v_cmp_lt_i32_e64 s13, v26, v43
	s_or_b32 s11, s12, s11
	s_and_b32 s11, s13, s11
	s_xor_b32 s12, s11, -1
	s_and_saveexec_b32 s13, s12
	s_xor_b32 s12, exec_lo, s13
; %bb.135:
	v_lshl_add_u32 v22, v27, 3, v37
	ds_read_b64 v[22:23], v22 offset:8
; %bb.136:
	s_or_saveexec_b32 s12, s12
	v_mov_b32_e32 v25, v21
	v_mov_b32_e32 v24, v20
	s_xor_b32 exec_lo, exec_lo, s12
	s_cbranch_execz .LBB178_138
; %bb.137:
	s_waitcnt lgkmcnt(0)
	v_lshl_add_u32 v22, v26, 3, v37
	ds_read_b64 v[24:25], v22 offset:8
	v_mov_b32_e32 v23, v19
	v_mov_b32_e32 v22, v18
.LBB178_138:
	s_or_b32 exec_lo, exec_lo, s12
	v_add_nc_u32_e32 v28, 1, v27
	v_add_nc_u32_e32 v29, 1, v26
	s_waitcnt lgkmcnt(0)
	v_cmp_lt_i64_e64 s12, v[24:25], v[22:23]
	v_cndmask_b32_e64 v31, v28, v27, s11
	v_cndmask_b32_e64 v30, v26, v29, s11
                                        ; implicit-def: $vgpr26_vgpr27
	v_cmp_ge_i32_e64 s13, v31, v41
	v_cmp_lt_i32_e64 s14, v30, v43
	s_or_b32 s12, s13, s12
	s_and_b32 s12, s14, s12
	s_xor_b32 s13, s12, -1
	s_and_saveexec_b32 s14, s13
	s_xor_b32 s13, exec_lo, s14
; %bb.139:
	v_lshl_add_u32 v26, v31, 3, v37
	ds_read_b64 v[26:27], v26 offset:8
; %bb.140:
	s_or_saveexec_b32 s13, s13
	v_mov_b32_e32 v29, v25
	v_mov_b32_e32 v28, v24
	s_xor_b32 exec_lo, exec_lo, s13
	s_cbranch_execz .LBB178_142
; %bb.141:
	s_waitcnt lgkmcnt(0)
	v_lshl_add_u32 v26, v30, 3, v37
	ds_read_b64 v[28:29], v26 offset:8
	v_mov_b32_e32 v27, v23
	v_mov_b32_e32 v26, v22
.LBB178_142:
	s_or_b32 exec_lo, exec_lo, s13
	v_add_nc_u32_e32 v32, 1, v31
	v_add_nc_u32_e32 v33, 1, v30
	s_waitcnt lgkmcnt(0)
	v_cmp_lt_i64_e64 s13, v[28:29], v[26:27]
	v_cndmask_b32_e64 v39, v32, v31, s12
	v_cndmask_b32_e64 v40, v30, v33, s12
                                        ; implicit-def: $vgpr30_vgpr31
	v_cmp_ge_i32_e64 s14, v39, v41
	v_cmp_lt_i32_e64 s15, v40, v43
	s_or_b32 s13, s14, s13
	s_and_b32 s13, s15, s13
	s_xor_b32 s14, s13, -1
	s_and_saveexec_b32 s15, s14
	s_xor_b32 s14, exec_lo, s15
; %bb.143:
	v_lshl_add_u32 v30, v39, 3, v37
	ds_read_b64 v[30:31], v30 offset:8
; %bb.144:
	s_or_saveexec_b32 s14, s14
	v_mov_b32_e32 v33, v29
	v_mov_b32_e32 v32, v28
	s_xor_b32 exec_lo, exec_lo, s14
	s_cbranch_execz .LBB178_146
; %bb.145:
	s_waitcnt lgkmcnt(0)
	v_lshl_add_u32 v30, v40, 3, v37
	ds_read_b64 v[32:33], v30 offset:8
	v_mov_b32_e32 v31, v27
	v_mov_b32_e32 v30, v26
.LBB178_146:
	s_or_b32 exec_lo, exec_lo, s14
	v_add_nc_u32_e32 v45, 1, v39
	v_min_i32_e32 v42, 0, v34
	v_cndmask_b32_e64 v27, v27, v29, s13
	v_add_nc_u32_e32 v44, 1, v40
	v_cndmask_b32_e64 v10, v10, v12, s9
	v_cndmask_b32_e64 v29, v45, v39, s13
	v_add_nc_u32_e32 v39, 0x80, v42
	v_cndmask_b32_e64 v26, v26, v28, s13
	v_cndmask_b32_e64 v28, v40, v44, s13
	;; [unrolled: 1-line block ×3, first 2 shown]
	s_waitcnt lgkmcnt(0)
	v_cmp_lt_i64_e64 s9, v[32:33], v[30:31]
	v_min_i32_e32 v39, v34, v39
	v_cndmask_b32_e64 v15, v15, v17, s10
	v_cndmask_b32_e64 v14, v14, v16, s10
	v_cmp_ge_i32_e64 s10, v29, v41
	v_cndmask_b32_e64 v9, v7, v9, s8
	v_add_nc_u32_e32 v12, 0x80, v39
	v_cndmask_b32_e64 v8, v6, v8, s8
	v_cmp_lt_i32_e64 s8, v28, v43
	v_cndmask_b32_e64 v13, v3, v5, s7
	v_min_i32_e32 v3, v34, v35
	v_min_i32_e32 v40, v34, v12
	s_or_b32 s9, s10, s9
	v_cndmask_b32_e64 v12, v2, v4, s7
	s_and_b32 s7, s8, s9
	v_sub_nc_u32_e32 v4, v39, v42
	v_sub_nc_u32_e32 v5, v40, v39
	v_cndmask_b32_e64 v17, v31, v33, s7
	v_cndmask_b32_e64 v16, v30, v32, s7
	;; [unrolled: 1-line block ×3, first 2 shown]
	v_min_i32_e32 v4, v3, v4
	v_sub_nc_u32_e32 v2, v3, v5
	v_cmp_ge_i32_e64 s7, v3, v5
	v_cndmask_b32_e64 v22, v22, v24, s12
	v_cndmask_b32_e64 v19, v19, v21, s11
	v_cndmask_b32_e64 v18, v18, v20, s11
	s_mov_b32 s9, 0
	v_cndmask_b32_e64 v6, 0, v2, s7
	v_lshl_add_u32 v2, v42, 3, v37
	s_mov_b32 s8, exec_lo
	; wave barrier
	ds_write2_b64 v38, v[12:13], v[8:9] offset1:1
	ds_write2_b64 v38, v[10:11], v[14:15] offset0:2 offset1:3
	ds_write2_b64 v38, v[18:19], v[22:23] offset0:4 offset1:5
	;; [unrolled: 1-line block ×3, first 2 shown]
	; wave barrier
	v_cmpx_lt_i32_e64 v6, v4
	s_cbranch_execz .LBB178_150
; %bb.147:
	v_lshlrev_b32_e32 v5, 3, v39
	v_lshlrev_b32_e32 v7, 3, v3
	v_add3_u32 v5, v37, v5, v7
	.p2align	6
.LBB178_148:                            ; =>This Inner Loop Header: Depth=1
	v_sub_nc_u32_e32 v7, v4, v6
	v_lshrrev_b32_e32 v7, 1, v7
	v_add_nc_u32_e32 v11, v7, v6
	v_not_b32_e32 v7, v11
	v_lshl_add_u32 v8, v11, 3, v2
	v_lshl_add_u32 v9, v7, 3, v5
	ds_read_b64 v[7:8], v8
	ds_read_b64 v[9:10], v9
	s_waitcnt lgkmcnt(0)
	v_cmp_lt_i64_e64 s7, v[9:10], v[7:8]
	v_add_nc_u32_e32 v7, 1, v11
	v_cndmask_b32_e64 v4, v4, v11, s7
	v_cndmask_b32_e64 v6, v7, v6, s7
	v_cmp_ge_i32_e64 s7, v6, v4
	s_or_b32 s9, s7, s9
	s_andn2_b32 exec_lo, exec_lo, s9
	s_cbranch_execnz .LBB178_148
; %bb.149:
	s_or_b32 exec_lo, exec_lo, s9
.LBB178_150:
	s_or_b32 exec_lo, exec_lo, s8
	v_add_nc_u32_e32 v3, v39, v3
	v_lshl_add_u32 v8, v6, 3, v2
	v_add_nc_u32_e32 v11, v6, v42
	v_sub_nc_u32_e32 v10, v3, v6
                                        ; implicit-def: $vgpr6_vgpr7
	v_cmp_le_i32_e64 s8, v39, v11
	v_lshl_add_u32 v12, v10, 3, v37
	v_cmp_gt_i32_e64 s9, v40, v10
	ds_read_b64 v[2:3], v8
	ds_read_b64 v[4:5], v12
	s_waitcnt lgkmcnt(0)
	v_cmp_lt_i64_e64 s7, v[4:5], v[2:3]
	s_or_b32 s7, s8, s7
	s_and_b32 s7, s9, s7
	s_xor_b32 s8, s7, -1
	s_and_saveexec_b32 s9, s8
	s_xor_b32 s8, exec_lo, s9
; %bb.151:
	ds_read_b64 v[6:7], v8 offset:8
                                        ; implicit-def: $vgpr12
; %bb.152:
	s_or_saveexec_b32 s8, s8
	v_mov_b32_e32 v9, v5
	v_mov_b32_e32 v8, v4
	s_xor_b32 exec_lo, exec_lo, s8
	s_cbranch_execz .LBB178_154
; %bb.153:
	ds_read_b64 v[8:9], v12 offset:8
	s_waitcnt lgkmcnt(1)
	v_mov_b32_e32 v7, v3
	v_mov_b32_e32 v6, v2
.LBB178_154:
	s_or_b32 exec_lo, exec_lo, s8
	v_add_nc_u32_e32 v12, 1, v11
	v_add_nc_u32_e32 v13, 1, v10
	s_waitcnt lgkmcnt(0)
	v_cmp_lt_i64_e64 s8, v[8:9], v[6:7]
	v_cndmask_b32_e64 v15, v12, v11, s7
	v_cndmask_b32_e64 v14, v10, v13, s7
                                        ; implicit-def: $vgpr10_vgpr11
	v_cmp_ge_i32_e64 s9, v15, v39
	v_cmp_lt_i32_e64 s10, v14, v40
	s_or_b32 s8, s9, s8
	s_and_b32 s8, s10, s8
	s_xor_b32 s9, s8, -1
	s_and_saveexec_b32 s10, s9
	s_xor_b32 s9, exec_lo, s10
; %bb.155:
	v_lshl_add_u32 v10, v15, 3, v37
	ds_read_b64 v[10:11], v10 offset:8
; %bb.156:
	s_or_saveexec_b32 s9, s9
	v_mov_b32_e32 v13, v9
	v_mov_b32_e32 v12, v8
	s_xor_b32 exec_lo, exec_lo, s9
	s_cbranch_execz .LBB178_158
; %bb.157:
	s_waitcnt lgkmcnt(0)
	v_lshl_add_u32 v10, v14, 3, v37
	ds_read_b64 v[12:13], v10 offset:8
	v_mov_b32_e32 v11, v7
	v_mov_b32_e32 v10, v6
.LBB178_158:
	s_or_b32 exec_lo, exec_lo, s9
	v_add_nc_u32_e32 v16, 1, v15
	v_add_nc_u32_e32 v17, 1, v14
	s_waitcnt lgkmcnt(0)
	v_cmp_lt_i64_e64 s9, v[12:13], v[10:11]
	v_cndmask_b32_e64 v19, v16, v15, s8
	v_cndmask_b32_e64 v18, v14, v17, s8
                                        ; implicit-def: $vgpr14_vgpr15
	v_cmp_ge_i32_e64 s10, v19, v39
	v_cmp_lt_i32_e64 s11, v18, v40
	s_or_b32 s9, s10, s9
	s_and_b32 s9, s11, s9
	s_xor_b32 s10, s9, -1
	s_and_saveexec_b32 s11, s10
	s_xor_b32 s10, exec_lo, s11
; %bb.159:
	v_lshl_add_u32 v14, v19, 3, v37
	ds_read_b64 v[14:15], v14 offset:8
; %bb.160:
	s_or_saveexec_b32 s10, s10
	v_mov_b32_e32 v17, v13
	v_mov_b32_e32 v16, v12
	s_xor_b32 exec_lo, exec_lo, s10
	s_cbranch_execz .LBB178_162
; %bb.161:
	s_waitcnt lgkmcnt(0)
	v_lshl_add_u32 v14, v18, 3, v37
	ds_read_b64 v[16:17], v14 offset:8
	v_mov_b32_e32 v15, v11
	v_mov_b32_e32 v14, v10
.LBB178_162:
	s_or_b32 exec_lo, exec_lo, s10
	v_add_nc_u32_e32 v20, 1, v19
	v_add_nc_u32_e32 v21, 1, v18
	s_waitcnt lgkmcnt(0)
	v_cmp_lt_i64_e64 s10, v[16:17], v[14:15]
	v_cndmask_b32_e64 v23, v20, v19, s9
	v_cndmask_b32_e64 v22, v18, v21, s9
                                        ; implicit-def: $vgpr18_vgpr19
	v_cmp_ge_i32_e64 s11, v23, v39
	v_cmp_lt_i32_e64 s12, v22, v40
	s_or_b32 s10, s11, s10
	s_and_b32 s10, s12, s10
	s_xor_b32 s11, s10, -1
	s_and_saveexec_b32 s12, s11
	s_xor_b32 s11, exec_lo, s12
; %bb.163:
	v_lshl_add_u32 v18, v23, 3, v37
	ds_read_b64 v[18:19], v18 offset:8
; %bb.164:
	s_or_saveexec_b32 s11, s11
	v_mov_b32_e32 v21, v17
	v_mov_b32_e32 v20, v16
	s_xor_b32 exec_lo, exec_lo, s11
	s_cbranch_execz .LBB178_166
; %bb.165:
	s_waitcnt lgkmcnt(0)
	v_lshl_add_u32 v18, v22, 3, v37
	ds_read_b64 v[20:21], v18 offset:8
	v_mov_b32_e32 v19, v15
	v_mov_b32_e32 v18, v14
.LBB178_166:
	s_or_b32 exec_lo, exec_lo, s11
	v_add_nc_u32_e32 v24, 1, v23
	v_add_nc_u32_e32 v25, 1, v22
	s_waitcnt lgkmcnt(0)
	v_cmp_lt_i64_e64 s11, v[20:21], v[18:19]
	v_cndmask_b32_e64 v27, v24, v23, s10
	v_cndmask_b32_e64 v26, v22, v25, s10
                                        ; implicit-def: $vgpr22_vgpr23
	v_cmp_ge_i32_e64 s12, v27, v39
	v_cmp_lt_i32_e64 s13, v26, v40
	s_or_b32 s11, s12, s11
	s_and_b32 s11, s13, s11
	s_xor_b32 s12, s11, -1
	s_and_saveexec_b32 s13, s12
	s_xor_b32 s12, exec_lo, s13
; %bb.167:
	v_lshl_add_u32 v22, v27, 3, v37
	ds_read_b64 v[22:23], v22 offset:8
; %bb.168:
	s_or_saveexec_b32 s12, s12
	v_mov_b32_e32 v25, v21
	v_mov_b32_e32 v24, v20
	s_xor_b32 exec_lo, exec_lo, s12
	s_cbranch_execz .LBB178_170
; %bb.169:
	s_waitcnt lgkmcnt(0)
	v_lshl_add_u32 v22, v26, 3, v37
	ds_read_b64 v[24:25], v22 offset:8
	v_mov_b32_e32 v23, v19
	v_mov_b32_e32 v22, v18
.LBB178_170:
	s_or_b32 exec_lo, exec_lo, s12
	v_add_nc_u32_e32 v28, 1, v27
	v_add_nc_u32_e32 v29, 1, v26
	s_waitcnt lgkmcnt(0)
	v_cmp_lt_i64_e64 s12, v[24:25], v[22:23]
	v_cndmask_b32_e64 v31, v28, v27, s11
	v_cndmask_b32_e64 v30, v26, v29, s11
                                        ; implicit-def: $vgpr26_vgpr27
	v_cmp_ge_i32_e64 s13, v31, v39
	v_cmp_lt_i32_e64 s14, v30, v40
	s_or_b32 s12, s13, s12
	s_and_b32 s12, s14, s12
	s_xor_b32 s13, s12, -1
	s_and_saveexec_b32 s14, s13
	s_xor_b32 s13, exec_lo, s14
; %bb.171:
	v_lshl_add_u32 v26, v31, 3, v37
	ds_read_b64 v[26:27], v26 offset:8
; %bb.172:
	s_or_saveexec_b32 s13, s13
	v_mov_b32_e32 v29, v25
	v_mov_b32_e32 v28, v24
	s_xor_b32 exec_lo, exec_lo, s13
	s_cbranch_execz .LBB178_174
; %bb.173:
	s_waitcnt lgkmcnt(0)
	v_lshl_add_u32 v26, v30, 3, v37
	ds_read_b64 v[28:29], v26 offset:8
	v_mov_b32_e32 v27, v23
	v_mov_b32_e32 v26, v22
.LBB178_174:
	s_or_b32 exec_lo, exec_lo, s13
	v_add_nc_u32_e32 v32, 1, v31
	v_add_nc_u32_e32 v33, 1, v30
	s_waitcnt lgkmcnt(0)
	v_cmp_lt_i64_e64 s13, v[28:29], v[26:27]
                                        ; implicit-def: $vgpr35
	v_cndmask_b32_e64 v38, v32, v31, s12
	v_cndmask_b32_e64 v34, v30, v33, s12
                                        ; implicit-def: $vgpr30_vgpr31
	v_cmp_ge_i32_e64 s14, v38, v39
	v_cmp_lt_i32_e64 s15, v34, v40
	s_or_b32 s13, s14, s13
	s_and_b32 s13, s15, s13
	s_xor_b32 s14, s13, -1
	s_and_saveexec_b32 s15, s14
	s_xor_b32 s14, exec_lo, s15
; %bb.175:
	v_lshl_add_u32 v30, v38, 3, v37
	v_add_nc_u32_e32 v35, 1, v38
                                        ; implicit-def: $vgpr37
                                        ; implicit-def: $vgpr38
	ds_read_b64 v[30:31], v30 offset:8
; %bb.176:
	s_or_saveexec_b32 s14, s14
	v_mov_b32_e32 v33, v29
	v_mov_b32_e32 v32, v28
	s_xor_b32 exec_lo, exec_lo, s14
	s_cbranch_execz .LBB178_178
; %bb.177:
	s_waitcnt lgkmcnt(0)
	v_lshl_add_u32 v30, v34, 3, v37
	v_add_nc_u32_e32 v34, 1, v34
	v_mov_b32_e32 v35, v38
	ds_read_b64 v[32:33], v30 offset:8
	v_mov_b32_e32 v31, v27
	v_mov_b32_e32 v30, v26
.LBB178_178:
	s_or_b32 exec_lo, exec_lo, s14
	v_add_co_u32 v0, s14, s18, v0
	v_add_co_ci_u32_e64 v1, null, s19, v1, s14
	v_add_co_u32 v0, s14, v0, v36
	v_add_co_ci_u32_e64 v1, null, 0, v1, s14
	s_and_saveexec_b32 s14, vcc_lo
	s_cbranch_execnz .LBB178_187
; %bb.179:
	s_or_b32 exec_lo, exec_lo, s14
	s_and_saveexec_b32 s7, s0
	s_cbranch_execnz .LBB178_188
.LBB178_180:
	s_or_b32 exec_lo, exec_lo, s7
	s_and_saveexec_b32 s0, s1
	s_cbranch_execnz .LBB178_189
.LBB178_181:
	s_or_b32 exec_lo, exec_lo, s0
	s_and_saveexec_b32 s0, s2
	s_cbranch_execnz .LBB178_190
.LBB178_182:
	s_or_b32 exec_lo, exec_lo, s0
	s_and_saveexec_b32 s0, s3
	s_cbranch_execnz .LBB178_191
.LBB178_183:
	s_or_b32 exec_lo, exec_lo, s0
	s_and_saveexec_b32 s0, s4
	s_cbranch_execnz .LBB178_192
.LBB178_184:
	s_or_b32 exec_lo, exec_lo, s0
	s_and_saveexec_b32 s0, s5
	s_cbranch_execnz .LBB178_193
.LBB178_185:
	s_or_b32 exec_lo, exec_lo, s0
	s_and_saveexec_b32 s0, s6
	s_cbranch_execnz .LBB178_194
.LBB178_186:
	s_endpgm
.LBB178_187:
	v_cndmask_b32_e64 v3, v3, v5, s7
	v_cndmask_b32_e64 v2, v2, v4, s7
	global_store_dwordx2 v[0:1], v[2:3], off
	s_or_b32 exec_lo, exec_lo, s14
	s_and_saveexec_b32 s7, s0
	s_cbranch_execz .LBB178_180
.LBB178_188:
	v_cndmask_b32_e64 v3, v7, v9, s8
	v_cndmask_b32_e64 v2, v6, v8, s8
	global_store_dwordx2 v[0:1], v[2:3], off offset:8
	s_or_b32 exec_lo, exec_lo, s7
	s_and_saveexec_b32 s0, s1
	s_cbranch_execz .LBB178_181
.LBB178_189:
	v_cndmask_b32_e64 v3, v11, v13, s9
	v_cndmask_b32_e64 v2, v10, v12, s9
	global_store_dwordx2 v[0:1], v[2:3], off offset:16
	s_or_b32 exec_lo, exec_lo, s0
	s_and_saveexec_b32 s0, s2
	s_cbranch_execz .LBB178_182
.LBB178_190:
	v_cndmask_b32_e64 v3, v15, v17, s10
	v_cndmask_b32_e64 v2, v14, v16, s10
	global_store_dwordx2 v[0:1], v[2:3], off offset:24
	s_or_b32 exec_lo, exec_lo, s0
	s_and_saveexec_b32 s0, s3
	s_cbranch_execz .LBB178_183
.LBB178_191:
	v_cndmask_b32_e64 v3, v19, v21, s11
	v_cndmask_b32_e64 v2, v18, v20, s11
	global_store_dwordx2 v[0:1], v[2:3], off offset:32
	s_or_b32 exec_lo, exec_lo, s0
	s_and_saveexec_b32 s0, s4
	s_cbranch_execz .LBB178_184
.LBB178_192:
	v_cndmask_b32_e64 v3, v23, v25, s12
	v_cndmask_b32_e64 v2, v22, v24, s12
	global_store_dwordx2 v[0:1], v[2:3], off offset:40
	s_or_b32 exec_lo, exec_lo, s0
	s_and_saveexec_b32 s0, s5
	s_cbranch_execz .LBB178_185
.LBB178_193:
	v_cndmask_b32_e64 v3, v27, v29, s13
	v_cndmask_b32_e64 v2, v26, v28, s13
	global_store_dwordx2 v[0:1], v[2:3], off offset:48
	s_or_b32 exec_lo, exec_lo, s0
	s_and_saveexec_b32 s0, s6
	s_cbranch_execz .LBB178_186
.LBB178_194:
	s_waitcnt lgkmcnt(0)
	v_cmp_lt_i64_e32 vcc_lo, v[32:33], v[30:31]
	v_cmp_ge_i32_e64 s0, v35, v39
	v_cmp_lt_i32_e64 s1, v34, v40
	s_or_b32 s0, s0, vcc_lo
	s_and_b32 vcc_lo, s1, s0
	v_cndmask_b32_e32 v3, v31, v33, vcc_lo
	v_cndmask_b32_e32 v2, v30, v32, vcc_lo
	global_store_dwordx2 v[0:1], v[2:3], off offset:56
	s_endpgm
	.section	.rodata,"a",@progbits
	.p2align	6, 0x0
	.amdhsa_kernel _Z19sort_keys_segmentedILj256ELj32ELj8ExN10test_utils4lessEEvPKT2_PS2_PKjT3_
		.amdhsa_group_segment_fixed_size 16448
		.amdhsa_private_segment_fixed_size 0
		.amdhsa_kernarg_size 28
		.amdhsa_user_sgpr_count 6
		.amdhsa_user_sgpr_private_segment_buffer 1
		.amdhsa_user_sgpr_dispatch_ptr 0
		.amdhsa_user_sgpr_queue_ptr 0
		.amdhsa_user_sgpr_kernarg_segment_ptr 1
		.amdhsa_user_sgpr_dispatch_id 0
		.amdhsa_user_sgpr_flat_scratch_init 0
		.amdhsa_user_sgpr_private_segment_size 0
		.amdhsa_wavefront_size32 1
		.amdhsa_uses_dynamic_stack 0
		.amdhsa_system_sgpr_private_segment_wavefront_offset 0
		.amdhsa_system_sgpr_workgroup_id_x 1
		.amdhsa_system_sgpr_workgroup_id_y 0
		.amdhsa_system_sgpr_workgroup_id_z 0
		.amdhsa_system_sgpr_workgroup_info 0
		.amdhsa_system_vgpr_workitem_id 0
		.amdhsa_next_free_vgpr 46
		.amdhsa_next_free_sgpr 20
		.amdhsa_reserve_vcc 1
		.amdhsa_reserve_flat_scratch 0
		.amdhsa_float_round_mode_32 0
		.amdhsa_float_round_mode_16_64 0
		.amdhsa_float_denorm_mode_32 3
		.amdhsa_float_denorm_mode_16_64 3
		.amdhsa_dx10_clamp 1
		.amdhsa_ieee_mode 1
		.amdhsa_fp16_overflow 0
		.amdhsa_workgroup_processor_mode 1
		.amdhsa_memory_ordered 1
		.amdhsa_forward_progress 1
		.amdhsa_shared_vgpr_count 0
		.amdhsa_exception_fp_ieee_invalid_op 0
		.amdhsa_exception_fp_denorm_src 0
		.amdhsa_exception_fp_ieee_div_zero 0
		.amdhsa_exception_fp_ieee_overflow 0
		.amdhsa_exception_fp_ieee_underflow 0
		.amdhsa_exception_fp_ieee_inexact 0
		.amdhsa_exception_int_div_zero 0
	.end_amdhsa_kernel
	.section	.text._Z19sort_keys_segmentedILj256ELj32ELj8ExN10test_utils4lessEEvPKT2_PS2_PKjT3_,"axG",@progbits,_Z19sort_keys_segmentedILj256ELj32ELj8ExN10test_utils4lessEEvPKT2_PS2_PKjT3_,comdat
.Lfunc_end178:
	.size	_Z19sort_keys_segmentedILj256ELj32ELj8ExN10test_utils4lessEEvPKT2_PS2_PKjT3_, .Lfunc_end178-_Z19sort_keys_segmentedILj256ELj32ELj8ExN10test_utils4lessEEvPKT2_PS2_PKjT3_
                                        ; -- End function
	.set _Z19sort_keys_segmentedILj256ELj32ELj8ExN10test_utils4lessEEvPKT2_PS2_PKjT3_.num_vgpr, 46
	.set _Z19sort_keys_segmentedILj256ELj32ELj8ExN10test_utils4lessEEvPKT2_PS2_PKjT3_.num_agpr, 0
	.set _Z19sort_keys_segmentedILj256ELj32ELj8ExN10test_utils4lessEEvPKT2_PS2_PKjT3_.numbered_sgpr, 20
	.set _Z19sort_keys_segmentedILj256ELj32ELj8ExN10test_utils4lessEEvPKT2_PS2_PKjT3_.num_named_barrier, 0
	.set _Z19sort_keys_segmentedILj256ELj32ELj8ExN10test_utils4lessEEvPKT2_PS2_PKjT3_.private_seg_size, 0
	.set _Z19sort_keys_segmentedILj256ELj32ELj8ExN10test_utils4lessEEvPKT2_PS2_PKjT3_.uses_vcc, 1
	.set _Z19sort_keys_segmentedILj256ELj32ELj8ExN10test_utils4lessEEvPKT2_PS2_PKjT3_.uses_flat_scratch, 0
	.set _Z19sort_keys_segmentedILj256ELj32ELj8ExN10test_utils4lessEEvPKT2_PS2_PKjT3_.has_dyn_sized_stack, 0
	.set _Z19sort_keys_segmentedILj256ELj32ELj8ExN10test_utils4lessEEvPKT2_PS2_PKjT3_.has_recursion, 0
	.set _Z19sort_keys_segmentedILj256ELj32ELj8ExN10test_utils4lessEEvPKT2_PS2_PKjT3_.has_indirect_call, 0
	.section	.AMDGPU.csdata,"",@progbits
; Kernel info:
; codeLenInByte = 9600
; TotalNumSgprs: 22
; NumVgprs: 46
; ScratchSize: 0
; MemoryBound: 0
; FloatMode: 240
; IeeeMode: 1
; LDSByteSize: 16448 bytes/workgroup (compile time only)
; SGPRBlocks: 0
; VGPRBlocks: 5
; NumSGPRsForWavesPerEU: 22
; NumVGPRsForWavesPerEU: 46
; Occupancy: 14
; WaveLimiterHint : 0
; COMPUTE_PGM_RSRC2:SCRATCH_EN: 0
; COMPUTE_PGM_RSRC2:USER_SGPR: 6
; COMPUTE_PGM_RSRC2:TRAP_HANDLER: 0
; COMPUTE_PGM_RSRC2:TGID_X_EN: 1
; COMPUTE_PGM_RSRC2:TGID_Y_EN: 0
; COMPUTE_PGM_RSRC2:TGID_Z_EN: 0
; COMPUTE_PGM_RSRC2:TIDIG_COMP_CNT: 0
	.section	.text._Z20sort_pairs_segmentedILj256ELj32ELj8ExN10test_utils4lessEEvPKT2_PS2_PKjT3_,"axG",@progbits,_Z20sort_pairs_segmentedILj256ELj32ELj8ExN10test_utils4lessEEvPKT2_PS2_PKjT3_,comdat
	.protected	_Z20sort_pairs_segmentedILj256ELj32ELj8ExN10test_utils4lessEEvPKT2_PS2_PKjT3_ ; -- Begin function _Z20sort_pairs_segmentedILj256ELj32ELj8ExN10test_utils4lessEEvPKT2_PS2_PKjT3_
	.globl	_Z20sort_pairs_segmentedILj256ELj32ELj8ExN10test_utils4lessEEvPKT2_PS2_PKjT3_
	.p2align	8
	.type	_Z20sort_pairs_segmentedILj256ELj32ELj8ExN10test_utils4lessEEvPKT2_PS2_PKjT3_,@function
_Z20sort_pairs_segmentedILj256ELj32ELj8ExN10test_utils4lessEEvPKT2_PS2_PKjT3_: ; @_Z20sort_pairs_segmentedILj256ELj32ELj8ExN10test_utils4lessEEvPKT2_PS2_PKjT3_
; %bb.0:
	s_clause 0x1
	s_load_dwordx2 s[0:1], s[4:5], 0x10
	s_load_dwordx4 s[16:19], s[4:5], 0x0
	v_lshrrev_b32_e32 v46, 5, v0
	v_mov_b32_e32 v1, 0
                                        ; implicit-def: $vgpr6_vgpr7
	v_lshl_or_b32 v0, s6, 3, v46
	v_lshlrev_b64 v[2:3], 2, v[0:1]
	v_lshlrev_b32_e32 v0, 8, v0
	v_lshlrev_b64 v[0:1], 3, v[0:1]
	s_waitcnt lgkmcnt(0)
	v_add_co_u32 v2, vcc_lo, s0, v2
	v_add_co_ci_u32_e64 v3, null, s1, v3, vcc_lo
	v_add_co_u32 v4, vcc_lo, s16, v0
	v_add_co_ci_u32_e64 v5, null, s17, v1, vcc_lo
	global_load_dword v50, v[2:3], off
	v_mbcnt_lo_u32_b32 v2, -1, 0
	v_lshlrev_b32_e32 v3, 6, v2
	v_lshlrev_b32_e32 v51, 3, v2
	v_add_co_u32 v2, vcc_lo, v4, v3
	v_add_co_ci_u32_e64 v3, null, 0, v5, vcc_lo
	s_waitcnt vmcnt(0)
	v_cmp_lt_u32_e64 s6, v51, v50
	s_and_saveexec_b32 s0, s6
	s_cbranch_execz .LBB179_2
; %bb.1:
	global_load_dwordx2 v[6:7], v[2:3], off
.LBB179_2:
	s_or_b32 exec_lo, exec_lo, s0
	v_or_b32_e32 v16, 1, v51
                                        ; implicit-def: $vgpr34_vgpr35
	v_cmp_lt_u32_e64 s5, v16, v50
	s_and_saveexec_b32 s0, s5
	s_cbranch_execz .LBB179_4
; %bb.3:
	global_load_dwordx2 v[34:35], v[2:3], off offset:8
.LBB179_4:
	s_or_b32 exec_lo, exec_lo, s0
	v_or_b32_e32 v20, 2, v51
                                        ; implicit-def: $vgpr22_vgpr23
	v_cmp_lt_u32_e64 s4, v20, v50
	s_and_saveexec_b32 s0, s4
	s_cbranch_execz .LBB179_6
; %bb.5:
	global_load_dwordx2 v[22:23], v[2:3], off offset:16
.LBB179_6:
	s_or_b32 exec_lo, exec_lo, s0
	v_or_b32_e32 v28, 3, v51
                                        ; implicit-def: $vgpr36_vgpr37
	v_cmp_lt_u32_e64 s3, v28, v50
	s_and_saveexec_b32 s0, s3
	s_cbranch_execz .LBB179_8
; %bb.7:
	global_load_dwordx2 v[36:37], v[2:3], off offset:24
.LBB179_8:
	s_or_b32 exec_lo, exec_lo, s0
	v_or_b32_e32 v29, 4, v51
                                        ; implicit-def: $vgpr24_vgpr25
	v_cmp_lt_u32_e64 s2, v29, v50
	s_and_saveexec_b32 s0, s2
	s_cbranch_execz .LBB179_10
; %bb.9:
	global_load_dwordx2 v[24:25], v[2:3], off offset:32
.LBB179_10:
	s_or_b32 exec_lo, exec_lo, s0
	v_or_b32_e32 v32, 5, v51
                                        ; implicit-def: $vgpr38_vgpr39
	v_cmp_lt_u32_e64 s1, v32, v50
	s_and_saveexec_b32 s0, s1
	s_cbranch_execz .LBB179_12
; %bb.11:
	global_load_dwordx2 v[38:39], v[2:3], off offset:40
.LBB179_12:
	s_or_b32 exec_lo, exec_lo, s0
	v_or_b32_e32 v42, 6, v51
                                        ; implicit-def: $vgpr26_vgpr27
	v_cmp_lt_u32_e64 s0, v42, v50
	s_and_saveexec_b32 s7, s0
	s_cbranch_execz .LBB179_14
; %bb.13:
	global_load_dwordx2 v[26:27], v[2:3], off offset:48
.LBB179_14:
	s_or_b32 exec_lo, exec_lo, s7
	v_or_b32_e32 v43, 7, v51
                                        ; implicit-def: $vgpr40_vgpr41
	v_cmp_lt_u32_e32 vcc_lo, v43, v50
	s_and_saveexec_b32 s7, vcc_lo
	s_cbranch_execz .LBB179_16
; %bb.15:
	global_load_dwordx2 v[40:41], v[2:3], off offset:56
.LBB179_16:
	s_or_b32 exec_lo, exec_lo, s7
	s_waitcnt vmcnt(0)
	v_add_co_u32 v2, s7, v6, 1
	v_add_co_ci_u32_e64 v3, null, 0, v7, s7
	v_add_co_u32 v8, s7, v34, 1
	v_add_co_ci_u32_e64 v9, null, 0, v35, s7
	;; [unrolled: 2-line block ×7, first 2 shown]
	v_cmp_lt_i32_e64 s7, v16, v50
	v_add_co_u32 v16, s8, v40, 1
	v_add_co_ci_u32_e64 v17, null, 0, v41, s8
	v_cmp_lt_i32_e64 s8, v20, v50
	v_cndmask_b32_e64 v21, 0x7fffffff, v35, s7
	v_cndmask_b32_e64 v20, -1, v34, s7
	v_cmp_lt_i32_e64 s7, v28, v50
	v_cmp_lt_i32_e64 s9, v43, v50
	v_cndmask_b32_e64 v31, 0x7fffffff, v23, s8
	v_cndmask_b32_e64 v30, -1, v22, s8
	v_cmp_lt_i32_e64 s8, v29, v50
	v_cndmask_b32_e64 v23, 0x7fffffff, v37, s7
	v_cndmask_b32_e64 v22, -1, v36, s7
	;; [unrolled: 3-line block ×4, first 2 shown]
	v_cndmask_b32_e64 v25, 0x7fffffff, v27, s8
	v_cndmask_b32_e64 v24, -1, v26, s8
	v_cndmask_b32_e64 v27, 0x7fffffff, v41, s9
	v_cndmask_b32_e64 v26, -1, v40, s9
	s_mov_b32 s8, exec_lo
	v_cmpx_lt_i32_e64 v51, v50
	s_cbranch_execz .LBB179_74
; %bb.17:
	v_mov_b32_e32 v43, v9
	v_mov_b32_e32 v42, v8
	s_mov_b32 s9, exec_lo
	v_cmpx_lt_i64_e64 v[20:21], v[6:7]
	s_cbranch_execz .LBB179_19
; %bb.18:
	v_mov_b32_e32 v21, v7
	v_mov_b32_e32 v43, v3
	v_mov_b32_e32 v20, v6
	v_mov_b32_e32 v6, v34
	v_mov_b32_e32 v42, v2
	v_mov_b32_e32 v2, v8
	v_mov_b32_e32 v7, v35
	v_mov_b32_e32 v3, v9
.LBB179_19:
	s_or_b32 exec_lo, exec_lo, s9
	v_mov_b32_e32 v45, v13
	v_mov_b32_e32 v44, v12
	s_mov_b32 s9, exec_lo
	v_cmpx_lt_i64_e64 v[22:23], v[30:31]
	s_cbranch_execz .LBB179_21
; %bb.20:
	v_mov_b32_e32 v22, v30
	v_mov_b32_e32 v45, v11
	v_mov_b32_e32 v23, v31
	v_mov_b32_e32 v30, v36
	v_mov_b32_e32 v44, v10
	v_mov_b32_e32 v10, v12
	v_mov_b32_e32 v31, v37
	v_mov_b32_e32 v11, v13
.LBB179_21:
	s_or_b32 exec_lo, exec_lo, s9
	;; [unrolled: 16-line block ×4, first 2 shown]
	v_cmp_lt_i64_e64 s7, v[30:31], v[20:21]
	v_mov_b32_e32 v8, v30
	v_mov_b32_e32 v39, v11
	v_mov_b32_e32 v9, v31
	v_mov_b32_e32 v38, v10
	s_and_saveexec_b32 s9, s7
	s_xor_b32 s7, exec_lo, s9
	s_cbranch_execz .LBB179_27
; %bb.26:
	v_mov_b32_e32 v8, v20
	v_mov_b32_e32 v38, v42
	v_mov_b32_e32 v9, v21
	v_mov_b32_e32 v20, v30
	v_mov_b32_e32 v39, v43
	v_mov_b32_e32 v43, v11
	v_mov_b32_e32 v21, v31
	v_mov_b32_e32 v42, v10
.LBB179_27:
	s_or_b32 exec_lo, exec_lo, s7
	v_mov_b32_e32 v10, v32
	v_mov_b32_e32 v31, v15
	v_mov_b32_e32 v11, v33
	v_mov_b32_e32 v30, v14
	s_mov_b32 s9, exec_lo
	v_cmpx_lt_i64_e64 v[32:33], v[22:23]
	s_cbranch_execz .LBB179_29
; %bb.28:
	v_mov_b32_e32 v10, v22
	v_mov_b32_e32 v30, v44
	v_mov_b32_e32 v11, v23
	v_mov_b32_e32 v22, v32
	v_mov_b32_e32 v31, v45
	v_mov_b32_e32 v45, v15
	v_mov_b32_e32 v23, v33
	v_mov_b32_e32 v44, v14
.LBB179_29:
	s_or_b32 exec_lo, exec_lo, s9
	v_mov_b32_e32 v12, v24
	v_mov_b32_e32 v33, v5
	v_mov_b32_e32 v13, v25
	v_mov_b32_e32 v32, v4
	s_mov_b32 s9, exec_lo
	v_cmpx_lt_i64_e64 v[24:25], v[28:29]
	;; [unrolled: 18-line block ×23, first 2 shown]
	s_cbranch_execz .LBB179_73
; %bb.72:
	v_mov_b32_e32 v19, v5
	v_mov_b32_e32 v29, v25
	;; [unrolled: 1-line block ×8, first 2 shown]
.LBB179_73:
	s_or_b32 exec_lo, exec_lo, s9
.LBB179_74:
	s_or_b32 exec_lo, exec_lo, s8
	v_and_b32_e32 v34, 0xf0, v51
	v_and_b32_e32 v36, 8, v51
	v_lshlrev_b32_e32 v52, 3, v51
	v_mul_u32_u24_e32 v53, 0x808, v46
	v_min_i32_e32 v34, v50, v34
	; wave barrier
	v_mad_u32_u24 v54, 0x808, v46, v52
	s_mov_b32 s9, 0
	s_mov_b32 s8, exec_lo
	v_add_nc_u32_e32 v35, 8, v34
	v_lshlrev_b32_e32 v39, 3, v34
	ds_write2_b64 v54, v[6:7], v[20:21] offset1:1
	ds_write2_b64 v54, v[30:31], v[22:23] offset0:2 offset1:3
	ds_write2_b64 v54, v[32:33], v[28:29] offset0:4 offset1:5
	;; [unrolled: 1-line block ×3, first 2 shown]
	v_min_i32_e32 v55, v50, v35
	v_mad_u32_u24 v6, 0x808, v46, v39
	; wave barrier
	v_add_nc_u32_e32 v35, 8, v55
	v_sub_nc_u32_e32 v38, v55, v34
	v_min_i32_e32 v56, v50, v35
	v_min_i32_e32 v35, v50, v36
	v_sub_nc_u32_e32 v36, v56, v55
	v_sub_nc_u32_e32 v37, v35, v36
	v_cmp_ge_i32_e64 s7, v35, v36
	v_cndmask_b32_e64 v36, 0, v37, s7
	v_min_i32_e32 v37, v35, v38
	v_cmpx_lt_i32_e64 v36, v37
	s_cbranch_execz .LBB179_78
; %bb.75:
	v_lshlrev_b32_e32 v7, 3, v55
	v_lshlrev_b32_e32 v20, 3, v35
	v_add3_u32 v7, v53, v7, v20
	.p2align	6
.LBB179_76:                             ; =>This Inner Loop Header: Depth=1
	v_sub_nc_u32_e32 v20, v37, v36
	v_lshrrev_b32_e32 v20, 1, v20
	v_add_nc_u32_e32 v24, v20, v36
	v_not_b32_e32 v20, v24
	v_lshl_add_u32 v21, v24, 3, v6
	v_lshl_add_u32 v22, v20, 3, v7
	ds_read_b64 v[20:21], v21
	ds_read_b64 v[22:23], v22
	s_waitcnt lgkmcnt(0)
	v_cmp_lt_i64_e64 s7, v[22:23], v[20:21]
	v_add_nc_u32_e32 v20, 1, v24
	v_cndmask_b32_e64 v37, v37, v24, s7
	v_cndmask_b32_e64 v36, v20, v36, s7
	v_cmp_ge_i32_e64 s7, v36, v37
	s_or_b32 s9, s7, s9
	s_andn2_b32 exec_lo, exec_lo, s9
	s_cbranch_execnz .LBB179_76
; %bb.77:
	s_or_b32 exec_lo, exec_lo, s9
.LBB179_78:
	s_or_b32 exec_lo, exec_lo, s8
	v_add_nc_u32_e32 v7, v55, v35
	v_lshl_add_u32 v24, v36, 3, v6
	v_add_nc_u32_e32 v58, v36, v34
	v_sub_nc_u32_e32 v57, v7, v36
                                        ; implicit-def: $vgpr6_vgpr7
	v_cmp_le_i32_e64 s8, v55, v58
	v_lshl_add_u32 v26, v57, 3, v53
	v_cmp_gt_i32_e64 s9, v56, v57
	ds_read_b64 v[20:21], v24
	ds_read_b64 v[22:23], v26
	s_waitcnt lgkmcnt(0)
	v_cmp_lt_i64_e64 s7, v[22:23], v[20:21]
	s_or_b32 s7, s8, s7
	s_and_b32 s7, s9, s7
	s_xor_b32 s8, s7, -1
	s_and_saveexec_b32 s9, s8
	s_xor_b32 s8, exec_lo, s9
; %bb.79:
	ds_read_b64 v[6:7], v24 offset:8
                                        ; implicit-def: $vgpr26
; %bb.80:
	s_or_saveexec_b32 s8, s8
	v_mov_b32_e32 v25, v23
	v_mov_b32_e32 v24, v22
	s_xor_b32 exec_lo, exec_lo, s8
	s_cbranch_execz .LBB179_82
; %bb.81:
	ds_read_b64 v[24:25], v26 offset:8
	s_waitcnt lgkmcnt(1)
	v_mov_b32_e32 v6, v20
	v_mov_b32_e32 v7, v21
.LBB179_82:
	s_or_b32 exec_lo, exec_lo, s8
	v_add_nc_u32_e32 v26, 1, v58
	v_add_nc_u32_e32 v27, 1, v57
	s_waitcnt lgkmcnt(0)
	v_cmp_lt_i64_e64 s8, v[24:25], v[6:7]
	v_cndmask_b32_e64 v59, v26, v58, s7
	v_cndmask_b32_e64 v60, v57, v27, s7
                                        ; implicit-def: $vgpr26_vgpr27
	v_cmp_ge_i32_e64 s9, v59, v55
	v_cmp_lt_i32_e64 s10, v60, v56
	s_or_b32 s8, s9, s8
	s_and_b32 s8, s10, s8
	s_xor_b32 s9, s8, -1
	s_and_saveexec_b32 s10, s9
	s_xor_b32 s9, exec_lo, s10
; %bb.83:
	v_lshl_add_u32 v26, v59, 3, v53
	ds_read_b64 v[26:27], v26 offset:8
; %bb.84:
	s_or_saveexec_b32 s9, s9
	v_mov_b32_e32 v29, v25
	v_mov_b32_e32 v28, v24
	s_xor_b32 exec_lo, exec_lo, s9
	s_cbranch_execz .LBB179_86
; %bb.85:
	s_waitcnt lgkmcnt(0)
	v_lshl_add_u32 v26, v60, 3, v53
	ds_read_b64 v[28:29], v26 offset:8
	v_mov_b32_e32 v27, v7
	v_mov_b32_e32 v26, v6
.LBB179_86:
	s_or_b32 exec_lo, exec_lo, s9
	v_add_nc_u32_e32 v30, 1, v59
	v_add_nc_u32_e32 v31, 1, v60
	s_waitcnt lgkmcnt(0)
	v_cmp_lt_i64_e64 s9, v[28:29], v[26:27]
	v_cndmask_b32_e64 v61, v30, v59, s8
	v_cndmask_b32_e64 v62, v60, v31, s8
                                        ; implicit-def: $vgpr30_vgpr31
	v_cmp_ge_i32_e64 s10, v61, v55
	v_cmp_lt_i32_e64 s11, v62, v56
	s_or_b32 s9, s10, s9
	s_and_b32 s9, s11, s9
	s_xor_b32 s10, s9, -1
	s_and_saveexec_b32 s11, s10
	s_xor_b32 s10, exec_lo, s11
; %bb.87:
	v_lshl_add_u32 v30, v61, 3, v53
	ds_read_b64 v[30:31], v30 offset:8
; %bb.88:
	s_or_saveexec_b32 s10, s10
	v_mov_b32_e32 v33, v29
	v_mov_b32_e32 v32, v28
	s_xor_b32 exec_lo, exec_lo, s10
	s_cbranch_execz .LBB179_90
; %bb.89:
	s_waitcnt lgkmcnt(0)
	v_lshl_add_u32 v30, v62, 3, v53
	ds_read_b64 v[32:33], v30 offset:8
	v_mov_b32_e32 v31, v27
	v_mov_b32_e32 v30, v26
.LBB179_90:
	s_or_b32 exec_lo, exec_lo, s10
	v_add_nc_u32_e32 v34, 1, v61
	v_add_nc_u32_e32 v35, 1, v62
	s_waitcnt lgkmcnt(0)
	v_cmp_lt_i64_e64 s10, v[32:33], v[30:31]
                                        ; implicit-def: $vgpr36_vgpr37
	v_cndmask_b32_e64 v63, v34, v61, s9
	v_cndmask_b32_e64 v64, v62, v35, s9
	v_cmp_ge_i32_e64 s11, v63, v55
	v_cmp_lt_i32_e64 s12, v64, v56
	s_or_b32 s10, s11, s10
	s_and_b32 s10, s12, s10
	s_xor_b32 s11, s10, -1
	s_and_saveexec_b32 s12, s11
	s_xor_b32 s11, exec_lo, s12
; %bb.91:
	v_lshl_add_u32 v34, v63, 3, v53
	ds_read_b64 v[36:37], v34 offset:8
; %bb.92:
	s_or_saveexec_b32 s11, s11
	v_mov_b32_e32 v41, v33
	v_mov_b32_e32 v40, v32
	s_xor_b32 exec_lo, exec_lo, s11
	s_cbranch_execz .LBB179_94
; %bb.93:
	v_lshl_add_u32 v34, v64, 3, v53
	s_waitcnt lgkmcnt(0)
	v_mov_b32_e32 v37, v31
	v_mov_b32_e32 v36, v30
	ds_read_b64 v[40:41], v34 offset:8
.LBB179_94:
	s_or_b32 exec_lo, exec_lo, s11
	v_add_nc_u32_e32 v34, 1, v63
	v_add_nc_u32_e32 v35, 1, v64
	s_waitcnt lgkmcnt(0)
	v_cmp_lt_i64_e64 s11, v[40:41], v[36:37]
                                        ; implicit-def: $vgpr42_vgpr43
	v_cndmask_b32_e64 v65, v34, v63, s10
	v_cndmask_b32_e64 v66, v64, v35, s10
	v_cmp_ge_i32_e64 s12, v65, v55
	v_cmp_lt_i32_e64 s13, v66, v56
	s_or_b32 s11, s12, s11
	s_and_b32 s11, s13, s11
	s_xor_b32 s12, s11, -1
	s_and_saveexec_b32 s13, s12
	s_xor_b32 s12, exec_lo, s13
; %bb.95:
	v_lshl_add_u32 v34, v65, 3, v53
	ds_read_b64 v[42:43], v34 offset:8
; %bb.96:
	s_or_saveexec_b32 s12, s12
	v_mov_b32_e32 v45, v41
	v_mov_b32_e32 v44, v40
	s_xor_b32 exec_lo, exec_lo, s12
	s_cbranch_execz .LBB179_98
; %bb.97:
	v_lshl_add_u32 v34, v66, 3, v53
	s_waitcnt lgkmcnt(0)
	v_mov_b32_e32 v43, v37
	v_mov_b32_e32 v42, v36
	ds_read_b64 v[44:45], v34 offset:8
.LBB179_98:
	s_or_b32 exec_lo, exec_lo, s12
	v_add_nc_u32_e32 v34, 1, v65
	v_add_nc_u32_e32 v35, 1, v66
	s_waitcnt lgkmcnt(0)
	v_cmp_lt_i64_e64 s12, v[44:45], v[42:43]
                                        ; implicit-def: $vgpr46_vgpr47
	v_cndmask_b32_e64 v67, v34, v65, s11
	v_cndmask_b32_e64 v68, v66, v35, s11
	v_cmp_ge_i32_e64 s13, v67, v55
	v_cmp_lt_i32_e64 s14, v68, v56
	s_or_b32 s12, s13, s12
	s_and_b32 s12, s14, s12
	s_xor_b32 s13, s12, -1
	s_and_saveexec_b32 s14, s13
	s_xor_b32 s13, exec_lo, s14
; %bb.99:
	v_lshl_add_u32 v34, v67, 3, v53
	ds_read_b64 v[46:47], v34 offset:8
; %bb.100:
	s_or_saveexec_b32 s13, s13
	v_mov_b32_e32 v49, v45
	v_mov_b32_e32 v48, v44
	s_xor_b32 exec_lo, exec_lo, s13
	s_cbranch_execz .LBB179_102
; %bb.101:
	v_lshl_add_u32 v34, v68, 3, v53
	s_waitcnt lgkmcnt(0)
	v_mov_b32_e32 v47, v43
	v_mov_b32_e32 v46, v42
	ds_read_b64 v[48:49], v34 offset:8
.LBB179_102:
	s_or_b32 exec_lo, exec_lo, s13
	v_add_nc_u32_e32 v34, 1, v67
	v_add_nc_u32_e32 v35, 1, v68
	s_waitcnt lgkmcnt(0)
	v_cmp_lt_i64_e64 s13, v[48:49], v[46:47]
	v_cndmask_b32_e64 v69, v34, v67, s12
	v_cndmask_b32_e64 v70, v68, v35, s12
                                        ; implicit-def: $vgpr34_vgpr35
	v_cmp_ge_i32_e64 s14, v69, v55
	v_cmp_lt_i32_e64 s15, v70, v56
	s_or_b32 s13, s14, s13
	s_and_b32 s13, s15, s13
	s_xor_b32 s14, s13, -1
	s_and_saveexec_b32 s15, s14
	s_xor_b32 s14, exec_lo, s15
; %bb.103:
	v_lshl_add_u32 v34, v69, 3, v53
	ds_read_b64 v[34:35], v34 offset:8
; %bb.104:
	s_or_saveexec_b32 s14, s14
	v_mov_b32_e32 v38, v48
	v_mov_b32_e32 v39, v49
	s_xor_b32 exec_lo, exec_lo, s14
	s_cbranch_execz .LBB179_106
; %bb.105:
	s_waitcnt lgkmcnt(0)
	v_lshl_add_u32 v34, v70, 3, v53
	ds_read_b64 v[38:39], v34 offset:8
	v_mov_b32_e32 v34, v46
	v_mov_b32_e32 v35, v47
.LBB179_106:
	s_or_b32 exec_lo, exec_lo, s14
	v_add_nc_u32_e32 v72, 1, v69
	v_cndmask_b32_e64 v27, v27, v29, s9
	v_cndmask_b32_e64 v29, v7, v25, s8
	v_and_b32_e32 v7, 0xe0, v51
	v_add_nc_u32_e32 v71, 1, v70
	v_cndmask_b32_e64 v47, v47, v49, s13
	v_cndmask_b32_e64 v49, v72, v69, s13
	;; [unrolled: 1-line block ×4, first 2 shown]
	v_min_i32_e32 v24, v50, v7
	v_cndmask_b32_e64 v46, v46, v48, s13
	v_cndmask_b32_e64 v48, v70, v71, s13
	;; [unrolled: 1-line block ×4, first 2 shown]
	s_waitcnt lgkmcnt(0)
	v_cmp_lt_i64_e64 s9, v[38:39], v[34:35]
	v_cndmask_b32_e64 v31, v31, v33, s10
	v_cndmask_b32_e64 v30, v30, v32, s10
	v_cndmask_b32_e64 v32, v63, v64, s10
	v_cmp_ge_i32_e64 s10, v49, v55
	; wave barrier
	ds_write2_b64 v54, v[2:3], v[8:9] offset1:1
	ds_write2_b64 v54, v[10:11], v[12:13] offset0:2 offset1:3
	v_add_nc_u32_e32 v2, 16, v24
	v_cndmask_b32_e64 v36, v36, v40, s11
	v_cndmask_b32_e64 v40, v65, v66, s11
	v_cmp_lt_i32_e64 s11, v48, v56
	v_cndmask_b32_e64 v6, v59, v60, s8
	s_or_b32 s8, s10, s9
	v_cndmask_b32_e64 v25, v58, v57, s7
	v_min_i32_e32 v55, v50, v2
	v_cndmask_b32_e64 v42, v42, v44, s12
	v_cndmask_b32_e64 v44, v67, v68, s12
	s_and_b32 s8, s11, s8
	v_cndmask_b32_e64 v69, v69, v70, s13
	v_cndmask_b32_e64 v33, v35, v39, s8
	;; [unrolled: 1-line block ×3, first 2 shown]
	v_lshl_add_u32 v2, v25, 3, v53
	v_add_nc_u32_e32 v10, 16, v55
	v_lshl_add_u32 v11, v40, 3, v53
	v_and_b32_e32 v12, 24, v51
	ds_write2_b64 v54, v[14:15], v[18:19] offset0:4 offset1:5
	ds_write2_b64 v54, v[4:5], v[16:17] offset0:6 offset1:7
	v_lshl_add_u32 v4, v6, 3, v53
	v_lshl_add_u32 v13, v44, 3, v53
	;; [unrolled: 1-line block ×6, first 2 shown]
	; wave barrier
	ds_read_b64 v[2:3], v2
	ds_read_b64 v[6:7], v4
	;; [unrolled: 1-line block ×4, first 2 shown]
	v_min_i32_e32 v56, v50, v10
	v_min_i32_e32 v18, v50, v12
	ds_read_b64 v[10:11], v11
	ds_read_b64 v[14:15], v13
	;; [unrolled: 1-line block ×4, first 2 shown]
	v_cndmask_b32_e64 v40, v21, v23, s7
	v_cndmask_b32_e64 v39, v20, v22, s7
	v_sub_nc_u32_e32 v19, v56, v55
	v_sub_nc_u32_e32 v21, v55, v24
	v_cndmask_b32_e64 v32, v34, v38, s8
	v_cndmask_b32_e64 v43, v43, v45, s12
	s_mov_b32 s9, 0
	v_sub_nc_u32_e32 v20, v18, v19
	v_cmp_ge_i32_e64 s7, v18, v19
	v_lshl_add_u32 v19, v24, 3, v53
	s_mov_b32 s8, exec_lo
	; wave barrier
	v_cndmask_b32_e64 v22, 0, v20, s7
	v_min_i32_e32 v20, v18, v21
	ds_write2_b64 v54, v[39:40], v[28:29] offset1:1
	ds_write2_b64 v54, v[26:27], v[30:31] offset0:2 offset1:3
	ds_write2_b64 v54, v[36:37], v[42:43] offset0:4 offset1:5
	;; [unrolled: 1-line block ×3, first 2 shown]
	; wave barrier
	v_cmpx_lt_i32_e64 v22, v20
	s_cbranch_execz .LBB179_110
; %bb.107:
	v_lshlrev_b32_e32 v21, 3, v55
	v_lshlrev_b32_e32 v23, 3, v18
	v_add3_u32 v21, v53, v21, v23
	.p2align	6
.LBB179_108:                            ; =>This Inner Loop Header: Depth=1
	v_sub_nc_u32_e32 v23, v20, v22
	v_lshrrev_b32_e32 v23, 1, v23
	v_add_nc_u32_e32 v23, v23, v22
	v_not_b32_e32 v25, v23
	v_lshl_add_u32 v26, v23, 3, v19
	v_lshl_add_u32 v27, v25, 3, v21
	ds_read_b64 v[25:26], v26
	ds_read_b64 v[27:28], v27
	s_waitcnt lgkmcnt(0)
	v_cmp_lt_i64_e64 s7, v[27:28], v[25:26]
	v_add_nc_u32_e32 v25, 1, v23
	v_cndmask_b32_e64 v20, v20, v23, s7
	v_cndmask_b32_e64 v22, v25, v22, s7
	v_cmp_ge_i32_e64 s7, v22, v20
	s_or_b32 s9, s7, s9
	s_andn2_b32 exec_lo, exec_lo, s9
	s_cbranch_execnz .LBB179_108
; %bb.109:
	s_or_b32 exec_lo, exec_lo, s9
.LBB179_110:
	s_or_b32 exec_lo, exec_lo, s8
	v_add_nc_u32_e32 v18, v55, v18
	v_lshl_add_u32 v25, v22, 3, v19
	v_add_nc_u32_e32 v58, v22, v24
	v_sub_nc_u32_e32 v57, v18, v22
                                        ; implicit-def: $vgpr22_vgpr23
	v_cmp_le_i32_e64 s8, v55, v58
	v_lshl_add_u32 v26, v57, 3, v53
	v_cmp_gt_i32_e64 s9, v56, v57
	ds_read_b64 v[18:19], v25
	ds_read_b64 v[20:21], v26
	s_waitcnt lgkmcnt(0)
	v_cmp_lt_i64_e64 s7, v[20:21], v[18:19]
	s_or_b32 s7, s8, s7
	s_and_b32 s7, s9, s7
	s_xor_b32 s8, s7, -1
	s_and_saveexec_b32 s9, s8
	s_xor_b32 s8, exec_lo, s9
; %bb.111:
	ds_read_b64 v[22:23], v25 offset:8
                                        ; implicit-def: $vgpr26
; %bb.112:
	s_or_saveexec_b32 s8, s8
	v_mov_b32_e32 v25, v21
	v_mov_b32_e32 v24, v20
	s_xor_b32 exec_lo, exec_lo, s8
	s_cbranch_execz .LBB179_114
; %bb.113:
	ds_read_b64 v[24:25], v26 offset:8
	s_waitcnt lgkmcnt(1)
	v_mov_b32_e32 v23, v19
	v_mov_b32_e32 v22, v18
.LBB179_114:
	s_or_b32 exec_lo, exec_lo, s8
	v_add_nc_u32_e32 v26, 1, v58
	v_add_nc_u32_e32 v27, 1, v57
	s_waitcnt lgkmcnt(0)
	v_cmp_lt_i64_e64 s8, v[24:25], v[22:23]
	v_cndmask_b32_e64 v59, v26, v58, s7
	v_cndmask_b32_e64 v60, v57, v27, s7
                                        ; implicit-def: $vgpr26_vgpr27
	v_cmp_ge_i32_e64 s9, v59, v55
	v_cmp_lt_i32_e64 s10, v60, v56
	s_or_b32 s8, s9, s8
	s_and_b32 s8, s10, s8
	s_xor_b32 s9, s8, -1
	s_and_saveexec_b32 s10, s9
	s_xor_b32 s9, exec_lo, s10
; %bb.115:
	v_lshl_add_u32 v26, v59, 3, v53
	ds_read_b64 v[26:27], v26 offset:8
; %bb.116:
	s_or_saveexec_b32 s9, s9
	v_mov_b32_e32 v29, v25
	v_mov_b32_e32 v28, v24
	s_xor_b32 exec_lo, exec_lo, s9
	s_cbranch_execz .LBB179_118
; %bb.117:
	s_waitcnt lgkmcnt(0)
	v_lshl_add_u32 v26, v60, 3, v53
	ds_read_b64 v[28:29], v26 offset:8
	v_mov_b32_e32 v27, v23
	v_mov_b32_e32 v26, v22
.LBB179_118:
	s_or_b32 exec_lo, exec_lo, s9
	v_add_nc_u32_e32 v30, 1, v59
	v_add_nc_u32_e32 v31, 1, v60
	s_waitcnt lgkmcnt(0)
	v_cmp_lt_i64_e64 s9, v[28:29], v[26:27]
	v_cndmask_b32_e64 v61, v30, v59, s8
	v_cndmask_b32_e64 v62, v60, v31, s8
                                        ; implicit-def: $vgpr30_vgpr31
	v_cmp_ge_i32_e64 s10, v61, v55
	v_cmp_lt_i32_e64 s11, v62, v56
	s_or_b32 s9, s10, s9
	s_and_b32 s9, s11, s9
	s_xor_b32 s10, s9, -1
	s_and_saveexec_b32 s11, s10
	s_xor_b32 s10, exec_lo, s11
; %bb.119:
	v_lshl_add_u32 v30, v61, 3, v53
	ds_read_b64 v[30:31], v30 offset:8
; %bb.120:
	s_or_saveexec_b32 s10, s10
	v_mov_b32_e32 v33, v29
	v_mov_b32_e32 v32, v28
	s_xor_b32 exec_lo, exec_lo, s10
	s_cbranch_execz .LBB179_122
; %bb.121:
	s_waitcnt lgkmcnt(0)
	v_lshl_add_u32 v30, v62, 3, v53
	ds_read_b64 v[32:33], v30 offset:8
	v_mov_b32_e32 v31, v27
	v_mov_b32_e32 v30, v26
.LBB179_122:
	s_or_b32 exec_lo, exec_lo, s10
	v_add_nc_u32_e32 v34, 1, v61
	v_add_nc_u32_e32 v35, 1, v62
	s_waitcnt lgkmcnt(0)
	v_cmp_lt_i64_e64 s10, v[32:33], v[30:31]
                                        ; implicit-def: $vgpr36_vgpr37
	v_cndmask_b32_e64 v63, v34, v61, s9
	v_cndmask_b32_e64 v64, v62, v35, s9
	v_cmp_ge_i32_e64 s11, v63, v55
	v_cmp_lt_i32_e64 s12, v64, v56
	s_or_b32 s10, s11, s10
	s_and_b32 s10, s12, s10
	s_xor_b32 s11, s10, -1
	s_and_saveexec_b32 s12, s11
	s_xor_b32 s11, exec_lo, s12
; %bb.123:
	v_lshl_add_u32 v34, v63, 3, v53
	ds_read_b64 v[36:37], v34 offset:8
; %bb.124:
	s_or_saveexec_b32 s11, s11
	v_mov_b32_e32 v41, v33
	v_mov_b32_e32 v40, v32
	s_xor_b32 exec_lo, exec_lo, s11
	s_cbranch_execz .LBB179_126
; %bb.125:
	v_lshl_add_u32 v34, v64, 3, v53
	s_waitcnt lgkmcnt(0)
	v_mov_b32_e32 v37, v31
	v_mov_b32_e32 v36, v30
	ds_read_b64 v[40:41], v34 offset:8
.LBB179_126:
	s_or_b32 exec_lo, exec_lo, s11
	v_add_nc_u32_e32 v34, 1, v63
	v_add_nc_u32_e32 v35, 1, v64
	s_waitcnt lgkmcnt(0)
	v_cmp_lt_i64_e64 s11, v[40:41], v[36:37]
                                        ; implicit-def: $vgpr42_vgpr43
	v_cndmask_b32_e64 v65, v34, v63, s10
	v_cndmask_b32_e64 v66, v64, v35, s10
	v_cmp_ge_i32_e64 s12, v65, v55
	v_cmp_lt_i32_e64 s13, v66, v56
	s_or_b32 s11, s12, s11
	s_and_b32 s11, s13, s11
	s_xor_b32 s12, s11, -1
	s_and_saveexec_b32 s13, s12
	s_xor_b32 s12, exec_lo, s13
; %bb.127:
	v_lshl_add_u32 v34, v65, 3, v53
	ds_read_b64 v[42:43], v34 offset:8
; %bb.128:
	s_or_saveexec_b32 s12, s12
	v_mov_b32_e32 v45, v41
	v_mov_b32_e32 v44, v40
	s_xor_b32 exec_lo, exec_lo, s12
	s_cbranch_execz .LBB179_130
; %bb.129:
	v_lshl_add_u32 v34, v66, 3, v53
	s_waitcnt lgkmcnt(0)
	v_mov_b32_e32 v43, v37
	v_mov_b32_e32 v42, v36
	ds_read_b64 v[44:45], v34 offset:8
.LBB179_130:
	s_or_b32 exec_lo, exec_lo, s12
	v_add_nc_u32_e32 v34, 1, v65
	v_add_nc_u32_e32 v35, 1, v66
	s_waitcnt lgkmcnt(0)
	v_cmp_lt_i64_e64 s12, v[44:45], v[42:43]
                                        ; implicit-def: $vgpr46_vgpr47
	v_cndmask_b32_e64 v67, v34, v65, s11
	v_cndmask_b32_e64 v68, v66, v35, s11
	v_cmp_ge_i32_e64 s13, v67, v55
	v_cmp_lt_i32_e64 s14, v68, v56
	s_or_b32 s12, s13, s12
	s_and_b32 s12, s14, s12
	s_xor_b32 s13, s12, -1
	s_and_saveexec_b32 s14, s13
	s_xor_b32 s13, exec_lo, s14
; %bb.131:
	v_lshl_add_u32 v34, v67, 3, v53
	ds_read_b64 v[46:47], v34 offset:8
; %bb.132:
	s_or_saveexec_b32 s13, s13
	v_mov_b32_e32 v49, v45
	v_mov_b32_e32 v48, v44
	s_xor_b32 exec_lo, exec_lo, s13
	s_cbranch_execz .LBB179_134
; %bb.133:
	v_lshl_add_u32 v34, v68, 3, v53
	s_waitcnt lgkmcnt(0)
	v_mov_b32_e32 v47, v43
	v_mov_b32_e32 v46, v42
	ds_read_b64 v[48:49], v34 offset:8
.LBB179_134:
	s_or_b32 exec_lo, exec_lo, s13
	v_add_nc_u32_e32 v34, 1, v67
	v_add_nc_u32_e32 v35, 1, v68
	s_waitcnt lgkmcnt(0)
	v_cmp_lt_i64_e64 s13, v[48:49], v[46:47]
	v_cndmask_b32_e64 v69, v34, v67, s12
	v_cndmask_b32_e64 v70, v68, v35, s12
                                        ; implicit-def: $vgpr34_vgpr35
	v_cmp_ge_i32_e64 s14, v69, v55
	v_cmp_lt_i32_e64 s15, v70, v56
	s_or_b32 s13, s14, s13
	s_and_b32 s13, s15, s13
	s_xor_b32 s14, s13, -1
	s_and_saveexec_b32 s15, s14
	s_xor_b32 s14, exec_lo, s15
; %bb.135:
	v_lshl_add_u32 v34, v69, 3, v53
	ds_read_b64 v[34:35], v34 offset:8
; %bb.136:
	s_or_saveexec_b32 s14, s14
	v_mov_b32_e32 v38, v48
	v_mov_b32_e32 v39, v49
	s_xor_b32 exec_lo, exec_lo, s14
	s_cbranch_execz .LBB179_138
; %bb.137:
	s_waitcnt lgkmcnt(0)
	v_lshl_add_u32 v34, v70, 3, v53
	ds_read_b64 v[38:39], v34 offset:8
	v_mov_b32_e32 v34, v46
	v_mov_b32_e32 v35, v47
.LBB179_138:
	s_or_b32 exec_lo, exec_lo, s14
	v_add_nc_u32_e32 v72, 1, v69
	v_cndmask_b32_e64 v26, v26, v28, s9
	v_cndmask_b32_e64 v28, v22, v24, s8
	v_and_b32_e32 v22, 0xc0, v51
	v_add_nc_u32_e32 v71, 1, v70
	v_cndmask_b32_e64 v47, v47, v49, s13
	v_cndmask_b32_e64 v49, v72, v69, s13
	;; [unrolled: 1-line block ×3, first 2 shown]
	v_min_i32_e32 v22, v50, v22
	v_cndmask_b32_e64 v48, v70, v71, s13
	v_cndmask_b32_e64 v37, v37, v41, s11
	;; [unrolled: 1-line block ×4, first 2 shown]
	s_waitcnt lgkmcnt(0)
	v_cmp_lt_i64_e64 s9, v[38:39], v[34:35]
	v_cndmask_b32_e64 v31, v31, v33, s10
	v_cndmask_b32_e64 v30, v30, v32, s10
	;; [unrolled: 1-line block ×3, first 2 shown]
	v_cmp_ge_i32_e64 s10, v49, v55
	; wave barrier
	ds_write2_b64 v54, v[2:3], v[6:7] offset1:1
	ds_write2_b64 v54, v[4:5], v[8:9] offset0:2 offset1:3
	v_add_nc_u32_e32 v2, 32, v22
	v_cndmask_b32_e64 v36, v36, v40, s11
	v_cndmask_b32_e64 v40, v65, v66, s11
	v_cmp_lt_i32_e64 s11, v48, v56
	v_cndmask_b32_e64 v29, v23, v25, s8
	v_cndmask_b32_e64 v23, v59, v60, s8
	s_or_b32 s8, s10, s9
	v_cndmask_b32_e64 v24, v58, v57, s7
	v_min_i32_e32 v55, v50, v2
	v_cndmask_b32_e64 v42, v42, v44, s12
	v_cndmask_b32_e64 v44, v67, v68, s12
	s_and_b32 s8, s11, s8
	v_cndmask_b32_e64 v69, v69, v70, s13
	v_cndmask_b32_e64 v25, v49, v48, s8
	ds_write2_b64 v54, v[10:11], v[14:15] offset0:4 offset1:5
	ds_write2_b64 v54, v[12:13], v[16:17] offset0:6 offset1:7
	v_lshl_add_u32 v2, v24, 3, v53
	v_add_nc_u32_e32 v10, 32, v55
	v_lshl_add_u32 v11, v40, 3, v53
	v_and_b32_e32 v12, 56, v51
	v_lshl_add_u32 v4, v23, 3, v53
	v_lshl_add_u32 v13, v44, 3, v53
	;; [unrolled: 1-line block ×6, first 2 shown]
	; wave barrier
	ds_read_b64 v[2:3], v2
	ds_read_b64 v[6:7], v4
	;; [unrolled: 1-line block ×4, first 2 shown]
	v_min_i32_e32 v56, v50, v10
	v_min_i32_e32 v23, v50, v12
	ds_read_b64 v[10:11], v11
	ds_read_b64 v[14:15], v13
	;; [unrolled: 1-line block ×4, first 2 shown]
	v_cndmask_b32_e64 v21, v19, v21, s7
	v_cndmask_b32_e64 v20, v18, v20, s7
	v_sub_nc_u32_e32 v24, v56, v55
	v_sub_nc_u32_e32 v19, v55, v22
	v_cndmask_b32_e64 v33, v35, v39, s8
	v_cndmask_b32_e64 v32, v34, v38, s8
	v_cndmask_b32_e64 v43, v43, v45, s12
	v_sub_nc_u32_e32 v18, v23, v24
	v_cmp_ge_i32_e64 s7, v23, v24
	v_min_i32_e32 v19, v23, v19
	s_mov_b32 s9, 0
	s_mov_b32 s8, exec_lo
	v_cndmask_b32_e64 v24, 0, v18, s7
	v_lshl_add_u32 v18, v22, 3, v53
	; wave barrier
	ds_write2_b64 v54, v[20:21], v[28:29] offset1:1
	ds_write2_b64 v54, v[26:27], v[30:31] offset0:2 offset1:3
	ds_write2_b64 v54, v[36:37], v[42:43] offset0:4 offset1:5
	;; [unrolled: 1-line block ×3, first 2 shown]
	; wave barrier
	v_cmpx_lt_i32_e64 v24, v19
	s_cbranch_execz .LBB179_142
; %bb.139:
	v_lshlrev_b32_e32 v20, 3, v55
	v_lshlrev_b32_e32 v21, 3, v23
	v_add3_u32 v20, v53, v20, v21
	.p2align	6
.LBB179_140:                            ; =>This Inner Loop Header: Depth=1
	v_sub_nc_u32_e32 v21, v19, v24
	v_lshrrev_b32_e32 v21, 1, v21
	v_add_nc_u32_e32 v21, v21, v24
	v_not_b32_e32 v25, v21
	v_lshl_add_u32 v26, v21, 3, v18
	v_lshl_add_u32 v27, v25, 3, v20
	ds_read_b64 v[25:26], v26
	ds_read_b64 v[27:28], v27
	s_waitcnt lgkmcnt(0)
	v_cmp_lt_i64_e64 s7, v[27:28], v[25:26]
	v_add_nc_u32_e32 v25, 1, v21
	v_cndmask_b32_e64 v19, v19, v21, s7
	v_cndmask_b32_e64 v24, v25, v24, s7
	v_cmp_ge_i32_e64 s7, v24, v19
	s_or_b32 s9, s7, s9
	s_andn2_b32 exec_lo, exec_lo, s9
	s_cbranch_execnz .LBB179_140
; %bb.141:
	s_or_b32 exec_lo, exec_lo, s9
.LBB179_142:
	s_or_b32 exec_lo, exec_lo, s8
	v_add_nc_u32_e32 v19, v55, v23
	v_lshl_add_u32 v25, v24, 3, v18
	v_add_nc_u32_e32 v58, v24, v22
                                        ; implicit-def: $vgpr22_vgpr23
	v_sub_nc_u32_e32 v57, v19, v24
	v_cmp_le_i32_e64 s8, v55, v58
	v_lshl_add_u32 v26, v57, 3, v53
	v_cmp_gt_i32_e64 s9, v56, v57
	ds_read_b64 v[18:19], v25
	ds_read_b64 v[20:21], v26
	s_waitcnt lgkmcnt(0)
	v_cmp_lt_i64_e64 s7, v[20:21], v[18:19]
	s_or_b32 s7, s8, s7
	s_and_b32 s7, s9, s7
	s_xor_b32 s8, s7, -1
	s_and_saveexec_b32 s9, s8
	s_xor_b32 s8, exec_lo, s9
; %bb.143:
	ds_read_b64 v[22:23], v25 offset:8
                                        ; implicit-def: $vgpr26
; %bb.144:
	s_or_saveexec_b32 s8, s8
	v_mov_b32_e32 v25, v21
	v_mov_b32_e32 v24, v20
	s_xor_b32 exec_lo, exec_lo, s8
	s_cbranch_execz .LBB179_146
; %bb.145:
	ds_read_b64 v[24:25], v26 offset:8
	s_waitcnt lgkmcnt(1)
	v_mov_b32_e32 v23, v19
	v_mov_b32_e32 v22, v18
.LBB179_146:
	s_or_b32 exec_lo, exec_lo, s8
	v_add_nc_u32_e32 v26, 1, v58
	v_add_nc_u32_e32 v27, 1, v57
	s_waitcnt lgkmcnt(0)
	v_cmp_lt_i64_e64 s8, v[24:25], v[22:23]
	v_cndmask_b32_e64 v59, v26, v58, s7
	v_cndmask_b32_e64 v60, v57, v27, s7
                                        ; implicit-def: $vgpr26_vgpr27
	v_cmp_ge_i32_e64 s9, v59, v55
	v_cmp_lt_i32_e64 s10, v60, v56
	s_or_b32 s8, s9, s8
	s_and_b32 s8, s10, s8
	s_xor_b32 s9, s8, -1
	s_and_saveexec_b32 s10, s9
	s_xor_b32 s9, exec_lo, s10
; %bb.147:
	v_lshl_add_u32 v26, v59, 3, v53
	ds_read_b64 v[26:27], v26 offset:8
; %bb.148:
	s_or_saveexec_b32 s9, s9
	v_mov_b32_e32 v29, v25
	v_mov_b32_e32 v28, v24
	s_xor_b32 exec_lo, exec_lo, s9
	s_cbranch_execz .LBB179_150
; %bb.149:
	s_waitcnt lgkmcnt(0)
	v_lshl_add_u32 v26, v60, 3, v53
	ds_read_b64 v[28:29], v26 offset:8
	v_mov_b32_e32 v27, v23
	v_mov_b32_e32 v26, v22
.LBB179_150:
	s_or_b32 exec_lo, exec_lo, s9
	v_add_nc_u32_e32 v30, 1, v59
	v_add_nc_u32_e32 v31, 1, v60
	s_waitcnt lgkmcnt(0)
	v_cmp_lt_i64_e64 s9, v[28:29], v[26:27]
	v_cndmask_b32_e64 v61, v30, v59, s8
	v_cndmask_b32_e64 v62, v60, v31, s8
                                        ; implicit-def: $vgpr30_vgpr31
	v_cmp_ge_i32_e64 s10, v61, v55
	v_cmp_lt_i32_e64 s11, v62, v56
	s_or_b32 s9, s10, s9
	s_and_b32 s9, s11, s9
	s_xor_b32 s10, s9, -1
	s_and_saveexec_b32 s11, s10
	s_xor_b32 s10, exec_lo, s11
; %bb.151:
	v_lshl_add_u32 v30, v61, 3, v53
	ds_read_b64 v[30:31], v30 offset:8
; %bb.152:
	s_or_saveexec_b32 s10, s10
	v_mov_b32_e32 v33, v29
	v_mov_b32_e32 v32, v28
	s_xor_b32 exec_lo, exec_lo, s10
	s_cbranch_execz .LBB179_154
; %bb.153:
	s_waitcnt lgkmcnt(0)
	v_lshl_add_u32 v30, v62, 3, v53
	ds_read_b64 v[32:33], v30 offset:8
	v_mov_b32_e32 v31, v27
	v_mov_b32_e32 v30, v26
.LBB179_154:
	s_or_b32 exec_lo, exec_lo, s10
	v_add_nc_u32_e32 v34, 1, v61
	v_add_nc_u32_e32 v35, 1, v62
	s_waitcnt lgkmcnt(0)
	v_cmp_lt_i64_e64 s10, v[32:33], v[30:31]
                                        ; implicit-def: $vgpr36_vgpr37
	v_cndmask_b32_e64 v63, v34, v61, s9
	v_cndmask_b32_e64 v64, v62, v35, s9
	v_cmp_ge_i32_e64 s11, v63, v55
	v_cmp_lt_i32_e64 s12, v64, v56
	s_or_b32 s10, s11, s10
	s_and_b32 s10, s12, s10
	s_xor_b32 s11, s10, -1
	s_and_saveexec_b32 s12, s11
	s_xor_b32 s11, exec_lo, s12
; %bb.155:
	v_lshl_add_u32 v34, v63, 3, v53
	ds_read_b64 v[36:37], v34 offset:8
; %bb.156:
	s_or_saveexec_b32 s11, s11
	v_mov_b32_e32 v41, v33
	v_mov_b32_e32 v40, v32
	s_xor_b32 exec_lo, exec_lo, s11
	s_cbranch_execz .LBB179_158
; %bb.157:
	v_lshl_add_u32 v34, v64, 3, v53
	s_waitcnt lgkmcnt(0)
	v_mov_b32_e32 v37, v31
	v_mov_b32_e32 v36, v30
	ds_read_b64 v[40:41], v34 offset:8
.LBB179_158:
	s_or_b32 exec_lo, exec_lo, s11
	v_add_nc_u32_e32 v34, 1, v63
	v_add_nc_u32_e32 v35, 1, v64
	s_waitcnt lgkmcnt(0)
	v_cmp_lt_i64_e64 s11, v[40:41], v[36:37]
                                        ; implicit-def: $vgpr42_vgpr43
	v_cndmask_b32_e64 v65, v34, v63, s10
	v_cndmask_b32_e64 v66, v64, v35, s10
	v_cmp_ge_i32_e64 s12, v65, v55
	v_cmp_lt_i32_e64 s13, v66, v56
	s_or_b32 s11, s12, s11
	s_and_b32 s11, s13, s11
	s_xor_b32 s12, s11, -1
	s_and_saveexec_b32 s13, s12
	s_xor_b32 s12, exec_lo, s13
; %bb.159:
	v_lshl_add_u32 v34, v65, 3, v53
	ds_read_b64 v[42:43], v34 offset:8
; %bb.160:
	s_or_saveexec_b32 s12, s12
	v_mov_b32_e32 v45, v41
	v_mov_b32_e32 v44, v40
	s_xor_b32 exec_lo, exec_lo, s12
	s_cbranch_execz .LBB179_162
; %bb.161:
	v_lshl_add_u32 v34, v66, 3, v53
	s_waitcnt lgkmcnt(0)
	v_mov_b32_e32 v43, v37
	v_mov_b32_e32 v42, v36
	ds_read_b64 v[44:45], v34 offset:8
.LBB179_162:
	s_or_b32 exec_lo, exec_lo, s12
	v_add_nc_u32_e32 v34, 1, v65
	v_add_nc_u32_e32 v35, 1, v66
	s_waitcnt lgkmcnt(0)
	v_cmp_lt_i64_e64 s12, v[44:45], v[42:43]
                                        ; implicit-def: $vgpr46_vgpr47
	v_cndmask_b32_e64 v67, v34, v65, s11
	v_cndmask_b32_e64 v68, v66, v35, s11
	v_cmp_ge_i32_e64 s13, v67, v55
	v_cmp_lt_i32_e64 s14, v68, v56
	s_or_b32 s12, s13, s12
	s_and_b32 s12, s14, s12
	s_xor_b32 s13, s12, -1
	s_and_saveexec_b32 s14, s13
	s_xor_b32 s13, exec_lo, s14
; %bb.163:
	v_lshl_add_u32 v34, v67, 3, v53
	ds_read_b64 v[46:47], v34 offset:8
; %bb.164:
	s_or_saveexec_b32 s13, s13
	v_mov_b32_e32 v49, v45
	v_mov_b32_e32 v48, v44
	s_xor_b32 exec_lo, exec_lo, s13
	s_cbranch_execz .LBB179_166
; %bb.165:
	v_lshl_add_u32 v34, v68, 3, v53
	s_waitcnt lgkmcnt(0)
	v_mov_b32_e32 v47, v43
	v_mov_b32_e32 v46, v42
	ds_read_b64 v[48:49], v34 offset:8
.LBB179_166:
	s_or_b32 exec_lo, exec_lo, s13
	v_add_nc_u32_e32 v34, 1, v67
	v_add_nc_u32_e32 v35, 1, v68
	s_waitcnt lgkmcnt(0)
	v_cmp_lt_i64_e64 s13, v[48:49], v[46:47]
	v_cndmask_b32_e64 v69, v34, v67, s12
	v_cndmask_b32_e64 v70, v68, v35, s12
                                        ; implicit-def: $vgpr34_vgpr35
	v_cmp_ge_i32_e64 s14, v69, v55
	v_cmp_lt_i32_e64 s15, v70, v56
	s_or_b32 s13, s14, s13
	s_and_b32 s13, s15, s13
	s_xor_b32 s14, s13, -1
	s_and_saveexec_b32 s15, s14
	s_xor_b32 s14, exec_lo, s15
; %bb.167:
	v_lshl_add_u32 v34, v69, 3, v53
	ds_read_b64 v[34:35], v34 offset:8
; %bb.168:
	s_or_saveexec_b32 s14, s14
	v_mov_b32_e32 v38, v48
	v_mov_b32_e32 v39, v49
	s_xor_b32 exec_lo, exec_lo, s14
	s_cbranch_execz .LBB179_170
; %bb.169:
	s_waitcnt lgkmcnt(0)
	v_lshl_add_u32 v34, v70, 3, v53
	ds_read_b64 v[38:39], v34 offset:8
	v_mov_b32_e32 v34, v46
	v_mov_b32_e32 v35, v47
.LBB179_170:
	s_or_b32 exec_lo, exec_lo, s14
	v_add_nc_u32_e32 v72, 1, v69
	v_cndmask_b32_e64 v26, v26, v28, s9
	v_cndmask_b32_e64 v28, v22, v24, s8
	v_and_b32_e32 v22, 0x80, v51
	v_add_nc_u32_e32 v71, 1, v70
	v_cndmask_b32_e64 v47, v47, v49, s13
	v_cndmask_b32_e64 v49, v72, v69, s13
	;; [unrolled: 1-line block ×3, first 2 shown]
	v_min_i32_e32 v22, v50, v22
	v_cndmask_b32_e64 v48, v70, v71, s13
	v_cndmask_b32_e64 v37, v37, v41, s11
	;; [unrolled: 1-line block ×4, first 2 shown]
	s_waitcnt lgkmcnt(0)
	v_cmp_lt_i64_e64 s9, v[38:39], v[34:35]
	v_cndmask_b32_e64 v31, v31, v33, s10
	v_cndmask_b32_e64 v30, v30, v32, s10
	;; [unrolled: 1-line block ×3, first 2 shown]
	v_cmp_ge_i32_e64 s10, v49, v55
	; wave barrier
	ds_write2_b64 v54, v[2:3], v[6:7] offset1:1
	ds_write2_b64 v54, v[4:5], v[8:9] offset0:2 offset1:3
	v_add_nc_u32_e32 v2, 64, v22
	v_cndmask_b32_e64 v36, v36, v40, s11
	v_cndmask_b32_e64 v40, v65, v66, s11
	v_cmp_lt_i32_e64 s11, v48, v56
	v_cndmask_b32_e64 v29, v23, v25, s8
	v_cndmask_b32_e64 v23, v59, v60, s8
	s_or_b32 s8, s10, s9
	v_cndmask_b32_e64 v24, v58, v57, s7
	v_min_i32_e32 v55, v50, v2
	v_cndmask_b32_e64 v42, v42, v44, s12
	v_cndmask_b32_e64 v44, v67, v68, s12
	s_and_b32 s8, s11, s8
	v_cndmask_b32_e64 v69, v69, v70, s13
	v_cndmask_b32_e64 v25, v49, v48, s8
	ds_write2_b64 v54, v[10:11], v[14:15] offset0:4 offset1:5
	ds_write2_b64 v54, v[12:13], v[16:17] offset0:6 offset1:7
	v_lshl_add_u32 v2, v24, 3, v53
	v_add_nc_u32_e32 v10, 64, v55
	v_lshl_add_u32 v11, v40, 3, v53
	v_and_b32_e32 v12, 0x78, v51
	v_lshl_add_u32 v4, v23, 3, v53
	v_lshl_add_u32 v13, v44, 3, v53
	;; [unrolled: 1-line block ×6, first 2 shown]
	; wave barrier
	ds_read_b64 v[2:3], v2
	ds_read_b64 v[6:7], v4
	;; [unrolled: 1-line block ×4, first 2 shown]
	v_min_i32_e32 v56, v50, v10
	v_min_i32_e32 v23, v50, v12
	ds_read_b64 v[10:11], v11
	ds_read_b64 v[14:15], v13
	;; [unrolled: 1-line block ×4, first 2 shown]
	v_cndmask_b32_e64 v21, v19, v21, s7
	v_cndmask_b32_e64 v20, v18, v20, s7
	v_sub_nc_u32_e32 v24, v56, v55
	v_sub_nc_u32_e32 v19, v55, v22
	v_cndmask_b32_e64 v33, v35, v39, s8
	v_cndmask_b32_e64 v32, v34, v38, s8
	;; [unrolled: 1-line block ×3, first 2 shown]
	v_sub_nc_u32_e32 v18, v23, v24
	v_cmp_ge_i32_e64 s7, v23, v24
	v_min_i32_e32 v19, v23, v19
	s_mov_b32 s9, 0
	s_mov_b32 s8, exec_lo
	v_cndmask_b32_e64 v24, 0, v18, s7
	v_lshl_add_u32 v18, v22, 3, v53
	; wave barrier
	ds_write2_b64 v54, v[20:21], v[28:29] offset1:1
	ds_write2_b64 v54, v[26:27], v[30:31] offset0:2 offset1:3
	ds_write2_b64 v54, v[36:37], v[42:43] offset0:4 offset1:5
	;; [unrolled: 1-line block ×3, first 2 shown]
	; wave barrier
	v_cmpx_lt_i32_e64 v24, v19
	s_cbranch_execz .LBB179_174
; %bb.171:
	v_lshlrev_b32_e32 v20, 3, v55
	v_lshlrev_b32_e32 v21, 3, v23
	v_add3_u32 v20, v53, v20, v21
	.p2align	6
.LBB179_172:                            ; =>This Inner Loop Header: Depth=1
	v_sub_nc_u32_e32 v21, v19, v24
	v_lshrrev_b32_e32 v21, 1, v21
	v_add_nc_u32_e32 v21, v21, v24
	v_not_b32_e32 v25, v21
	v_lshl_add_u32 v26, v21, 3, v18
	v_lshl_add_u32 v27, v25, 3, v20
	ds_read_b64 v[25:26], v26
	ds_read_b64 v[27:28], v27
	s_waitcnt lgkmcnt(0)
	v_cmp_lt_i64_e64 s7, v[27:28], v[25:26]
	v_add_nc_u32_e32 v25, 1, v21
	v_cndmask_b32_e64 v19, v19, v21, s7
	v_cndmask_b32_e64 v24, v25, v24, s7
	v_cmp_ge_i32_e64 s7, v24, v19
	s_or_b32 s9, s7, s9
	s_andn2_b32 exec_lo, exec_lo, s9
	s_cbranch_execnz .LBB179_172
; %bb.173:
	s_or_b32 exec_lo, exec_lo, s9
.LBB179_174:
	s_or_b32 exec_lo, exec_lo, s8
	v_add_nc_u32_e32 v19, v55, v23
	v_lshl_add_u32 v25, v24, 3, v18
	v_add_nc_u32_e32 v58, v24, v22
                                        ; implicit-def: $vgpr22_vgpr23
	v_sub_nc_u32_e32 v57, v19, v24
	v_cmp_le_i32_e64 s8, v55, v58
	v_lshl_add_u32 v26, v57, 3, v53
	v_cmp_gt_i32_e64 s9, v56, v57
	ds_read_b64 v[18:19], v25
	ds_read_b64 v[20:21], v26
	s_waitcnt lgkmcnt(0)
	v_cmp_lt_i64_e64 s7, v[20:21], v[18:19]
	s_or_b32 s7, s8, s7
	s_and_b32 s7, s9, s7
	s_xor_b32 s8, s7, -1
	s_and_saveexec_b32 s9, s8
	s_xor_b32 s8, exec_lo, s9
; %bb.175:
	ds_read_b64 v[22:23], v25 offset:8
                                        ; implicit-def: $vgpr26
; %bb.176:
	s_or_saveexec_b32 s8, s8
	v_mov_b32_e32 v25, v21
	v_mov_b32_e32 v24, v20
	s_xor_b32 exec_lo, exec_lo, s8
	s_cbranch_execz .LBB179_178
; %bb.177:
	ds_read_b64 v[24:25], v26 offset:8
	s_waitcnt lgkmcnt(1)
	v_mov_b32_e32 v23, v19
	v_mov_b32_e32 v22, v18
.LBB179_178:
	s_or_b32 exec_lo, exec_lo, s8
	v_add_nc_u32_e32 v26, 1, v58
	v_add_nc_u32_e32 v27, 1, v57
	s_waitcnt lgkmcnt(0)
	v_cmp_lt_i64_e64 s8, v[24:25], v[22:23]
	v_cndmask_b32_e64 v59, v26, v58, s7
	v_cndmask_b32_e64 v60, v57, v27, s7
                                        ; implicit-def: $vgpr26_vgpr27
	v_cmp_ge_i32_e64 s9, v59, v55
	v_cmp_lt_i32_e64 s10, v60, v56
	s_or_b32 s8, s9, s8
	s_and_b32 s8, s10, s8
	s_xor_b32 s9, s8, -1
	s_and_saveexec_b32 s10, s9
	s_xor_b32 s9, exec_lo, s10
; %bb.179:
	v_lshl_add_u32 v26, v59, 3, v53
	ds_read_b64 v[26:27], v26 offset:8
; %bb.180:
	s_or_saveexec_b32 s9, s9
	v_mov_b32_e32 v29, v25
	v_mov_b32_e32 v28, v24
	s_xor_b32 exec_lo, exec_lo, s9
	s_cbranch_execz .LBB179_182
; %bb.181:
	s_waitcnt lgkmcnt(0)
	v_lshl_add_u32 v26, v60, 3, v53
	ds_read_b64 v[28:29], v26 offset:8
	v_mov_b32_e32 v27, v23
	v_mov_b32_e32 v26, v22
.LBB179_182:
	s_or_b32 exec_lo, exec_lo, s9
	v_add_nc_u32_e32 v30, 1, v59
	v_add_nc_u32_e32 v31, 1, v60
	s_waitcnt lgkmcnt(0)
	v_cmp_lt_i64_e64 s9, v[28:29], v[26:27]
	v_cndmask_b32_e64 v61, v30, v59, s8
	v_cndmask_b32_e64 v62, v60, v31, s8
                                        ; implicit-def: $vgpr30_vgpr31
	v_cmp_ge_i32_e64 s10, v61, v55
	v_cmp_lt_i32_e64 s11, v62, v56
	s_or_b32 s9, s10, s9
	s_and_b32 s9, s11, s9
	s_xor_b32 s10, s9, -1
	s_and_saveexec_b32 s11, s10
	s_xor_b32 s10, exec_lo, s11
; %bb.183:
	v_lshl_add_u32 v30, v61, 3, v53
	ds_read_b64 v[30:31], v30 offset:8
; %bb.184:
	s_or_saveexec_b32 s10, s10
	v_mov_b32_e32 v33, v29
	v_mov_b32_e32 v32, v28
	s_xor_b32 exec_lo, exec_lo, s10
	s_cbranch_execz .LBB179_186
; %bb.185:
	s_waitcnt lgkmcnt(0)
	v_lshl_add_u32 v30, v62, 3, v53
	ds_read_b64 v[32:33], v30 offset:8
	v_mov_b32_e32 v31, v27
	v_mov_b32_e32 v30, v26
.LBB179_186:
	s_or_b32 exec_lo, exec_lo, s10
	v_add_nc_u32_e32 v34, 1, v61
	v_add_nc_u32_e32 v35, 1, v62
	s_waitcnt lgkmcnt(0)
	v_cmp_lt_i64_e64 s10, v[32:33], v[30:31]
                                        ; implicit-def: $vgpr36_vgpr37
	v_cndmask_b32_e64 v63, v34, v61, s9
	v_cndmask_b32_e64 v64, v62, v35, s9
	v_cmp_ge_i32_e64 s11, v63, v55
	v_cmp_lt_i32_e64 s12, v64, v56
	s_or_b32 s10, s11, s10
	s_and_b32 s10, s12, s10
	s_xor_b32 s11, s10, -1
	s_and_saveexec_b32 s12, s11
	s_xor_b32 s11, exec_lo, s12
; %bb.187:
	v_lshl_add_u32 v34, v63, 3, v53
	ds_read_b64 v[36:37], v34 offset:8
; %bb.188:
	s_or_saveexec_b32 s11, s11
	v_mov_b32_e32 v41, v33
	v_mov_b32_e32 v40, v32
	s_xor_b32 exec_lo, exec_lo, s11
	s_cbranch_execz .LBB179_190
; %bb.189:
	v_lshl_add_u32 v34, v64, 3, v53
	s_waitcnt lgkmcnt(0)
	v_mov_b32_e32 v37, v31
	v_mov_b32_e32 v36, v30
	ds_read_b64 v[40:41], v34 offset:8
.LBB179_190:
	s_or_b32 exec_lo, exec_lo, s11
	v_add_nc_u32_e32 v34, 1, v63
	v_add_nc_u32_e32 v35, 1, v64
	s_waitcnt lgkmcnt(0)
	v_cmp_lt_i64_e64 s11, v[40:41], v[36:37]
                                        ; implicit-def: $vgpr42_vgpr43
	v_cndmask_b32_e64 v65, v34, v63, s10
	v_cndmask_b32_e64 v66, v64, v35, s10
	v_cmp_ge_i32_e64 s12, v65, v55
	v_cmp_lt_i32_e64 s13, v66, v56
	s_or_b32 s11, s12, s11
	s_and_b32 s11, s13, s11
	s_xor_b32 s12, s11, -1
	s_and_saveexec_b32 s13, s12
	s_xor_b32 s12, exec_lo, s13
; %bb.191:
	v_lshl_add_u32 v34, v65, 3, v53
	ds_read_b64 v[42:43], v34 offset:8
; %bb.192:
	s_or_saveexec_b32 s12, s12
	v_mov_b32_e32 v45, v41
	v_mov_b32_e32 v44, v40
	s_xor_b32 exec_lo, exec_lo, s12
	s_cbranch_execz .LBB179_194
; %bb.193:
	v_lshl_add_u32 v34, v66, 3, v53
	s_waitcnt lgkmcnt(0)
	v_mov_b32_e32 v43, v37
	v_mov_b32_e32 v42, v36
	ds_read_b64 v[44:45], v34 offset:8
.LBB179_194:
	s_or_b32 exec_lo, exec_lo, s12
	v_add_nc_u32_e32 v34, 1, v65
	v_add_nc_u32_e32 v35, 1, v66
	s_waitcnt lgkmcnt(0)
	v_cmp_lt_i64_e64 s12, v[44:45], v[42:43]
                                        ; implicit-def: $vgpr46_vgpr47
	v_cndmask_b32_e64 v67, v34, v65, s11
	v_cndmask_b32_e64 v68, v66, v35, s11
	v_cmp_ge_i32_e64 s13, v67, v55
	v_cmp_lt_i32_e64 s14, v68, v56
	s_or_b32 s12, s13, s12
	s_and_b32 s12, s14, s12
	s_xor_b32 s13, s12, -1
	s_and_saveexec_b32 s14, s13
	s_xor_b32 s13, exec_lo, s14
; %bb.195:
	v_lshl_add_u32 v34, v67, 3, v53
	ds_read_b64 v[46:47], v34 offset:8
; %bb.196:
	s_or_saveexec_b32 s13, s13
	v_mov_b32_e32 v49, v45
	v_mov_b32_e32 v48, v44
	s_xor_b32 exec_lo, exec_lo, s13
	s_cbranch_execz .LBB179_198
; %bb.197:
	v_lshl_add_u32 v34, v68, 3, v53
	s_waitcnt lgkmcnt(0)
	v_mov_b32_e32 v47, v43
	v_mov_b32_e32 v46, v42
	ds_read_b64 v[48:49], v34 offset:8
.LBB179_198:
	s_or_b32 exec_lo, exec_lo, s13
	v_add_nc_u32_e32 v34, 1, v67
	v_add_nc_u32_e32 v35, 1, v68
	s_waitcnt lgkmcnt(0)
	v_cmp_lt_i64_e64 s13, v[48:49], v[46:47]
	v_cndmask_b32_e64 v69, v34, v67, s12
	v_cndmask_b32_e64 v70, v68, v35, s12
                                        ; implicit-def: $vgpr34_vgpr35
	v_cmp_ge_i32_e64 s14, v69, v55
	v_cmp_lt_i32_e64 s15, v70, v56
	s_or_b32 s13, s14, s13
	s_and_b32 s13, s15, s13
	s_xor_b32 s14, s13, -1
	s_and_saveexec_b32 s15, s14
	s_xor_b32 s14, exec_lo, s15
; %bb.199:
	v_lshl_add_u32 v34, v69, 3, v53
	ds_read_b64 v[34:35], v34 offset:8
; %bb.200:
	s_or_saveexec_b32 s14, s14
	v_mov_b32_e32 v38, v48
	v_mov_b32_e32 v39, v49
	s_xor_b32 exec_lo, exec_lo, s14
	s_cbranch_execz .LBB179_202
; %bb.201:
	s_waitcnt lgkmcnt(0)
	v_lshl_add_u32 v34, v70, 3, v53
	ds_read_b64 v[38:39], v34 offset:8
	v_mov_b32_e32 v34, v46
	v_mov_b32_e32 v35, v47
.LBB179_202:
	s_or_b32 exec_lo, exec_lo, s14
	v_add_nc_u32_e32 v72, 1, v69
	v_add_nc_u32_e32 v71, 1, v70
	v_cndmask_b32_e64 v24, v22, v24, s8
	v_min_i32_e32 v22, 0, v50
	v_cndmask_b32_e64 v47, v47, v49, s13
	v_cndmask_b32_e64 v49, v72, v69, s13
	;; [unrolled: 1-line block ×4, first 2 shown]
	; wave barrier
	ds_write2_b64 v54, v[2:3], v[6:7] offset1:1
	ds_write2_b64 v54, v[4:5], v[8:9] offset0:2 offset1:3
	v_add_nc_u32_e32 v2, 0x80, v22
	v_cndmask_b32_e64 v27, v27, v29, s9
	v_cndmask_b32_e64 v26, v26, v28, s9
	;; [unrolled: 1-line block ×3, first 2 shown]
	s_waitcnt lgkmcnt(2)
	v_cmp_lt_i64_e64 s9, v[38:39], v[34:35]
	v_cndmask_b32_e64 v31, v31, v33, s10
	v_cndmask_b32_e64 v30, v30, v32, s10
	;; [unrolled: 1-line block ×3, first 2 shown]
	v_cmp_ge_i32_e64 s10, v49, v55
	v_cndmask_b32_e64 v37, v37, v41, s11
	v_cndmask_b32_e64 v36, v36, v40, s11
	;; [unrolled: 1-line block ×3, first 2 shown]
	v_cmp_lt_i32_e64 s11, v48, v56
	v_min_i32_e32 v55, v50, v2
	v_cndmask_b32_e64 v25, v23, v25, s8
	v_cndmask_b32_e64 v23, v59, v60, s8
	s_or_b32 s8, s10, s9
	v_cndmask_b32_e64 v33, v58, v57, s7
	v_cndmask_b32_e64 v42, v42, v44, s12
	;; [unrolled: 1-line block ×3, first 2 shown]
	s_and_b32 s8, s11, s8
	v_add_nc_u32_e32 v6, 0x80, v55
	v_cndmask_b32_e64 v69, v69, v70, s13
	v_cndmask_b32_e64 v29, v35, v39, s8
	;; [unrolled: 1-line block ×3, first 2 shown]
	v_lshl_add_u32 v2, v33, 3, v53
	v_lshl_add_u32 v7, v40, 3, v53
	;; [unrolled: 1-line block ×3, first 2 shown]
	v_min_i32_e32 v56, v50, v6
	v_lshl_add_u32 v6, v44, 3, v53
	ds_write2_b64 v54, v[10:11], v[14:15] offset0:4 offset1:5
	ds_write2_b64 v54, v[12:13], v[16:17] offset0:6 offset1:7
	v_lshl_add_u32 v4, v28, 3, v53
	v_lshl_add_u32 v10, v69, 3, v53
	;; [unrolled: 1-line block ×4, first 2 shown]
	; wave barrier
	ds_read_b64 v[8:9], v2
	ds_read_b64 v[12:13], v3
	;; [unrolled: 1-line block ×8, first 2 shown]
	v_min_i32_e32 v23, v50, v51
	v_sub_nc_u32_e32 v35, v56, v55
	v_cndmask_b32_e64 v33, v19, v21, s7
	v_cndmask_b32_e64 v32, v18, v20, s7
	v_sub_nc_u32_e32 v19, v55, v22
	v_cndmask_b32_e64 v28, v34, v38, s8
	v_sub_nc_u32_e32 v18, v23, v35
	v_cmp_ge_i32_e64 s7, v23, v35
	v_cndmask_b32_e64 v43, v43, v45, s12
	v_min_i32_e32 v20, v23, v19
	v_lshl_add_u32 v19, v22, 3, v53
	s_mov_b32 s9, 0
	v_cndmask_b32_e64 v18, 0, v18, s7
	s_mov_b32 s8, exec_lo
	; wave barrier
	ds_write2_b64 v54, v[32:33], v[24:25] offset1:1
	ds_write2_b64 v54, v[26:27], v[30:31] offset0:2 offset1:3
	ds_write2_b64 v54, v[36:37], v[42:43] offset0:4 offset1:5
	;; [unrolled: 1-line block ×3, first 2 shown]
	; wave barrier
	v_cmpx_lt_i32_e64 v18, v20
	s_cbranch_execz .LBB179_206
; %bb.203:
	v_lshlrev_b32_e32 v21, 3, v55
	v_lshlrev_b32_e32 v24, 3, v23
	v_add3_u32 v21, v53, v21, v24
	.p2align	6
.LBB179_204:                            ; =>This Inner Loop Header: Depth=1
	v_sub_nc_u32_e32 v24, v20, v18
	v_lshrrev_b32_e32 v24, 1, v24
	v_add_nc_u32_e32 v28, v24, v18
	v_not_b32_e32 v24, v28
	v_lshl_add_u32 v25, v28, 3, v19
	v_lshl_add_u32 v26, v24, 3, v21
	ds_read_b64 v[24:25], v25
	ds_read_b64 v[26:27], v26
	s_waitcnt lgkmcnt(0)
	v_cmp_lt_i64_e64 s7, v[26:27], v[24:25]
	v_add_nc_u32_e32 v24, 1, v28
	v_cndmask_b32_e64 v20, v20, v28, s7
	v_cndmask_b32_e64 v18, v24, v18, s7
	v_cmp_ge_i32_e64 s7, v18, v20
	s_or_b32 s9, s7, s9
	s_andn2_b32 exec_lo, exec_lo, s9
	s_cbranch_execnz .LBB179_204
; %bb.205:
	s_or_b32 exec_lo, exec_lo, s9
.LBB179_206:
	s_or_b32 exec_lo, exec_lo, s8
	v_add_nc_u32_e32 v20, v55, v23
	v_add_nc_u32_e32 v51, v18, v22
	v_sub_nc_u32_e32 v50, v20, v18
	v_lshl_add_u32 v20, v18, 3, v19
	v_cmp_le_i32_e64 s8, v55, v51
                                        ; implicit-def: $vgpr18_vgpr19
	v_lshl_add_u32 v23, v50, 3, v53
	v_cmp_gt_i32_e64 s9, v56, v50
	ds_read_b64 v[24:25], v20
	ds_read_b64 v[26:27], v23
	s_waitcnt lgkmcnt(0)
	v_cmp_lt_i64_e64 s7, v[26:27], v[24:25]
	s_or_b32 s7, s8, s7
	s_and_b32 s7, s9, s7
	s_xor_b32 s8, s7, -1
	s_and_saveexec_b32 s9, s8
	s_xor_b32 s8, exec_lo, s9
; %bb.207:
	ds_read_b64 v[18:19], v20 offset:8
                                        ; implicit-def: $vgpr23
; %bb.208:
	s_or_saveexec_b32 s8, s8
	v_mov_b32_e32 v20, v26
	v_mov_b32_e32 v21, v27
	s_xor_b32 exec_lo, exec_lo, s8
	s_cbranch_execz .LBB179_210
; %bb.209:
	ds_read_b64 v[20:21], v23 offset:8
	s_waitcnt lgkmcnt(1)
	v_mov_b32_e32 v18, v24
	v_mov_b32_e32 v19, v25
.LBB179_210:
	s_or_b32 exec_lo, exec_lo, s8
	v_add_nc_u32_e32 v22, 1, v51
	v_add_nc_u32_e32 v23, 1, v50
	s_waitcnt lgkmcnt(0)
	v_cmp_lt_i64_e64 s8, v[20:21], v[18:19]
	v_cndmask_b32_e64 v57, v22, v51, s7
	v_cndmask_b32_e64 v58, v50, v23, s7
                                        ; implicit-def: $vgpr22_vgpr23
	v_cmp_ge_i32_e64 s9, v57, v55
	v_cmp_lt_i32_e64 s10, v58, v56
	s_or_b32 s8, s9, s8
	s_and_b32 s8, s10, s8
	s_xor_b32 s9, s8, -1
	s_and_saveexec_b32 s10, s9
	s_xor_b32 s9, exec_lo, s10
; %bb.211:
	v_lshl_add_u32 v22, v57, 3, v53
	ds_read_b64 v[22:23], v22 offset:8
; %bb.212:
	s_or_saveexec_b32 s9, s9
	v_mov_b32_e32 v29, v21
	v_mov_b32_e32 v28, v20
	s_xor_b32 exec_lo, exec_lo, s9
	s_cbranch_execz .LBB179_214
; %bb.213:
	s_waitcnt lgkmcnt(0)
	v_lshl_add_u32 v22, v58, 3, v53
	ds_read_b64 v[28:29], v22 offset:8
	v_mov_b32_e32 v23, v19
	v_mov_b32_e32 v22, v18
.LBB179_214:
	s_or_b32 exec_lo, exec_lo, s9
	v_add_nc_u32_e32 v30, 1, v57
	v_add_nc_u32_e32 v31, 1, v58
	s_waitcnt lgkmcnt(0)
	v_cmp_lt_i64_e64 s9, v[28:29], v[22:23]
	v_cndmask_b32_e64 v59, v30, v57, s8
	v_cndmask_b32_e64 v60, v58, v31, s8
                                        ; implicit-def: $vgpr30_vgpr31
	v_cmp_ge_i32_e64 s10, v59, v55
	v_cmp_lt_i32_e64 s11, v60, v56
	s_or_b32 s9, s10, s9
	s_and_b32 s9, s11, s9
	s_xor_b32 s10, s9, -1
	s_and_saveexec_b32 s11, s10
	s_xor_b32 s10, exec_lo, s11
; %bb.215:
	v_lshl_add_u32 v30, v59, 3, v53
	ds_read_b64 v[30:31], v30 offset:8
; %bb.216:
	s_or_saveexec_b32 s10, s10
	v_mov_b32_e32 v33, v29
	v_mov_b32_e32 v32, v28
	s_xor_b32 exec_lo, exec_lo, s10
	s_cbranch_execz .LBB179_218
; %bb.217:
	s_waitcnt lgkmcnt(0)
	v_lshl_add_u32 v30, v60, 3, v53
	ds_read_b64 v[32:33], v30 offset:8
	v_mov_b32_e32 v31, v23
	v_mov_b32_e32 v30, v22
.LBB179_218:
	s_or_b32 exec_lo, exec_lo, s10
	v_add_nc_u32_e32 v34, 1, v59
	v_add_nc_u32_e32 v35, 1, v60
	s_waitcnt lgkmcnt(0)
	v_cmp_lt_i64_e64 s10, v[32:33], v[30:31]
	v_cndmask_b32_e64 v61, v34, v59, s9
	v_cndmask_b32_e64 v62, v60, v35, s9
                                        ; implicit-def: $vgpr34_vgpr35
	v_cmp_ge_i32_e64 s11, v61, v55
	v_cmp_lt_i32_e64 s12, v62, v56
	s_or_b32 s10, s11, s10
	s_and_b32 s10, s12, s10
	s_xor_b32 s11, s10, -1
	s_and_saveexec_b32 s12, s11
	s_xor_b32 s11, exec_lo, s12
; %bb.219:
	v_lshl_add_u32 v34, v61, 3, v53
	ds_read_b64 v[34:35], v34 offset:8
; %bb.220:
	s_or_saveexec_b32 s11, s11
	v_mov_b32_e32 v37, v33
	v_mov_b32_e32 v36, v32
	s_xor_b32 exec_lo, exec_lo, s11
	s_cbranch_execz .LBB179_222
; %bb.221:
	s_waitcnt lgkmcnt(0)
	v_lshl_add_u32 v34, v62, 3, v53
	ds_read_b64 v[36:37], v34 offset:8
	v_mov_b32_e32 v35, v31
	v_mov_b32_e32 v34, v30
.LBB179_222:
	s_or_b32 exec_lo, exec_lo, s11
	v_add_nc_u32_e32 v38, 1, v61
	v_add_nc_u32_e32 v39, 1, v62
	s_waitcnt lgkmcnt(0)
	v_cmp_lt_i64_e64 s11, v[36:37], v[34:35]
	v_cndmask_b32_e64 v63, v38, v61, s10
	v_cndmask_b32_e64 v64, v62, v39, s10
                                        ; implicit-def: $vgpr38_vgpr39
	v_cmp_ge_i32_e64 s12, v63, v55
	v_cmp_lt_i32_e64 s13, v64, v56
	s_or_b32 s11, s12, s11
	s_and_b32 s11, s13, s11
	s_xor_b32 s12, s11, -1
	s_and_saveexec_b32 s13, s12
	s_xor_b32 s12, exec_lo, s13
; %bb.223:
	v_lshl_add_u32 v38, v63, 3, v53
	ds_read_b64 v[38:39], v38 offset:8
; %bb.224:
	s_or_saveexec_b32 s12, s12
	v_mov_b32_e32 v41, v37
	v_mov_b32_e32 v40, v36
	s_xor_b32 exec_lo, exec_lo, s12
	s_cbranch_execz .LBB179_226
; %bb.225:
	s_waitcnt lgkmcnt(0)
	v_lshl_add_u32 v38, v64, 3, v53
	ds_read_b64 v[40:41], v38 offset:8
	v_mov_b32_e32 v39, v35
	v_mov_b32_e32 v38, v34
.LBB179_226:
	s_or_b32 exec_lo, exec_lo, s12
	v_add_nc_u32_e32 v42, 1, v63
	v_add_nc_u32_e32 v43, 1, v64
	s_waitcnt lgkmcnt(0)
	v_cmp_lt_i64_e64 s12, v[40:41], v[38:39]
	v_cndmask_b32_e64 v65, v42, v63, s11
	v_cndmask_b32_e64 v66, v64, v43, s11
                                        ; implicit-def: $vgpr42_vgpr43
	v_cmp_ge_i32_e64 s13, v65, v55
	v_cmp_lt_i32_e64 s14, v66, v56
	s_or_b32 s12, s13, s12
	s_and_b32 s12, s14, s12
	s_xor_b32 s13, s12, -1
	s_and_saveexec_b32 s14, s13
	s_xor_b32 s13, exec_lo, s14
; %bb.227:
	v_lshl_add_u32 v42, v65, 3, v53
	ds_read_b64 v[42:43], v42 offset:8
; %bb.228:
	s_or_saveexec_b32 s13, s13
	v_mov_b32_e32 v45, v41
	v_mov_b32_e32 v44, v40
	s_xor_b32 exec_lo, exec_lo, s13
	s_cbranch_execz .LBB179_230
; %bb.229:
	s_waitcnt lgkmcnt(0)
	v_lshl_add_u32 v42, v66, 3, v53
	ds_read_b64 v[44:45], v42 offset:8
	v_mov_b32_e32 v43, v39
	v_mov_b32_e32 v42, v38
.LBB179_230:
	s_or_b32 exec_lo, exec_lo, s13
	v_add_nc_u32_e32 v46, 1, v65
	v_add_nc_u32_e32 v47, 1, v66
	s_waitcnt lgkmcnt(0)
	v_cmp_lt_i64_e64 s13, v[44:45], v[42:43]
                                        ; implicit-def: $vgpr69
	v_cndmask_b32_e64 v70, v46, v65, s12
	v_cndmask_b32_e64 v68, v66, v47, s12
                                        ; implicit-def: $vgpr46_vgpr47
	v_cmp_ge_i32_e64 s14, v70, v55
	v_cmp_lt_i32_e64 s15, v68, v56
	s_or_b32 s13, s14, s13
	s_and_b32 s13, s15, s13
	s_xor_b32 s14, s13, -1
	s_and_saveexec_b32 s15, s14
	s_xor_b32 s14, exec_lo, s15
; %bb.231:
	v_lshl_add_u32 v46, v70, 3, v53
	v_add_nc_u32_e32 v69, 1, v70
	ds_read_b64 v[46:47], v46 offset:8
; %bb.232:
	s_or_saveexec_b32 s14, s14
	v_mov_b32_e32 v49, v45
	v_mov_b32_e32 v67, v70
	v_mov_b32_e32 v48, v44
	s_xor_b32 exec_lo, exec_lo, s14
	s_cbranch_execz .LBB179_234
; %bb.233:
	s_waitcnt lgkmcnt(0)
	v_lshl_add_u32 v46, v68, 3, v53
	v_mov_b32_e32 v67, v68
	v_mov_b32_e32 v69, v70
	ds_read_b64 v[48:49], v46 offset:8
	v_add_nc_u32_e32 v46, 1, v68
	v_mov_b32_e32 v68, v46
	v_mov_b32_e32 v47, v43
	v_mov_b32_e32 v46, v42
.LBB179_234:
	s_or_b32 exec_lo, exec_lo, s14
	s_waitcnt lgkmcnt(0)
	v_cmp_lt_i64_e64 s14, v[48:49], v[46:47]
	v_cmp_ge_i32_e64 s15, v69, v55
	v_cmp_lt_i32_e64 s16, v68, v56
	v_cndmask_b32_e64 v57, v57, v58, s8
	v_cndmask_b32_e64 v59, v59, v60, s9
	v_cndmask_b32_e64 v56, v61, v62, s10
	s_or_b32 s14, s15, s14
	v_cndmask_b32_e64 v55, v63, v64, s11
	s_and_b32 s14, s16, s14
	v_cndmask_b32_e64 v65, v65, v66, s12
	v_cndmask_b32_e64 v58, v69, v68, s14
	; wave barrier
	ds_write2_b64 v54, v[8:9], v[12:13] offset1:1
	ds_write2_b64 v54, v[2:3], v[4:5] offset0:2 offset1:3
	ds_write2_b64 v54, v[14:15], v[16:17] offset0:4 offset1:5
	;; [unrolled: 1-line block ×3, first 2 shown]
	v_lshl_add_u32 v2, v57, 3, v53
	v_lshl_add_u32 v3, v59, 3, v53
	v_lshl_add_u32 v4, v56, 3, v53
	v_lshl_add_u32 v5, v55, 3, v53
	v_lshl_add_u32 v6, v65, 3, v53
	; wave barrier
	v_lshl_add_u32 v16, v67, 3, v53
	v_lshl_add_u32 v17, v58, 3, v53
	ds_read_b64 v[14:15], v2
	ds_read_b64 v[12:13], v3
	;; [unrolled: 1-line block ×7, first 2 shown]
	v_cndmask_b32_e64 v17, v25, v27, s7
	v_cndmask_b32_e64 v16, v24, v26, s7
	s_and_saveexec_b32 s15, s6
	s_cbranch_execz .LBB179_236
; %bb.235:
	v_cndmask_b32_e64 v24, v51, v50, s7
	v_lshl_add_u32 v24, v24, 3, v53
	ds_read_b64 v[24:25], v24
	s_waitcnt lgkmcnt(0)
	v_add_co_u32 v16, s7, v24, v16
	v_add_co_ci_u32_e64 v17, null, v25, v17, s7
.LBB179_236:
	s_or_b32 exec_lo, exec_lo, s15
	v_add_co_u32 v0, s7, s18, v0
	v_add_co_ci_u32_e64 v1, null, s19, v1, s7
	v_add_co_u32 v0, s7, v0, v52
	v_add_co_ci_u32_e64 v1, null, 0, v1, s7
	s_and_saveexec_b32 s7, s6
	s_xor_b32 s6, exec_lo, s7
	s_cbranch_execnz .LBB179_245
; %bb.237:
	s_or_b32 exec_lo, exec_lo, s6
	s_and_saveexec_b32 s6, s5
	s_cbranch_execnz .LBB179_246
.LBB179_238:
	s_or_b32 exec_lo, exec_lo, s6
	s_and_saveexec_b32 s5, s4
	s_cbranch_execnz .LBB179_247
.LBB179_239:
	s_or_b32 exec_lo, exec_lo, s5
	s_and_saveexec_b32 s4, s3
	s_cbranch_execnz .LBB179_248
.LBB179_240:
	s_or_b32 exec_lo, exec_lo, s4
	s_and_saveexec_b32 s3, s2
	s_cbranch_execnz .LBB179_249
.LBB179_241:
	s_or_b32 exec_lo, exec_lo, s3
	s_and_saveexec_b32 s2, s1
	s_cbranch_execnz .LBB179_250
.LBB179_242:
	s_or_b32 exec_lo, exec_lo, s2
	s_and_saveexec_b32 s1, s0
	s_cbranch_execnz .LBB179_251
.LBB179_243:
	s_or_b32 exec_lo, exec_lo, s1
	s_and_saveexec_b32 s0, vcc_lo
	s_cbranch_execnz .LBB179_252
.LBB179_244:
	s_endpgm
.LBB179_245:
	global_store_dwordx2 v[0:1], v[16:17], off
	s_or_b32 exec_lo, exec_lo, s6
	s_and_saveexec_b32 s6, s5
	s_cbranch_execz .LBB179_238
.LBB179_246:
	v_cndmask_b32_e64 v16, v18, v20, s8
	s_waitcnt lgkmcnt(6)
	v_cndmask_b32_e64 v14, 0, v14, s5
	v_cndmask_b32_e64 v17, v19, v21, s8
	;; [unrolled: 1-line block ×3, first 2 shown]
	v_add_co_u32 v14, s5, v14, v16
	v_add_co_ci_u32_e64 v15, null, v15, v17, s5
	global_store_dwordx2 v[0:1], v[14:15], off offset:8
	s_or_b32 exec_lo, exec_lo, s6
	s_and_saveexec_b32 s5, s4
	s_cbranch_execz .LBB179_239
.LBB179_247:
	s_waitcnt lgkmcnt(6)
	v_cndmask_b32_e64 v14, v22, v28, s9
	s_waitcnt lgkmcnt(5)
	v_cndmask_b32_e64 v12, 0, v12, s4
	v_cndmask_b32_e64 v15, v23, v29, s9
	;; [unrolled: 1-line block ×3, first 2 shown]
	v_add_co_u32 v12, s4, v12, v14
	v_add_co_ci_u32_e64 v13, null, v13, v15, s4
	global_store_dwordx2 v[0:1], v[12:13], off offset:16
	s_or_b32 exec_lo, exec_lo, s5
	s_and_saveexec_b32 s4, s3
	s_cbranch_execz .LBB179_240
.LBB179_248:
	s_waitcnt lgkmcnt(5)
	v_cndmask_b32_e64 v12, v30, v32, s10
	s_waitcnt lgkmcnt(4)
	v_cndmask_b32_e64 v10, 0, v10, s3
	v_cndmask_b32_e64 v13, v31, v33, s10
	;; [unrolled: 1-line block ×3, first 2 shown]
	v_add_co_u32 v10, s3, v10, v12
	v_add_co_ci_u32_e64 v11, null, v11, v13, s3
	global_store_dwordx2 v[0:1], v[10:11], off offset:24
	s_or_b32 exec_lo, exec_lo, s4
	s_and_saveexec_b32 s3, s2
	s_cbranch_execz .LBB179_241
.LBB179_249:
	s_waitcnt lgkmcnt(4)
	v_cndmask_b32_e64 v10, v34, v36, s11
	s_waitcnt lgkmcnt(3)
	v_cndmask_b32_e64 v8, 0, v8, s2
	v_cndmask_b32_e64 v11, v35, v37, s11
	;; [unrolled: 1-line block ×3, first 2 shown]
	v_add_co_u32 v8, s2, v8, v10
	v_add_co_ci_u32_e64 v9, null, v9, v11, s2
	global_store_dwordx2 v[0:1], v[8:9], off offset:32
	s_or_b32 exec_lo, exec_lo, s3
	s_and_saveexec_b32 s2, s1
	s_cbranch_execz .LBB179_242
.LBB179_250:
	s_waitcnt lgkmcnt(3)
	v_cndmask_b32_e64 v8, v38, v40, s12
	s_waitcnt lgkmcnt(2)
	v_cndmask_b32_e64 v6, 0, v6, s1
	v_cndmask_b32_e64 v9, v39, v41, s12
	;; [unrolled: 1-line block ×3, first 2 shown]
	v_add_co_u32 v6, s1, v6, v8
	v_add_co_ci_u32_e64 v7, null, v7, v9, s1
	global_store_dwordx2 v[0:1], v[6:7], off offset:40
	s_or_b32 exec_lo, exec_lo, s2
	s_and_saveexec_b32 s1, s0
	s_cbranch_execz .LBB179_243
.LBB179_251:
	s_waitcnt lgkmcnt(2)
	v_cndmask_b32_e64 v6, v42, v44, s13
	s_waitcnt lgkmcnt(1)
	v_cndmask_b32_e64 v4, 0, v4, s0
	v_cndmask_b32_e64 v7, v43, v45, s13
	v_cndmask_b32_e64 v5, 0, v5, s0
	v_add_co_u32 v4, s0, v4, v6
	v_add_co_ci_u32_e64 v5, null, v5, v7, s0
	global_store_dwordx2 v[0:1], v[4:5], off offset:48
	s_or_b32 exec_lo, exec_lo, s1
	s_and_saveexec_b32 s0, vcc_lo
	s_cbranch_execz .LBB179_244
.LBB179_252:
	s_waitcnt lgkmcnt(1)
	v_cndmask_b32_e64 v4, v46, v48, s14
	s_waitcnt lgkmcnt(0)
	v_cndmask_b32_e32 v2, 0, v2, vcc_lo
	v_cndmask_b32_e64 v5, v47, v49, s14
	v_cndmask_b32_e32 v3, 0, v3, vcc_lo
	v_add_co_u32 v2, vcc_lo, v2, v4
	v_add_co_ci_u32_e64 v3, null, v3, v5, vcc_lo
	global_store_dwordx2 v[0:1], v[2:3], off offset:56
	s_endpgm
	.section	.rodata,"a",@progbits
	.p2align	6, 0x0
	.amdhsa_kernel _Z20sort_pairs_segmentedILj256ELj32ELj8ExN10test_utils4lessEEvPKT2_PS2_PKjT3_
		.amdhsa_group_segment_fixed_size 16448
		.amdhsa_private_segment_fixed_size 0
		.amdhsa_kernarg_size 28
		.amdhsa_user_sgpr_count 6
		.amdhsa_user_sgpr_private_segment_buffer 1
		.amdhsa_user_sgpr_dispatch_ptr 0
		.amdhsa_user_sgpr_queue_ptr 0
		.amdhsa_user_sgpr_kernarg_segment_ptr 1
		.amdhsa_user_sgpr_dispatch_id 0
		.amdhsa_user_sgpr_flat_scratch_init 0
		.amdhsa_user_sgpr_private_segment_size 0
		.amdhsa_wavefront_size32 1
		.amdhsa_uses_dynamic_stack 0
		.amdhsa_system_sgpr_private_segment_wavefront_offset 0
		.amdhsa_system_sgpr_workgroup_id_x 1
		.amdhsa_system_sgpr_workgroup_id_y 0
		.amdhsa_system_sgpr_workgroup_id_z 0
		.amdhsa_system_sgpr_workgroup_info 0
		.amdhsa_system_vgpr_workitem_id 0
		.amdhsa_next_free_vgpr 73
		.amdhsa_next_free_sgpr 20
		.amdhsa_reserve_vcc 1
		.amdhsa_reserve_flat_scratch 0
		.amdhsa_float_round_mode_32 0
		.amdhsa_float_round_mode_16_64 0
		.amdhsa_float_denorm_mode_32 3
		.amdhsa_float_denorm_mode_16_64 3
		.amdhsa_dx10_clamp 1
		.amdhsa_ieee_mode 1
		.amdhsa_fp16_overflow 0
		.amdhsa_workgroup_processor_mode 1
		.amdhsa_memory_ordered 1
		.amdhsa_forward_progress 1
		.amdhsa_shared_vgpr_count 0
		.amdhsa_exception_fp_ieee_invalid_op 0
		.amdhsa_exception_fp_denorm_src 0
		.amdhsa_exception_fp_ieee_div_zero 0
		.amdhsa_exception_fp_ieee_overflow 0
		.amdhsa_exception_fp_ieee_underflow 0
		.amdhsa_exception_fp_ieee_inexact 0
		.amdhsa_exception_int_div_zero 0
	.end_amdhsa_kernel
	.section	.text._Z20sort_pairs_segmentedILj256ELj32ELj8ExN10test_utils4lessEEvPKT2_PS2_PKjT3_,"axG",@progbits,_Z20sort_pairs_segmentedILj256ELj32ELj8ExN10test_utils4lessEEvPKT2_PS2_PKjT3_,comdat
.Lfunc_end179:
	.size	_Z20sort_pairs_segmentedILj256ELj32ELj8ExN10test_utils4lessEEvPKT2_PS2_PKjT3_, .Lfunc_end179-_Z20sort_pairs_segmentedILj256ELj32ELj8ExN10test_utils4lessEEvPKT2_PS2_PKjT3_
                                        ; -- End function
	.set _Z20sort_pairs_segmentedILj256ELj32ELj8ExN10test_utils4lessEEvPKT2_PS2_PKjT3_.num_vgpr, 73
	.set _Z20sort_pairs_segmentedILj256ELj32ELj8ExN10test_utils4lessEEvPKT2_PS2_PKjT3_.num_agpr, 0
	.set _Z20sort_pairs_segmentedILj256ELj32ELj8ExN10test_utils4lessEEvPKT2_PS2_PKjT3_.numbered_sgpr, 20
	.set _Z20sort_pairs_segmentedILj256ELj32ELj8ExN10test_utils4lessEEvPKT2_PS2_PKjT3_.num_named_barrier, 0
	.set _Z20sort_pairs_segmentedILj256ELj32ELj8ExN10test_utils4lessEEvPKT2_PS2_PKjT3_.private_seg_size, 0
	.set _Z20sort_pairs_segmentedILj256ELj32ELj8ExN10test_utils4lessEEvPKT2_PS2_PKjT3_.uses_vcc, 1
	.set _Z20sort_pairs_segmentedILj256ELj32ELj8ExN10test_utils4lessEEvPKT2_PS2_PKjT3_.uses_flat_scratch, 0
	.set _Z20sort_pairs_segmentedILj256ELj32ELj8ExN10test_utils4lessEEvPKT2_PS2_PKjT3_.has_dyn_sized_stack, 0
	.set _Z20sort_pairs_segmentedILj256ELj32ELj8ExN10test_utils4lessEEvPKT2_PS2_PKjT3_.has_recursion, 0
	.set _Z20sort_pairs_segmentedILj256ELj32ELj8ExN10test_utils4lessEEvPKT2_PS2_PKjT3_.has_indirect_call, 0
	.section	.AMDGPU.csdata,"",@progbits
; Kernel info:
; codeLenInByte = 11552
; TotalNumSgprs: 22
; NumVgprs: 73
; ScratchSize: 0
; MemoryBound: 0
; FloatMode: 240
; IeeeMode: 1
; LDSByteSize: 16448 bytes/workgroup (compile time only)
; SGPRBlocks: 0
; VGPRBlocks: 9
; NumSGPRsForWavesPerEU: 22
; NumVGPRsForWavesPerEU: 73
; Occupancy: 12
; WaveLimiterHint : 0
; COMPUTE_PGM_RSRC2:SCRATCH_EN: 0
; COMPUTE_PGM_RSRC2:USER_SGPR: 6
; COMPUTE_PGM_RSRC2:TRAP_HANDLER: 0
; COMPUTE_PGM_RSRC2:TGID_X_EN: 1
; COMPUTE_PGM_RSRC2:TGID_Y_EN: 0
; COMPUTE_PGM_RSRC2:TGID_Z_EN: 0
; COMPUTE_PGM_RSRC2:TIDIG_COMP_CNT: 0
	.section	.text._Z9sort_keysILj256ELj64ELj1ExN10test_utils4lessEEvPKT2_PS2_T3_,"axG",@progbits,_Z9sort_keysILj256ELj64ELj1ExN10test_utils4lessEEvPKT2_PS2_T3_,comdat
	.protected	_Z9sort_keysILj256ELj64ELj1ExN10test_utils4lessEEvPKT2_PS2_T3_ ; -- Begin function _Z9sort_keysILj256ELj64ELj1ExN10test_utils4lessEEvPKT2_PS2_T3_
	.globl	_Z9sort_keysILj256ELj64ELj1ExN10test_utils4lessEEvPKT2_PS2_T3_
	.p2align	8
	.type	_Z9sort_keysILj256ELj64ELj1ExN10test_utils4lessEEvPKT2_PS2_T3_,@function
_Z9sort_keysILj256ELj64ELj1ExN10test_utils4lessEEvPKT2_PS2_T3_: ; @_Z9sort_keysILj256ELj64ELj1ExN10test_utils4lessEEvPKT2_PS2_T3_
; %bb.0:
	s_load_dwordx4 s[0:3], s[4:5], 0x0
	s_mov_b32 s7, 0
	s_lshl_b32 s6, s6, 8
	v_lshlrev_b32_e32 v1, 3, v0
	s_lshl_b64 s[4:5], s[6:7], 3
	v_mbcnt_lo_u32_b32 v2, -1, 0
	v_lshrrev_b32_e32 v7, 6, v0
	v_and_b32_e32 v8, 30, v2
	v_and_b32_e32 v5, 1, v2
	v_lshlrev_b32_e32 v3, 3, v2
	v_or_b32_e32 v6, 1, v8
	v_add_nc_u32_e32 v0, -1, v5
	v_lshlrev_b32_e32 v13, 3, v8
	v_cmp_lt_i32_e32 vcc_lo, 0, v5
	v_sub_nc_u32_e32 v4, v6, v8
	s_waitcnt lgkmcnt(0)
	s_add_u32 s0, s0, s4
	s_addc_u32 s1, s1, s5
	v_cndmask_b32_e32 v10, 0, v0, vcc_lo
	global_load_dwordx2 v[11:12], v1, s[0:1]
	v_min_i32_e32 v9, v5, v4
	v_mul_u32_u24_e32 v0, 0x208, v7
	v_mad_u32_u24 v4, 0x208, v7, v3
	v_mad_u32_u24 v7, 0x208, v7, v13
	s_mov_b32 s0, exec_lo
	; wave barrier
	s_waitcnt vmcnt(0)
	ds_write_b64 v4, v[11:12]
	; wave barrier
	v_cmpx_lt_i32_e64 v10, v9
	s_cbranch_execz .LBB180_4
; %bb.1:
	v_lshlrev_b32_e32 v11, 3, v6
	v_lshlrev_b32_e32 v12, 3, v5
	v_add3_u32 v11, v0, v11, v12
	.p2align	6
.LBB180_2:                              ; =>This Inner Loop Header: Depth=1
	v_sub_nc_u32_e32 v12, v9, v10
	v_lshrrev_b32_e32 v12, 1, v12
	v_add_nc_u32_e32 v16, v12, v10
	v_not_b32_e32 v12, v16
	v_lshl_add_u32 v13, v16, 3, v7
	v_lshl_add_u32 v14, v12, 3, v11
	ds_read_b64 v[12:13], v13
	ds_read_b64 v[14:15], v14
	s_waitcnt lgkmcnt(0)
	v_cmp_lt_i64_e32 vcc_lo, v[14:15], v[12:13]
	v_add_nc_u32_e32 v12, 1, v16
	v_cndmask_b32_e32 v9, v9, v16, vcc_lo
	v_cndmask_b32_e32 v10, v12, v10, vcc_lo
	v_cmp_ge_i32_e32 vcc_lo, v10, v9
	s_or_b32 s7, vcc_lo, s7
	s_andn2_b32 exec_lo, exec_lo, s7
	s_cbranch_execnz .LBB180_2
; %bb.3:
	s_or_b32 exec_lo, exec_lo, s7
.LBB180_4:
	s_or_b32 exec_lo, exec_lo, s0
	v_add_nc_u32_e32 v5, v6, v5
	v_and_b32_e32 v9, 28, v2
	s_mov_b32 s6, 0
	v_sub_nc_u32_e32 v11, v5, v10
	v_lshl_add_u32 v5, v10, 3, v7
	v_add_nc_u32_e32 v10, v10, v8
	v_and_b32_e32 v8, 3, v2
	v_lshl_add_u32 v7, v11, 3, v0
	v_cmp_ge_i32_e64 s1, v6, v11
	v_cmp_le_i32_e64 s0, v6, v10
	v_lshl_add_u32 v6, v9, 3, v0
	ds_read_b64 v[12:13], v5
	ds_read_b64 v[14:15], v7
	v_or_b32_e32 v7, 2, v9
	v_add_nc_u32_e32 v5, 4, v9
	; wave barrier
	v_sub_nc_u32_e32 v17, v7, v9
	v_sub_nc_u32_e32 v16, v5, v7
	v_min_i32_e32 v10, v8, v17
	v_sub_nc_u32_e32 v18, v8, v16
	s_waitcnt lgkmcnt(0)
	v_cmp_lt_i64_e32 vcc_lo, v[14:15], v[12:13]
	s_or_b32 s0, s0, vcc_lo
	v_cmp_ge_i32_e32 vcc_lo, v8, v16
	v_cndmask_b32_e32 v11, 0, v18, vcc_lo
	s_and_b32 vcc_lo, s1, s0
	s_mov_b32 s0, exec_lo
	v_cndmask_b32_e32 v13, v13, v15, vcc_lo
	v_cndmask_b32_e32 v12, v12, v14, vcc_lo
	ds_write_b64 v4, v[12:13]
	; wave barrier
	v_cmpx_lt_i32_e64 v11, v10
	s_cbranch_execz .LBB180_8
; %bb.5:
	v_lshlrev_b32_e32 v12, 3, v7
	v_lshlrev_b32_e32 v13, 3, v8
	v_add3_u32 v12, v0, v12, v13
	.p2align	6
.LBB180_6:                              ; =>This Inner Loop Header: Depth=1
	v_sub_nc_u32_e32 v13, v10, v11
	v_lshrrev_b32_e32 v13, 1, v13
	v_add_nc_u32_e32 v17, v13, v11
	v_not_b32_e32 v13, v17
	v_lshl_add_u32 v14, v17, 3, v6
	v_lshl_add_u32 v15, v13, 3, v12
	ds_read_b64 v[13:14], v14
	ds_read_b64 v[15:16], v15
	s_waitcnt lgkmcnt(0)
	v_cmp_lt_i64_e32 vcc_lo, v[15:16], v[13:14]
	v_add_nc_u32_e32 v13, 1, v17
	v_cndmask_b32_e32 v10, v10, v17, vcc_lo
	v_cndmask_b32_e32 v11, v13, v11, vcc_lo
	v_cmp_ge_i32_e32 vcc_lo, v11, v10
	s_or_b32 s6, vcc_lo, s6
	s_andn2_b32 exec_lo, exec_lo, s6
	s_cbranch_execnz .LBB180_6
; %bb.7:
	s_or_b32 exec_lo, exec_lo, s6
.LBB180_8:
	s_or_b32 exec_lo, exec_lo, s0
	v_add_nc_u32_e32 v8, v7, v8
	v_lshl_add_u32 v6, v11, 3, v6
	v_and_b32_e32 v10, 24, v2
	s_mov_b32 s6, 0
	v_sub_nc_u32_e32 v16, v8, v11
	v_add_nc_u32_e32 v11, v11, v9
	v_and_b32_e32 v9, 7, v2
	v_lshl_add_u32 v8, v16, 3, v0
	v_cmp_le_i32_e64 s0, v7, v11
	v_cmp_gt_i32_e64 s1, v5, v16
	v_lshl_add_u32 v5, v10, 3, v0
	ds_read_b64 v[12:13], v6
	ds_read_b64 v[14:15], v8
	v_or_b32_e32 v8, 4, v10
	v_add_nc_u32_e32 v6, 8, v10
	; wave barrier
	v_sub_nc_u32_e32 v18, v8, v10
	v_sub_nc_u32_e32 v17, v6, v8
	v_min_i32_e32 v7, v9, v18
	v_sub_nc_u32_e32 v11, v9, v17
	s_waitcnt lgkmcnt(0)
	v_cmp_lt_i64_e32 vcc_lo, v[14:15], v[12:13]
	s_or_b32 s0, s0, vcc_lo
	v_cmp_ge_i32_e32 vcc_lo, v9, v17
	v_cndmask_b32_e32 v11, 0, v11, vcc_lo
	s_and_b32 vcc_lo, s1, s0
	s_mov_b32 s0, exec_lo
	v_cndmask_b32_e32 v13, v13, v15, vcc_lo
	v_cndmask_b32_e32 v12, v12, v14, vcc_lo
	ds_write_b64 v4, v[12:13]
	; wave barrier
	v_cmpx_lt_i32_e64 v11, v7
	s_cbranch_execz .LBB180_12
; %bb.9:
	v_lshlrev_b32_e32 v12, 3, v8
	v_lshlrev_b32_e32 v13, 3, v9
	v_add3_u32 v12, v0, v12, v13
	.p2align	6
.LBB180_10:                             ; =>This Inner Loop Header: Depth=1
	v_sub_nc_u32_e32 v13, v7, v11
	v_lshrrev_b32_e32 v13, 1, v13
	v_add_nc_u32_e32 v17, v13, v11
	v_not_b32_e32 v13, v17
	v_lshl_add_u32 v14, v17, 3, v5
	v_lshl_add_u32 v15, v13, 3, v12
	ds_read_b64 v[13:14], v14
	ds_read_b64 v[15:16], v15
	s_waitcnt lgkmcnt(0)
	v_cmp_lt_i64_e32 vcc_lo, v[15:16], v[13:14]
	v_add_nc_u32_e32 v13, 1, v17
	v_cndmask_b32_e32 v7, v7, v17, vcc_lo
	v_cndmask_b32_e32 v11, v13, v11, vcc_lo
	v_cmp_ge_i32_e32 vcc_lo, v11, v7
	s_or_b32 s6, vcc_lo, s6
	s_andn2_b32 exec_lo, exec_lo, s6
	s_cbranch_execnz .LBB180_10
; %bb.11:
	s_or_b32 exec_lo, exec_lo, s6
.LBB180_12:
	s_or_b32 exec_lo, exec_lo, s0
	v_add_nc_u32_e32 v7, v8, v9
	v_lshl_add_u32 v5, v11, 3, v5
	v_and_b32_e32 v9, 16, v2
	s_mov_b32 s6, 0
	v_sub_nc_u32_e32 v16, v7, v11
	v_add_nc_u32_e32 v11, v11, v10
	v_and_b32_e32 v10, 15, v2
	v_lshl_add_u32 v7, v16, 3, v0
	v_cmp_le_i32_e64 s0, v8, v11
	v_cmp_gt_i32_e64 s1, v6, v16
	ds_read_b64 v[12:13], v5
	ds_read_b64 v[14:15], v7
	v_or_b32_e32 v7, 8, v9
	v_add_nc_u32_e32 v5, 16, v9
	; wave barrier
	v_sub_nc_u32_e32 v18, v7, v9
	v_sub_nc_u32_e32 v17, v5, v7
	v_min_i32_e32 v11, v10, v18
	v_sub_nc_u32_e32 v8, v10, v17
	s_waitcnt lgkmcnt(0)
	v_cmp_lt_i64_e32 vcc_lo, v[14:15], v[12:13]
	s_or_b32 s0, s0, vcc_lo
	v_cmp_ge_i32_e32 vcc_lo, v10, v17
	v_cndmask_b32_e32 v6, 0, v8, vcc_lo
	s_and_b32 vcc_lo, s1, s0
	v_lshl_add_u32 v8, v9, 3, v0
	v_cndmask_b32_e32 v13, v13, v15, vcc_lo
	v_cndmask_b32_e32 v12, v12, v14, vcc_lo
	s_mov_b32 s0, exec_lo
	ds_write_b64 v4, v[12:13]
	; wave barrier
	v_cmpx_lt_i32_e64 v6, v11
	s_cbranch_execz .LBB180_16
; %bb.13:
	v_lshlrev_b32_e32 v12, 3, v7
	v_lshlrev_b32_e32 v13, 3, v10
	v_add3_u32 v12, v0, v12, v13
	.p2align	6
.LBB180_14:                             ; =>This Inner Loop Header: Depth=1
	v_sub_nc_u32_e32 v13, v11, v6
	v_lshrrev_b32_e32 v13, 1, v13
	v_add_nc_u32_e32 v17, v13, v6
	v_not_b32_e32 v13, v17
	v_lshl_add_u32 v14, v17, 3, v8
	v_lshl_add_u32 v15, v13, 3, v12
	ds_read_b64 v[13:14], v14
	ds_read_b64 v[15:16], v15
	s_waitcnt lgkmcnt(0)
	v_cmp_lt_i64_e32 vcc_lo, v[15:16], v[13:14]
	v_add_nc_u32_e32 v13, 1, v17
	v_cndmask_b32_e32 v11, v11, v17, vcc_lo
	v_cndmask_b32_e32 v6, v13, v6, vcc_lo
	v_cmp_ge_i32_e32 vcc_lo, v6, v11
	s_or_b32 s6, vcc_lo, s6
	s_andn2_b32 exec_lo, exec_lo, s6
	s_cbranch_execnz .LBB180_14
; %bb.15:
	s_or_b32 exec_lo, exec_lo, s6
.LBB180_16:
	s_or_b32 exec_lo, exec_lo, s0
	v_add_nc_u32_e32 v10, v7, v10
	v_lshl_add_u32 v8, v6, 3, v8
	v_sub_nc_u32_e32 v14, v10, v6
	v_add_nc_u32_e32 v6, v6, v9
	v_lshl_add_u32 v12, v14, 3, v0
	v_cmp_le_i32_e64 s0, v7, v6
	v_add_nc_u32_e32 v7, -16, v2
	v_cmp_gt_i32_e64 s1, v5, v14
	ds_read_b64 v[10:11], v8
	ds_read_b64 v[12:13], v12
	v_min_i32_e32 v6, 16, v2
	; wave barrier
	s_waitcnt lgkmcnt(0)
	v_cmp_lt_i64_e32 vcc_lo, v[12:13], v[10:11]
	s_or_b32 s0, s0, vcc_lo
	v_cmp_lt_i32_e32 vcc_lo, 15, v2
	v_cndmask_b32_e32 v5, 0, v7, vcc_lo
	s_and_b32 vcc_lo, s1, s0
	s_mov_b32 s0, exec_lo
	v_cndmask_b32_e32 v8, v11, v13, vcc_lo
	v_cndmask_b32_e32 v7, v10, v12, vcc_lo
	ds_write_b64 v4, v[7:8]
	; wave barrier
	v_cmpx_lt_i32_e64 v5, v6
	s_cbranch_execz .LBB180_20
; %bb.17:
	v_add3_u32 v7, 0x80, v0, v3
	s_mov_b32 s1, 0
	.p2align	6
.LBB180_18:                             ; =>This Inner Loop Header: Depth=1
	v_sub_nc_u32_e32 v8, v6, v5
	v_lshrrev_b32_e32 v8, 1, v8
	v_add_nc_u32_e32 v12, v8, v5
	v_not_b32_e32 v8, v12
	v_lshl_add_u32 v9, v12, 3, v0
	v_lshl_add_u32 v10, v8, 3, v7
	ds_read_b64 v[8:9], v9
	ds_read_b64 v[10:11], v10
	s_waitcnt lgkmcnt(0)
	v_cmp_lt_i64_e32 vcc_lo, v[10:11], v[8:9]
	v_add_nc_u32_e32 v8, 1, v12
	v_cndmask_b32_e32 v6, v6, v12, vcc_lo
	v_cndmask_b32_e32 v5, v8, v5, vcc_lo
	v_cmp_ge_i32_e32 vcc_lo, v5, v6
	s_or_b32 s1, vcc_lo, s1
	s_andn2_b32 exec_lo, exec_lo, s1
	s_cbranch_execnz .LBB180_18
; %bb.19:
	s_or_b32 exec_lo, exec_lo, s1
.LBB180_20:
	s_or_b32 exec_lo, exec_lo, s0
	v_add_nc_u32_e32 v6, 16, v2
	v_cmp_le_i32_e64 s0, 16, v5
	v_sub_nc_u32_e32 v10, v6, v5
	v_lshl_add_u32 v6, v5, 3, v0
	v_or_b32_e32 v5, 0xffffffe0, v2
	v_lshl_add_u32 v8, v10, 3, v0
	v_cmp_gt_i32_e64 s1, 32, v10
	ds_read_b64 v[6:7], v6
	ds_read_b64 v[8:9], v8
	; wave barrier
	s_waitcnt lgkmcnt(0)
	v_cmp_lt_i64_e32 vcc_lo, v[8:9], v[6:7]
	s_or_b32 s0, s0, vcc_lo
	v_cmp_lt_i32_e32 vcc_lo, 31, v2
	v_cndmask_b32_e32 v5, 0, v5, vcc_lo
	s_and_b32 vcc_lo, s1, s0
	s_mov_b32 s0, exec_lo
	v_cndmask_b32_e32 v7, v7, v9, vcc_lo
	v_cndmask_b32_e32 v6, v6, v8, vcc_lo
	ds_write_b64 v4, v[6:7]
	; wave barrier
	v_cmpx_lt_i32_e64 v5, v2
	s_cbranch_execz .LBB180_24
; %bb.21:
	v_add3_u32 v3, 0x100, v0, v3
	v_mov_b32_e32 v4, v2
	s_mov_b32 s1, 0
	.p2align	6
.LBB180_22:                             ; =>This Inner Loop Header: Depth=1
	v_sub_nc_u32_e32 v6, v4, v5
	v_lshrrev_b32_e32 v6, 1, v6
	v_add_nc_u32_e32 v10, v6, v5
	v_not_b32_e32 v6, v10
	v_lshl_add_u32 v7, v10, 3, v0
	v_lshl_add_u32 v8, v6, 3, v3
	ds_read_b64 v[6:7], v7
	ds_read_b64 v[8:9], v8
	s_waitcnt lgkmcnt(0)
	v_cmp_lt_i64_e32 vcc_lo, v[8:9], v[6:7]
	v_add_nc_u32_e32 v6, 1, v10
	v_cndmask_b32_e32 v4, v4, v10, vcc_lo
	v_cndmask_b32_e32 v5, v6, v5, vcc_lo
	v_cmp_ge_i32_e32 vcc_lo, v5, v4
	s_or_b32 s1, vcc_lo, s1
	s_andn2_b32 exec_lo, exec_lo, s1
	s_cbranch_execnz .LBB180_22
; %bb.23:
	s_or_b32 exec_lo, exec_lo, s1
.LBB180_24:
	s_or_b32 exec_lo, exec_lo, s0
	v_add_nc_u32_e32 v2, 32, v2
	v_cmp_le_i32_e64 s0, 32, v5
	v_sub_nc_u32_e32 v4, v2, v5
	v_lshl_add_u32 v2, v5, 3, v0
	v_lshl_add_u32 v0, v4, 3, v0
	v_cmp_gt_i32_e64 s1, 64, v4
	ds_read_b64 v[2:3], v2
	ds_read_b64 v[6:7], v0
	s_waitcnt lgkmcnt(0)
	v_cmp_lt_i64_e32 vcc_lo, v[6:7], v[2:3]
	s_or_b32 s0, s0, vcc_lo
	s_and_b32 vcc_lo, s1, s0
	s_add_u32 s0, s2, s4
	v_cndmask_b32_e32 v3, v3, v7, vcc_lo
	v_cndmask_b32_e32 v2, v2, v6, vcc_lo
	s_addc_u32 s1, s3, s5
	global_store_dwordx2 v1, v[2:3], s[0:1]
	s_endpgm
	.section	.rodata,"a",@progbits
	.p2align	6, 0x0
	.amdhsa_kernel _Z9sort_keysILj256ELj64ELj1ExN10test_utils4lessEEvPKT2_PS2_T3_
		.amdhsa_group_segment_fixed_size 2080
		.amdhsa_private_segment_fixed_size 0
		.amdhsa_kernarg_size 20
		.amdhsa_user_sgpr_count 6
		.amdhsa_user_sgpr_private_segment_buffer 1
		.amdhsa_user_sgpr_dispatch_ptr 0
		.amdhsa_user_sgpr_queue_ptr 0
		.amdhsa_user_sgpr_kernarg_segment_ptr 1
		.amdhsa_user_sgpr_dispatch_id 0
		.amdhsa_user_sgpr_flat_scratch_init 0
		.amdhsa_user_sgpr_private_segment_size 0
		.amdhsa_wavefront_size32 1
		.amdhsa_uses_dynamic_stack 0
		.amdhsa_system_sgpr_private_segment_wavefront_offset 0
		.amdhsa_system_sgpr_workgroup_id_x 1
		.amdhsa_system_sgpr_workgroup_id_y 0
		.amdhsa_system_sgpr_workgroup_id_z 0
		.amdhsa_system_sgpr_workgroup_info 0
		.amdhsa_system_vgpr_workitem_id 0
		.amdhsa_next_free_vgpr 19
		.amdhsa_next_free_sgpr 8
		.amdhsa_reserve_vcc 1
		.amdhsa_reserve_flat_scratch 0
		.amdhsa_float_round_mode_32 0
		.amdhsa_float_round_mode_16_64 0
		.amdhsa_float_denorm_mode_32 3
		.amdhsa_float_denorm_mode_16_64 3
		.amdhsa_dx10_clamp 1
		.amdhsa_ieee_mode 1
		.amdhsa_fp16_overflow 0
		.amdhsa_workgroup_processor_mode 1
		.amdhsa_memory_ordered 1
		.amdhsa_forward_progress 1
		.amdhsa_shared_vgpr_count 0
		.amdhsa_exception_fp_ieee_invalid_op 0
		.amdhsa_exception_fp_denorm_src 0
		.amdhsa_exception_fp_ieee_div_zero 0
		.amdhsa_exception_fp_ieee_overflow 0
		.amdhsa_exception_fp_ieee_underflow 0
		.amdhsa_exception_fp_ieee_inexact 0
		.amdhsa_exception_int_div_zero 0
	.end_amdhsa_kernel
	.section	.text._Z9sort_keysILj256ELj64ELj1ExN10test_utils4lessEEvPKT2_PS2_T3_,"axG",@progbits,_Z9sort_keysILj256ELj64ELj1ExN10test_utils4lessEEvPKT2_PS2_T3_,comdat
.Lfunc_end180:
	.size	_Z9sort_keysILj256ELj64ELj1ExN10test_utils4lessEEvPKT2_PS2_T3_, .Lfunc_end180-_Z9sort_keysILj256ELj64ELj1ExN10test_utils4lessEEvPKT2_PS2_T3_
                                        ; -- End function
	.set _Z9sort_keysILj256ELj64ELj1ExN10test_utils4lessEEvPKT2_PS2_T3_.num_vgpr, 19
	.set _Z9sort_keysILj256ELj64ELj1ExN10test_utils4lessEEvPKT2_PS2_T3_.num_agpr, 0
	.set _Z9sort_keysILj256ELj64ELj1ExN10test_utils4lessEEvPKT2_PS2_T3_.numbered_sgpr, 8
	.set _Z9sort_keysILj256ELj64ELj1ExN10test_utils4lessEEvPKT2_PS2_T3_.num_named_barrier, 0
	.set _Z9sort_keysILj256ELj64ELj1ExN10test_utils4lessEEvPKT2_PS2_T3_.private_seg_size, 0
	.set _Z9sort_keysILj256ELj64ELj1ExN10test_utils4lessEEvPKT2_PS2_T3_.uses_vcc, 1
	.set _Z9sort_keysILj256ELj64ELj1ExN10test_utils4lessEEvPKT2_PS2_T3_.uses_flat_scratch, 0
	.set _Z9sort_keysILj256ELj64ELj1ExN10test_utils4lessEEvPKT2_PS2_T3_.has_dyn_sized_stack, 0
	.set _Z9sort_keysILj256ELj64ELj1ExN10test_utils4lessEEvPKT2_PS2_T3_.has_recursion, 0
	.set _Z9sort_keysILj256ELj64ELj1ExN10test_utils4lessEEvPKT2_PS2_T3_.has_indirect_call, 0
	.section	.AMDGPU.csdata,"",@progbits
; Kernel info:
; codeLenInByte = 1856
; TotalNumSgprs: 10
; NumVgprs: 19
; ScratchSize: 0
; MemoryBound: 0
; FloatMode: 240
; IeeeMode: 1
; LDSByteSize: 2080 bytes/workgroup (compile time only)
; SGPRBlocks: 0
; VGPRBlocks: 2
; NumSGPRsForWavesPerEU: 10
; NumVGPRsForWavesPerEU: 19
; Occupancy: 16
; WaveLimiterHint : 0
; COMPUTE_PGM_RSRC2:SCRATCH_EN: 0
; COMPUTE_PGM_RSRC2:USER_SGPR: 6
; COMPUTE_PGM_RSRC2:TRAP_HANDLER: 0
; COMPUTE_PGM_RSRC2:TGID_X_EN: 1
; COMPUTE_PGM_RSRC2:TGID_Y_EN: 0
; COMPUTE_PGM_RSRC2:TGID_Z_EN: 0
; COMPUTE_PGM_RSRC2:TIDIG_COMP_CNT: 0
	.section	.text._Z10sort_pairsILj256ELj64ELj1ExN10test_utils4lessEEvPKT2_PS2_T3_,"axG",@progbits,_Z10sort_pairsILj256ELj64ELj1ExN10test_utils4lessEEvPKT2_PS2_T3_,comdat
	.protected	_Z10sort_pairsILj256ELj64ELj1ExN10test_utils4lessEEvPKT2_PS2_T3_ ; -- Begin function _Z10sort_pairsILj256ELj64ELj1ExN10test_utils4lessEEvPKT2_PS2_T3_
	.globl	_Z10sort_pairsILj256ELj64ELj1ExN10test_utils4lessEEvPKT2_PS2_T3_
	.p2align	8
	.type	_Z10sort_pairsILj256ELj64ELj1ExN10test_utils4lessEEvPKT2_PS2_T3_,@function
_Z10sort_pairsILj256ELj64ELj1ExN10test_utils4lessEEvPKT2_PS2_T3_: ; @_Z10sort_pairsILj256ELj64ELj1ExN10test_utils4lessEEvPKT2_PS2_T3_
; %bb.0:
	s_load_dwordx4 s[8:11], s[4:5], 0x0
	s_mov_b32 s1, 0
	s_lshl_b32 s0, s6, 8
	v_lshlrev_b32_e32 v3, 3, v0
	s_lshl_b64 s[4:5], s[0:1], 3
	v_mbcnt_lo_u32_b32 v6, -1, 0
	v_lshrrev_b32_e32 v11, 6, v0
	s_mov_b32 s0, exec_lo
	v_and_b32_e32 v9, 30, v6
	v_and_b32_e32 v10, 1, v6
	v_lshlrev_b32_e32 v7, 3, v6
	v_mul_u32_u24_e32 v5, 0x208, v11
	v_or_b32_e32 v8, 1, v9
	v_add_nc_u32_e32 v0, -1, v10
	v_lshlrev_b32_e32 v13, 3, v9
	v_cmp_lt_i32_e32 vcc_lo, 0, v10
	v_sub_nc_u32_e32 v4, v8, v9
	s_waitcnt lgkmcnt(0)
	s_add_u32 s2, s8, s4
	s_addc_u32 s3, s9, s5
	v_cndmask_b32_e32 v0, 0, v0, vcc_lo
	global_load_dwordx2 v[1:2], v3, s[2:3]
	v_min_i32_e32 v12, v10, v4
	v_mad_u32_u24 v4, 0x208, v11, v7
	v_mad_u32_u24 v11, 0x208, v11, v13
	; wave barrier
	s_waitcnt vmcnt(0)
	ds_write_b64 v4, v[1:2]
	; wave barrier
	v_cmpx_lt_i32_e64 v0, v12
	s_cbranch_execz .LBB181_4
; %bb.1:
	v_lshlrev_b32_e32 v13, 3, v8
	v_lshlrev_b32_e32 v14, 3, v10
	v_add3_u32 v13, v5, v13, v14
	.p2align	6
.LBB181_2:                              ; =>This Inner Loop Header: Depth=1
	v_sub_nc_u32_e32 v14, v12, v0
	v_lshrrev_b32_e32 v14, 1, v14
	v_add_nc_u32_e32 v18, v14, v0
	v_not_b32_e32 v14, v18
	v_lshl_add_u32 v15, v18, 3, v11
	v_lshl_add_u32 v16, v14, 3, v13
	ds_read_b64 v[14:15], v15
	ds_read_b64 v[16:17], v16
	s_waitcnt lgkmcnt(0)
	v_cmp_lt_i64_e32 vcc_lo, v[16:17], v[14:15]
	v_add_nc_u32_e32 v14, 1, v18
	v_cndmask_b32_e32 v12, v12, v18, vcc_lo
	v_cndmask_b32_e32 v0, v14, v0, vcc_lo
	v_cmp_ge_i32_e32 vcc_lo, v0, v12
	s_or_b32 s1, vcc_lo, s1
	s_andn2_b32 exec_lo, exec_lo, s1
	s_cbranch_execnz .LBB181_2
; %bb.3:
	s_or_b32 exec_lo, exec_lo, s1
.LBB181_4:
	s_or_b32 exec_lo, exec_lo, s0
	v_add_nc_u32_e32 v10, v8, v10
	v_lshl_add_u32 v11, v0, 3, v11
	v_add_nc_u32_e32 v9, v0, v9
	v_sub_nc_u32_e32 v10, v10, v0
	v_add_co_u32 v0, s2, v1, 1
	v_cmp_le_i32_e32 vcc_lo, v8, v9
	v_add_co_ci_u32_e64 v1, null, 0, v2, s2
	v_lshl_add_u32 v14, v10, 3, v5
	v_cmp_ge_i32_e64 s1, v8, v10
	v_and_b32_e32 v2, 28, v6
	ds_read_b64 v[12:13], v11
	ds_read_b64 v[14:15], v14
	; wave barrier
	ds_write_b64 v4, v[0:1]
	v_or_b32_e32 v8, 2, v2
	; wave barrier
	v_sub_nc_u32_e32 v16, v8, v2
	s_waitcnt lgkmcnt(1)
	v_cmp_lt_i64_e64 s0, v[14:15], v[12:13]
	s_or_b32 s0, vcc_lo, s0
	s_and_b32 vcc_lo, s1, s0
	s_mov_b32 s1, 0
	v_cndmask_b32_e32 v10, v9, v10, vcc_lo
	v_add_nc_u32_e32 v9, 4, v2
	v_cndmask_b32_e32 v15, v13, v15, vcc_lo
	v_cndmask_b32_e32 v14, v12, v14, vcc_lo
	v_lshl_add_u32 v12, v2, 3, v5
	v_lshl_add_u32 v0, v10, 3, v5
	v_and_b32_e32 v10, 3, v6
	v_sub_nc_u32_e32 v11, v9, v8
	ds_read_b64 v[0:1], v0
	v_sub_nc_u32_e32 v13, v10, v11
	v_cmp_ge_i32_e64 s0, v10, v11
	; wave barrier
	ds_write_b64 v4, v[14:15]
	; wave barrier
	v_cndmask_b32_e64 v11, 0, v13, s0
	v_min_i32_e32 v13, v10, v16
	s_mov_b32 s0, exec_lo
	v_cmpx_lt_i32_e64 v11, v13
	s_cbranch_execz .LBB181_8
; %bb.5:
	v_lshlrev_b32_e32 v14, 3, v8
	v_lshlrev_b32_e32 v15, 3, v10
	v_add3_u32 v14, v5, v14, v15
	.p2align	6
.LBB181_6:                              ; =>This Inner Loop Header: Depth=1
	v_sub_nc_u32_e32 v15, v13, v11
	v_lshrrev_b32_e32 v15, 1, v15
	v_add_nc_u32_e32 v19, v15, v11
	v_not_b32_e32 v15, v19
	v_lshl_add_u32 v16, v19, 3, v12
	v_lshl_add_u32 v17, v15, 3, v14
	ds_read_b64 v[15:16], v16
	ds_read_b64 v[17:18], v17
	s_waitcnt lgkmcnt(0)
	v_cmp_lt_i64_e32 vcc_lo, v[17:18], v[15:16]
	v_add_nc_u32_e32 v15, 1, v19
	v_cndmask_b32_e32 v13, v13, v19, vcc_lo
	v_cndmask_b32_e32 v11, v15, v11, vcc_lo
	v_cmp_ge_i32_e32 vcc_lo, v11, v13
	s_or_b32 s1, vcc_lo, s1
	s_andn2_b32 exec_lo, exec_lo, s1
	s_cbranch_execnz .LBB181_6
; %bb.7:
	s_or_b32 exec_lo, exec_lo, s1
.LBB181_8:
	s_or_b32 exec_lo, exec_lo, s0
	v_add_nc_u32_e32 v10, v8, v10
	v_lshl_add_u32 v12, v11, 3, v12
	v_sub_nc_u32_e32 v10, v10, v11
	v_add_nc_u32_e32 v11, v11, v2
	v_and_b32_e32 v2, 24, v6
	v_lshl_add_u32 v14, v10, 3, v5
	v_cmp_le_i32_e64 s0, v8, v11
	v_cmp_gt_i32_e64 s1, v9, v10
	v_or_b32_e32 v8, 4, v2
	ds_read_b64 v[12:13], v12
	ds_read_b64 v[14:15], v14
	; wave barrier
	s_waitcnt lgkmcnt(3)
	ds_write_b64 v4, v[0:1]
	v_add_nc_u32_e32 v9, 8, v2
	; wave barrier
	v_sub_nc_u32_e32 v16, v8, v2
	s_waitcnt lgkmcnt(1)
	v_cmp_lt_i64_e32 vcc_lo, v[14:15], v[12:13]
	s_or_b32 s0, s0, vcc_lo
	s_and_b32 vcc_lo, s1, s0
	s_mov_b32 s1, 0
	v_cndmask_b32_e32 v10, v11, v10, vcc_lo
	v_sub_nc_u32_e32 v11, v9, v8
	v_cndmask_b32_e32 v15, v13, v15, vcc_lo
	v_cndmask_b32_e32 v14, v12, v14, vcc_lo
	v_lshl_add_u32 v12, v2, 3, v5
	v_lshl_add_u32 v0, v10, 3, v5
	v_and_b32_e32 v10, 7, v6
	ds_read_b64 v[0:1], v0
	v_sub_nc_u32_e32 v13, v10, v11
	v_cmp_ge_i32_e64 s0, v10, v11
	; wave barrier
	ds_write_b64 v4, v[14:15]
	v_cndmask_b32_e64 v11, 0, v13, s0
	v_min_i32_e32 v13, v10, v16
	s_mov_b32 s0, exec_lo
	; wave barrier
	v_cmpx_lt_i32_e64 v11, v13
	s_cbranch_execz .LBB181_12
; %bb.9:
	v_lshlrev_b32_e32 v14, 3, v8
	v_lshlrev_b32_e32 v15, 3, v10
	v_add3_u32 v14, v5, v14, v15
	.p2align	6
.LBB181_10:                             ; =>This Inner Loop Header: Depth=1
	v_sub_nc_u32_e32 v15, v13, v11
	v_lshrrev_b32_e32 v15, 1, v15
	v_add_nc_u32_e32 v19, v15, v11
	v_not_b32_e32 v15, v19
	v_lshl_add_u32 v16, v19, 3, v12
	v_lshl_add_u32 v17, v15, 3, v14
	ds_read_b64 v[15:16], v16
	ds_read_b64 v[17:18], v17
	s_waitcnt lgkmcnt(0)
	v_cmp_lt_i64_e32 vcc_lo, v[17:18], v[15:16]
	v_add_nc_u32_e32 v15, 1, v19
	v_cndmask_b32_e32 v13, v13, v19, vcc_lo
	v_cndmask_b32_e32 v11, v15, v11, vcc_lo
	v_cmp_ge_i32_e32 vcc_lo, v11, v13
	s_or_b32 s1, vcc_lo, s1
	s_andn2_b32 exec_lo, exec_lo, s1
	s_cbranch_execnz .LBB181_10
; %bb.11:
	s_or_b32 exec_lo, exec_lo, s1
.LBB181_12:
	s_or_b32 exec_lo, exec_lo, s0
	v_add_nc_u32_e32 v10, v8, v10
	v_lshl_add_u32 v12, v11, 3, v12
	v_sub_nc_u32_e32 v10, v10, v11
	v_add_nc_u32_e32 v11, v11, v2
	v_and_b32_e32 v2, 16, v6
	v_lshl_add_u32 v14, v10, 3, v5
	v_cmp_le_i32_e64 s0, v8, v11
	v_cmp_gt_i32_e64 s1, v9, v10
	v_or_b32_e32 v8, 8, v2
	ds_read_b64 v[12:13], v12
	ds_read_b64 v[14:15], v14
	; wave barrier
	s_waitcnt lgkmcnt(3)
	ds_write_b64 v4, v[0:1]
	v_add_nc_u32_e32 v9, 16, v2
	; wave barrier
	v_sub_nc_u32_e32 v16, v8, v2
	s_waitcnt lgkmcnt(1)
	v_cmp_lt_i64_e32 vcc_lo, v[14:15], v[12:13]
	s_or_b32 s0, s0, vcc_lo
	s_and_b32 vcc_lo, s1, s0
	s_mov_b32 s1, 0
	v_cndmask_b32_e32 v10, v11, v10, vcc_lo
	v_sub_nc_u32_e32 v11, v9, v8
	v_cndmask_b32_e32 v15, v13, v15, vcc_lo
	v_cndmask_b32_e32 v14, v12, v14, vcc_lo
	v_lshl_add_u32 v12, v2, 3, v5
	v_lshl_add_u32 v0, v10, 3, v5
	v_and_b32_e32 v10, 15, v6
	ds_read_b64 v[0:1], v0
	v_sub_nc_u32_e32 v13, v10, v11
	v_cmp_ge_i32_e64 s0, v10, v11
	; wave barrier
	ds_write_b64 v4, v[14:15]
	v_cndmask_b32_e64 v11, 0, v13, s0
	v_min_i32_e32 v13, v10, v16
	s_mov_b32 s0, exec_lo
	; wave barrier
	v_cmpx_lt_i32_e64 v11, v13
	s_cbranch_execz .LBB181_16
; %bb.13:
	v_lshlrev_b32_e32 v14, 3, v8
	v_lshlrev_b32_e32 v15, 3, v10
	v_add3_u32 v14, v5, v14, v15
	.p2align	6
.LBB181_14:                             ; =>This Inner Loop Header: Depth=1
	v_sub_nc_u32_e32 v15, v13, v11
	v_lshrrev_b32_e32 v15, 1, v15
	v_add_nc_u32_e32 v19, v15, v11
	v_not_b32_e32 v15, v19
	v_lshl_add_u32 v16, v19, 3, v12
	v_lshl_add_u32 v17, v15, 3, v14
	ds_read_b64 v[15:16], v16
	ds_read_b64 v[17:18], v17
	s_waitcnt lgkmcnt(0)
	v_cmp_lt_i64_e32 vcc_lo, v[17:18], v[15:16]
	v_add_nc_u32_e32 v15, 1, v19
	v_cndmask_b32_e32 v13, v13, v19, vcc_lo
	v_cndmask_b32_e32 v11, v15, v11, vcc_lo
	v_cmp_ge_i32_e32 vcc_lo, v11, v13
	s_or_b32 s1, vcc_lo, s1
	s_andn2_b32 exec_lo, exec_lo, s1
	s_cbranch_execnz .LBB181_14
; %bb.15:
	s_or_b32 exec_lo, exec_lo, s1
.LBB181_16:
	s_or_b32 exec_lo, exec_lo, s0
	v_add_nc_u32_e32 v10, v8, v10
	v_add_nc_u32_e32 v2, v11, v2
	v_sub_nc_u32_e32 v16, v10, v11
	v_lshl_add_u32 v10, v11, 3, v12
	v_cmp_le_i32_e64 s0, v8, v2
	v_min_i32_e32 v8, 16, v6
	v_lshl_add_u32 v14, v16, 3, v5
	v_cmp_gt_i32_e64 s1, v9, v16
	ds_read_b64 v[12:13], v10
	ds_read_b64 v[14:15], v14
	; wave barrier
	s_waitcnt lgkmcnt(3)
	ds_write_b64 v4, v[0:1]
	; wave barrier
	s_waitcnt lgkmcnt(1)
	v_cmp_lt_i64_e32 vcc_lo, v[14:15], v[12:13]
	s_or_b32 s0, s0, vcc_lo
	s_and_b32 vcc_lo, s1, s0
	v_cmp_lt_i32_e64 s0, 15, v6
	v_cndmask_b32_e32 v2, v2, v16, vcc_lo
	v_cndmask_b32_e32 v10, v13, v15, vcc_lo
	;; [unrolled: 1-line block ×3, first 2 shown]
	v_lshl_add_u32 v2, v2, 3, v5
	ds_read_b64 v[0:1], v2
	v_add_nc_u32_e32 v2, -16, v6
	; wave barrier
	ds_write_b64 v4, v[9:10]
	v_cndmask_b32_e64 v2, 0, v2, s0
	s_mov_b32 s0, exec_lo
	; wave barrier
	v_cmpx_lt_i32_e64 v2, v8
	s_cbranch_execz .LBB181_20
; %bb.17:
	v_add3_u32 v9, 0x80, v5, v7
	s_mov_b32 s1, 0
	.p2align	6
.LBB181_18:                             ; =>This Inner Loop Header: Depth=1
	v_sub_nc_u32_e32 v10, v8, v2
	v_lshrrev_b32_e32 v10, 1, v10
	v_add_nc_u32_e32 v14, v10, v2
	v_not_b32_e32 v10, v14
	v_lshl_add_u32 v11, v14, 3, v5
	v_lshl_add_u32 v12, v10, 3, v9
	ds_read_b64 v[10:11], v11
	ds_read_b64 v[12:13], v12
	s_waitcnt lgkmcnt(0)
	v_cmp_lt_i64_e32 vcc_lo, v[12:13], v[10:11]
	v_add_nc_u32_e32 v10, 1, v14
	v_cndmask_b32_e32 v8, v8, v14, vcc_lo
	v_cndmask_b32_e32 v2, v10, v2, vcc_lo
	v_cmp_ge_i32_e32 vcc_lo, v2, v8
	s_or_b32 s1, vcc_lo, s1
	s_andn2_b32 exec_lo, exec_lo, s1
	s_cbranch_execnz .LBB181_18
; %bb.19:
	s_or_b32 exec_lo, exec_lo, s1
.LBB181_20:
	s_or_b32 exec_lo, exec_lo, s0
	v_add_nc_u32_e32 v8, 16, v6
	v_cmp_le_i32_e64 s0, 16, v2
	v_sub_nc_u32_e32 v12, v8, v2
	v_lshl_add_u32 v8, v2, 3, v5
	v_lshl_add_u32 v10, v12, 3, v5
	v_cmp_gt_i32_e64 s1, 32, v12
	ds_read_b64 v[8:9], v8
	ds_read_b64 v[10:11], v10
	; wave barrier
	s_waitcnt lgkmcnt(3)
	ds_write_b64 v4, v[0:1]
	; wave barrier
	s_waitcnt lgkmcnt(1)
	v_cmp_lt_i64_e32 vcc_lo, v[10:11], v[8:9]
	s_or_b32 s0, s0, vcc_lo
	s_and_b32 vcc_lo, s1, s0
	v_cmp_lt_i32_e64 s0, 31, v6
	v_cndmask_b32_e32 v2, v2, v12, vcc_lo
	v_cndmask_b32_e32 v9, v9, v11, vcc_lo
	v_cndmask_b32_e32 v8, v8, v10, vcc_lo
	v_lshl_add_u32 v2, v2, 3, v5
	ds_read_b64 v[0:1], v2
	v_or_b32_e32 v2, 0xffffffe0, v6
	; wave barrier
	ds_write_b64 v4, v[8:9]
	v_cndmask_b32_e64 v2, 0, v2, s0
	s_mov_b32 s0, exec_lo
	; wave barrier
	v_cmpx_lt_i32_e64 v2, v6
	s_cbranch_execz .LBB181_24
; %bb.21:
	v_add3_u32 v7, 0x100, v5, v7
	v_mov_b32_e32 v8, v6
	s_mov_b32 s1, 0
	.p2align	6
.LBB181_22:                             ; =>This Inner Loop Header: Depth=1
	v_sub_nc_u32_e32 v9, v8, v2
	v_lshrrev_b32_e32 v9, 1, v9
	v_add_nc_u32_e32 v13, v9, v2
	v_not_b32_e32 v9, v13
	v_lshl_add_u32 v10, v13, 3, v5
	v_lshl_add_u32 v11, v9, 3, v7
	ds_read_b64 v[9:10], v10
	ds_read_b64 v[11:12], v11
	s_waitcnt lgkmcnt(0)
	v_cmp_lt_i64_e32 vcc_lo, v[11:12], v[9:10]
	v_add_nc_u32_e32 v9, 1, v13
	v_cndmask_b32_e32 v8, v8, v13, vcc_lo
	v_cndmask_b32_e32 v2, v9, v2, vcc_lo
	v_cmp_ge_i32_e32 vcc_lo, v2, v8
	s_or_b32 s1, vcc_lo, s1
	s_andn2_b32 exec_lo, exec_lo, s1
	s_cbranch_execnz .LBB181_22
; %bb.23:
	s_or_b32 exec_lo, exec_lo, s1
.LBB181_24:
	s_or_b32 exec_lo, exec_lo, s0
	v_add_nc_u32_e32 v6, 32, v6
	v_cmp_le_i32_e64 s0, 32, v2
	v_sub_nc_u32_e32 v10, v6, v2
	v_lshl_add_u32 v6, v2, 3, v5
	v_lshl_add_u32 v8, v10, 3, v5
	v_cmp_gt_i32_e64 s1, 64, v10
	ds_read_b64 v[6:7], v6
	ds_read_b64 v[8:9], v8
	; wave barrier
	s_waitcnt lgkmcnt(3)
	ds_write_b64 v4, v[0:1]
	; wave barrier
	s_waitcnt lgkmcnt(1)
	v_cmp_lt_i64_e32 vcc_lo, v[8:9], v[6:7]
	s_or_b32 s0, s0, vcc_lo
	s_and_b32 vcc_lo, s1, s0
	s_add_u32 s0, s10, s4
	v_cndmask_b32_e32 v2, v2, v10, vcc_lo
	v_cndmask_b32_e32 v7, v7, v9, vcc_lo
	s_addc_u32 s1, s11, s5
	v_lshl_add_u32 v2, v2, 3, v5
	ds_read_b64 v[0:1], v2
	v_cndmask_b32_e32 v2, v6, v8, vcc_lo
	s_waitcnt lgkmcnt(0)
	v_add_co_u32 v0, vcc_lo, v0, v2
	v_add_co_ci_u32_e64 v1, null, v1, v7, vcc_lo
	global_store_dwordx2 v3, v[0:1], s[0:1]
	s_endpgm
	.section	.rodata,"a",@progbits
	.p2align	6, 0x0
	.amdhsa_kernel _Z10sort_pairsILj256ELj64ELj1ExN10test_utils4lessEEvPKT2_PS2_T3_
		.amdhsa_group_segment_fixed_size 2080
		.amdhsa_private_segment_fixed_size 0
		.amdhsa_kernarg_size 20
		.amdhsa_user_sgpr_count 6
		.amdhsa_user_sgpr_private_segment_buffer 1
		.amdhsa_user_sgpr_dispatch_ptr 0
		.amdhsa_user_sgpr_queue_ptr 0
		.amdhsa_user_sgpr_kernarg_segment_ptr 1
		.amdhsa_user_sgpr_dispatch_id 0
		.amdhsa_user_sgpr_flat_scratch_init 0
		.amdhsa_user_sgpr_private_segment_size 0
		.amdhsa_wavefront_size32 1
		.amdhsa_uses_dynamic_stack 0
		.amdhsa_system_sgpr_private_segment_wavefront_offset 0
		.amdhsa_system_sgpr_workgroup_id_x 1
		.amdhsa_system_sgpr_workgroup_id_y 0
		.amdhsa_system_sgpr_workgroup_id_z 0
		.amdhsa_system_sgpr_workgroup_info 0
		.amdhsa_system_vgpr_workitem_id 0
		.amdhsa_next_free_vgpr 20
		.amdhsa_next_free_sgpr 12
		.amdhsa_reserve_vcc 1
		.amdhsa_reserve_flat_scratch 0
		.amdhsa_float_round_mode_32 0
		.amdhsa_float_round_mode_16_64 0
		.amdhsa_float_denorm_mode_32 3
		.amdhsa_float_denorm_mode_16_64 3
		.amdhsa_dx10_clamp 1
		.amdhsa_ieee_mode 1
		.amdhsa_fp16_overflow 0
		.amdhsa_workgroup_processor_mode 1
		.amdhsa_memory_ordered 1
		.amdhsa_forward_progress 1
		.amdhsa_shared_vgpr_count 0
		.amdhsa_exception_fp_ieee_invalid_op 0
		.amdhsa_exception_fp_denorm_src 0
		.amdhsa_exception_fp_ieee_div_zero 0
		.amdhsa_exception_fp_ieee_overflow 0
		.amdhsa_exception_fp_ieee_underflow 0
		.amdhsa_exception_fp_ieee_inexact 0
		.amdhsa_exception_int_div_zero 0
	.end_amdhsa_kernel
	.section	.text._Z10sort_pairsILj256ELj64ELj1ExN10test_utils4lessEEvPKT2_PS2_T3_,"axG",@progbits,_Z10sort_pairsILj256ELj64ELj1ExN10test_utils4lessEEvPKT2_PS2_T3_,comdat
.Lfunc_end181:
	.size	_Z10sort_pairsILj256ELj64ELj1ExN10test_utils4lessEEvPKT2_PS2_T3_, .Lfunc_end181-_Z10sort_pairsILj256ELj64ELj1ExN10test_utils4lessEEvPKT2_PS2_T3_
                                        ; -- End function
	.set _Z10sort_pairsILj256ELj64ELj1ExN10test_utils4lessEEvPKT2_PS2_T3_.num_vgpr, 20
	.set _Z10sort_pairsILj256ELj64ELj1ExN10test_utils4lessEEvPKT2_PS2_T3_.num_agpr, 0
	.set _Z10sort_pairsILj256ELj64ELj1ExN10test_utils4lessEEvPKT2_PS2_T3_.numbered_sgpr, 12
	.set _Z10sort_pairsILj256ELj64ELj1ExN10test_utils4lessEEvPKT2_PS2_T3_.num_named_barrier, 0
	.set _Z10sort_pairsILj256ELj64ELj1ExN10test_utils4lessEEvPKT2_PS2_T3_.private_seg_size, 0
	.set _Z10sort_pairsILj256ELj64ELj1ExN10test_utils4lessEEvPKT2_PS2_T3_.uses_vcc, 1
	.set _Z10sort_pairsILj256ELj64ELj1ExN10test_utils4lessEEvPKT2_PS2_T3_.uses_flat_scratch, 0
	.set _Z10sort_pairsILj256ELj64ELj1ExN10test_utils4lessEEvPKT2_PS2_T3_.has_dyn_sized_stack, 0
	.set _Z10sort_pairsILj256ELj64ELj1ExN10test_utils4lessEEvPKT2_PS2_T3_.has_recursion, 0
	.set _Z10sort_pairsILj256ELj64ELj1ExN10test_utils4lessEEvPKT2_PS2_T3_.has_indirect_call, 0
	.section	.AMDGPU.csdata,"",@progbits
; Kernel info:
; codeLenInByte = 2036
; TotalNumSgprs: 14
; NumVgprs: 20
; ScratchSize: 0
; MemoryBound: 0
; FloatMode: 240
; IeeeMode: 1
; LDSByteSize: 2080 bytes/workgroup (compile time only)
; SGPRBlocks: 0
; VGPRBlocks: 2
; NumSGPRsForWavesPerEU: 14
; NumVGPRsForWavesPerEU: 20
; Occupancy: 16
; WaveLimiterHint : 0
; COMPUTE_PGM_RSRC2:SCRATCH_EN: 0
; COMPUTE_PGM_RSRC2:USER_SGPR: 6
; COMPUTE_PGM_RSRC2:TRAP_HANDLER: 0
; COMPUTE_PGM_RSRC2:TGID_X_EN: 1
; COMPUTE_PGM_RSRC2:TGID_Y_EN: 0
; COMPUTE_PGM_RSRC2:TGID_Z_EN: 0
; COMPUTE_PGM_RSRC2:TIDIG_COMP_CNT: 0
	.section	.text._Z19sort_keys_segmentedILj256ELj64ELj1ExN10test_utils4lessEEvPKT2_PS2_PKjT3_,"axG",@progbits,_Z19sort_keys_segmentedILj256ELj64ELj1ExN10test_utils4lessEEvPKT2_PS2_PKjT3_,comdat
	.protected	_Z19sort_keys_segmentedILj256ELj64ELj1ExN10test_utils4lessEEvPKT2_PS2_PKjT3_ ; -- Begin function _Z19sort_keys_segmentedILj256ELj64ELj1ExN10test_utils4lessEEvPKT2_PS2_PKjT3_
	.globl	_Z19sort_keys_segmentedILj256ELj64ELj1ExN10test_utils4lessEEvPKT2_PS2_PKjT3_
	.p2align	8
	.type	_Z19sort_keys_segmentedILj256ELj64ELj1ExN10test_utils4lessEEvPKT2_PS2_PKjT3_,@function
_Z19sort_keys_segmentedILj256ELj64ELj1ExN10test_utils4lessEEvPKT2_PS2_PKjT3_: ; @_Z19sort_keys_segmentedILj256ELj64ELj1ExN10test_utils4lessEEvPKT2_PS2_PKjT3_
; %bb.0:
	s_load_dwordx2 s[0:1], s[4:5], 0x10
	v_lshrrev_b32_e32 v9, 6, v0
	v_mov_b32_e32 v1, 0
	v_mbcnt_lo_u32_b32 v8, -1, 0
	v_lshl_or_b32 v0, s6, 2, v9
	s_load_dwordx4 s[4:7], s[4:5], 0x0
	v_lshlrev_b32_e32 v4, 3, v8
	v_lshlrev_b64 v[2:3], 2, v[0:1]
	v_lshlrev_b32_e32 v0, 6, v0
	v_lshlrev_b64 v[0:1], 3, v[0:1]
	s_waitcnt lgkmcnt(0)
	v_add_co_u32 v2, vcc_lo, s0, v2
	v_add_co_ci_u32_e64 v3, null, s1, v3, vcc_lo
	global_load_dword v6, v[2:3], off
                                        ; implicit-def: $vgpr2_vgpr3
	s_waitcnt vmcnt(0)
	v_cmp_lt_u32_e32 vcc_lo, v8, v6
	s_and_saveexec_b32 s1, vcc_lo
	s_cbranch_execz .LBB182_2
; %bb.1:
	v_add_co_u32 v2, s0, s4, v0
	v_add_co_ci_u32_e64 v3, null, s5, v1, s0
	v_add_co_u32 v2, s0, v2, v4
	v_add_co_ci_u32_e64 v3, null, 0, v3, s0
	global_load_dwordx2 v[2:3], v[2:3], off
.LBB182_2:
	s_or_b32 exec_lo, exec_lo, s1
	v_and_b32_e32 v5, 30, v8
	v_and_b32_e32 v7, 1, v8
	s_mov_b32 s1, exec_lo
	; wave barrier
	v_min_i32_e32 v13, v6, v5
	v_min_i32_e32 v15, v6, v7
	v_add_nc_u32_e32 v5, 1, v13
	v_lshlrev_b32_e32 v17, 3, v13
	v_min_i32_e32 v12, v6, v5
	v_add_nc_u32_e32 v5, 1, v12
	v_sub_nc_u32_e32 v10, v12, v13
	v_min_i32_e32 v11, v6, v5
	v_min_i32_e32 v16, v15, v10
	v_mad_u32_u24 v10, 0x208, v9, v17
	v_sub_nc_u32_e32 v5, v11, v12
	v_sub_nc_u32_e32 v7, v15, v5
	v_cmp_ge_i32_e64 s0, v15, v5
	v_mul_u32_u24_e32 v5, 0x208, v9
	v_cndmask_b32_e64 v14, 0, v7, s0
	v_mad_u32_u24 v7, 0x208, v9, v4
	s_waitcnt vmcnt(0)
	ds_write_b64 v7, v[2:3]
	; wave barrier
	v_cmpx_lt_i32_e64 v14, v16
	s_cbranch_execz .LBB182_6
; %bb.3:
	v_lshlrev_b32_e32 v2, 3, v12
	v_lshlrev_b32_e32 v3, 3, v15
	s_mov_b32 s2, 0
	v_add3_u32 v2, v5, v2, v3
	.p2align	6
.LBB182_4:                              ; =>This Inner Loop Header: Depth=1
	v_sub_nc_u32_e32 v3, v16, v14
	v_lshrrev_b32_e32 v3, 1, v3
	v_add_nc_u32_e32 v3, v3, v14
	v_not_b32_e32 v9, v3
	v_lshl_add_u32 v17, v3, 3, v10
	v_lshl_add_u32 v9, v9, 3, v2
	ds_read_b64 v[17:18], v17
	ds_read_b64 v[19:20], v9
	v_add_nc_u32_e32 v9, 1, v3
	s_waitcnt lgkmcnt(0)
	v_cmp_lt_i64_e64 s0, v[19:20], v[17:18]
	v_cndmask_b32_e64 v16, v16, v3, s0
	v_cndmask_b32_e64 v14, v9, v14, s0
	v_cmp_ge_i32_e64 s0, v14, v16
	s_or_b32 s2, s0, s2
	s_andn2_b32 exec_lo, exec_lo, s2
	s_cbranch_execnz .LBB182_4
; %bb.5:
	s_or_b32 exec_lo, exec_lo, s2
.LBB182_6:
	s_or_b32 exec_lo, exec_lo, s1
	v_add_nc_u32_e32 v2, v12, v15
	v_and_b32_e32 v3, 28, v8
	v_add_nc_u32_e32 v13, v14, v13
	s_mov_b32 s3, 0
	v_sub_nc_u32_e32 v19, v2, v14
	v_lshl_add_u32 v2, v14, 3, v10
	v_min_i32_e32 v9, v6, v3
	v_cmp_le_i32_e64 s1, v12, v13
	v_lshl_add_u32 v3, v19, 3, v5
	v_cmp_gt_i32_e64 s2, v11, v19
	v_add_nc_u32_e32 v10, 2, v9
	ds_read_b64 v[15:16], v2
	ds_read_b64 v[17:18], v3
	v_and_b32_e32 v3, 3, v8
	v_min_i32_e32 v10, v6, v10
	; wave barrier
	v_min_i32_e32 v14, v6, v3
	v_add_nc_u32_e32 v2, 2, v10
	v_sub_nc_u32_e32 v20, v10, v9
	v_min_i32_e32 v2, v6, v2
	v_min_i32_e32 v11, v14, v20
	v_sub_nc_u32_e32 v3, v2, v10
	s_waitcnt lgkmcnt(0)
	v_cmp_lt_i64_e64 s0, v[17:18], v[15:16]
	v_sub_nc_u32_e32 v12, v14, v3
	s_or_b32 s1, s1, s0
	v_cmp_ge_i32_e64 s0, v14, v3
	v_lshl_add_u32 v3, v9, 3, v5
	v_cndmask_b32_e64 v13, 0, v12, s0
	s_and_b32 s0, s2, s1
	s_mov_b32 s1, exec_lo
	v_cndmask_b32_e64 v16, v16, v18, s0
	v_cndmask_b32_e64 v15, v15, v17, s0
	ds_write_b64 v7, v[15:16]
	; wave barrier
	v_cmpx_lt_i32_e64 v13, v11
	s_cbranch_execz .LBB182_10
; %bb.7:
	v_lshlrev_b32_e32 v12, 3, v10
	v_lshlrev_b32_e32 v15, 3, v14
	v_add3_u32 v12, v5, v12, v15
	.p2align	6
.LBB182_8:                              ; =>This Inner Loop Header: Depth=1
	v_sub_nc_u32_e32 v15, v11, v13
	v_lshrrev_b32_e32 v15, 1, v15
	v_add_nc_u32_e32 v19, v15, v13
	v_not_b32_e32 v15, v19
	v_lshl_add_u32 v16, v19, 3, v3
	v_lshl_add_u32 v17, v15, 3, v12
	ds_read_b64 v[15:16], v16
	ds_read_b64 v[17:18], v17
	s_waitcnt lgkmcnt(0)
	v_cmp_lt_i64_e64 s0, v[17:18], v[15:16]
	v_add_nc_u32_e32 v15, 1, v19
	v_cndmask_b32_e64 v11, v11, v19, s0
	v_cndmask_b32_e64 v13, v15, v13, s0
	v_cmp_ge_i32_e64 s0, v13, v11
	s_or_b32 s3, s0, s3
	s_andn2_b32 exec_lo, exec_lo, s3
	s_cbranch_execnz .LBB182_8
; %bb.9:
	s_or_b32 exec_lo, exec_lo, s3
.LBB182_10:
	s_or_b32 exec_lo, exec_lo, s1
	v_add_nc_u32_e32 v11, v10, v14
	v_and_b32_e32 v12, 24, v8
	v_lshl_add_u32 v3, v13, 3, v3
	v_add_nc_u32_e32 v9, v13, v9
	s_mov_b32 s3, 0
	v_sub_nc_u32_e32 v18, v11, v13
	v_min_i32_e32 v11, v6, v12
	v_cmp_le_i32_e64 s1, v10, v9
	v_lshl_add_u32 v12, v18, 3, v5
	v_add_nc_u32_e32 v19, 4, v11
	v_cmp_gt_i32_e64 s2, v2, v18
	ds_read_b64 v[14:15], v3
	ds_read_b64 v[16:17], v12
	v_min_i32_e32 v12, v6, v19
	v_and_b32_e32 v19, 7, v8
	; wave barrier
	v_add_nc_u32_e32 v3, 4, v12
	v_min_i32_e32 v13, v6, v19
	v_sub_nc_u32_e32 v20, v12, v11
	v_min_i32_e32 v3, v6, v3
	v_min_i32_e32 v10, v13, v20
	v_sub_nc_u32_e32 v19, v3, v12
	s_waitcnt lgkmcnt(0)
	v_cmp_lt_i64_e64 s0, v[16:17], v[14:15]
	v_sub_nc_u32_e32 v9, v13, v19
	s_or_b32 s1, s1, s0
	v_cmp_ge_i32_e64 s0, v13, v19
	v_cndmask_b32_e64 v2, 0, v9, s0
	s_and_b32 s0, s2, s1
	v_lshl_add_u32 v9, v11, 3, v5
	v_cndmask_b32_e64 v15, v15, v17, s0
	v_cndmask_b32_e64 v14, v14, v16, s0
	s_mov_b32 s1, exec_lo
	ds_write_b64 v7, v[14:15]
	; wave barrier
	v_cmpx_lt_i32_e64 v2, v10
	s_cbranch_execz .LBB182_14
; %bb.11:
	v_lshlrev_b32_e32 v14, 3, v12
	v_lshlrev_b32_e32 v15, 3, v13
	v_add3_u32 v14, v5, v14, v15
	.p2align	6
.LBB182_12:                             ; =>This Inner Loop Header: Depth=1
	v_sub_nc_u32_e32 v15, v10, v2
	v_lshrrev_b32_e32 v15, 1, v15
	v_add_nc_u32_e32 v19, v15, v2
	v_not_b32_e32 v15, v19
	v_lshl_add_u32 v16, v19, 3, v9
	v_lshl_add_u32 v17, v15, 3, v14
	ds_read_b64 v[15:16], v16
	ds_read_b64 v[17:18], v17
	s_waitcnt lgkmcnt(0)
	v_cmp_lt_i64_e64 s0, v[17:18], v[15:16]
	v_add_nc_u32_e32 v15, 1, v19
	v_cndmask_b32_e64 v10, v10, v19, s0
	v_cndmask_b32_e64 v2, v15, v2, s0
	v_cmp_ge_i32_e64 s0, v2, v10
	s_or_b32 s3, s0, s3
	s_andn2_b32 exec_lo, exec_lo, s3
	s_cbranch_execnz .LBB182_12
; %bb.13:
	s_or_b32 exec_lo, exec_lo, s3
.LBB182_14:
	s_or_b32 exec_lo, exec_lo, s1
	v_add_nc_u32_e32 v10, v12, v13
	v_and_b32_e32 v13, 16, v8
	v_lshl_add_u32 v9, v2, 3, v9
	v_add_nc_u32_e32 v11, v2, v11
	s_mov_b32 s3, 0
	v_sub_nc_u32_e32 v18, v10, v2
	v_min_i32_e32 v13, v6, v13
	v_cmp_le_i32_e64 s1, v12, v11
	v_lshl_add_u32 v10, v18, 3, v5
	v_add_nc_u32_e32 v19, 8, v13
	v_cmp_gt_i32_e64 s2, v3, v18
	ds_read_b64 v[14:15], v9
	ds_read_b64 v[16:17], v10
	v_min_i32_e32 v9, v6, v19
	v_and_b32_e32 v19, 15, v8
	; wave barrier
	v_add_nc_u32_e32 v10, 8, v9
	v_min_i32_e32 v2, v6, v19
	v_sub_nc_u32_e32 v20, v9, v13
	v_min_i32_e32 v10, v6, v10
	v_min_i32_e32 v12, v2, v20
	v_sub_nc_u32_e32 v19, v10, v9
	s_waitcnt lgkmcnt(0)
	v_cmp_lt_i64_e64 s0, v[16:17], v[14:15]
	v_sub_nc_u32_e32 v11, v2, v19
	s_or_b32 s1, s1, s0
	v_cmp_ge_i32_e64 s0, v2, v19
	v_cndmask_b32_e64 v3, 0, v11, s0
	s_and_b32 s0, s2, s1
	v_lshl_add_u32 v11, v13, 3, v5
	v_cndmask_b32_e64 v15, v15, v17, s0
	v_cndmask_b32_e64 v14, v14, v16, s0
	s_mov_b32 s1, exec_lo
	ds_write_b64 v7, v[14:15]
	; wave barrier
	v_cmpx_lt_i32_e64 v3, v12
	s_cbranch_execz .LBB182_18
; %bb.15:
	v_lshlrev_b32_e32 v14, 3, v9
	v_lshlrev_b32_e32 v15, 3, v2
	v_add3_u32 v14, v5, v14, v15
	.p2align	6
.LBB182_16:                             ; =>This Inner Loop Header: Depth=1
	v_sub_nc_u32_e32 v15, v12, v3
	v_lshrrev_b32_e32 v15, 1, v15
	v_add_nc_u32_e32 v19, v15, v3
	v_not_b32_e32 v15, v19
	v_lshl_add_u32 v16, v19, 3, v11
	v_lshl_add_u32 v17, v15, 3, v14
	ds_read_b64 v[15:16], v16
	ds_read_b64 v[17:18], v17
	s_waitcnt lgkmcnt(0)
	v_cmp_lt_i64_e64 s0, v[17:18], v[15:16]
	v_add_nc_u32_e32 v15, 1, v19
	v_cndmask_b32_e64 v12, v12, v19, s0
	v_cndmask_b32_e64 v3, v15, v3, s0
	v_cmp_ge_i32_e64 s0, v3, v12
	s_or_b32 s3, s0, s3
	s_andn2_b32 exec_lo, exec_lo, s3
	s_cbranch_execnz .LBB182_16
; %bb.17:
	s_or_b32 exec_lo, exec_lo, s3
.LBB182_18:
	s_or_b32 exec_lo, exec_lo, s1
	v_add_nc_u32_e32 v2, v9, v2
	v_lshl_add_u32 v11, v3, 3, v11
	v_add_nc_u32_e32 v13, v3, v13
	s_mov_b32 s3, 0
	v_sub_nc_u32_e32 v18, v2, v3
	v_min_i32_e32 v2, 0, v6
	v_min_i32_e32 v3, v6, v8
	v_cmp_le_i32_e64 s1, v9, v13
	v_lshl_add_u32 v12, v18, 3, v5
	v_add_nc_u32_e32 v19, 16, v2
	v_cmp_gt_i32_e64 s2, v10, v18
	v_lshl_add_u32 v8, v2, 3, v5
	ds_read_b64 v[14:15], v11
	ds_read_b64 v[16:17], v12
	v_min_i32_e32 v11, v6, v19
	; wave barrier
	v_add_nc_u32_e32 v12, 16, v11
	v_sub_nc_u32_e32 v20, v11, v2
	v_min_i32_e32 v12, v6, v12
	v_min_i32_e32 v10, v3, v20
	v_sub_nc_u32_e32 v19, v12, v11
	s_waitcnt lgkmcnt(0)
	v_cmp_lt_i64_e64 s0, v[16:17], v[14:15]
	v_sub_nc_u32_e32 v9, v3, v19
	s_or_b32 s1, s1, s0
	v_cmp_ge_i32_e64 s0, v3, v19
	v_cndmask_b32_e64 v13, 0, v9, s0
	s_and_b32 s0, s2, s1
	v_lshlrev_b32_e32 v9, 3, v3
	v_cndmask_b32_e64 v15, v15, v17, s0
	v_cndmask_b32_e64 v14, v14, v16, s0
	s_mov_b32 s1, exec_lo
	ds_write_b64 v7, v[14:15]
	; wave barrier
	v_cmpx_lt_i32_e64 v13, v10
	s_cbranch_execz .LBB182_22
; %bb.19:
	v_lshlrev_b32_e32 v14, 3, v11
	v_add3_u32 v14, v5, v14, v9
	.p2align	6
.LBB182_20:                             ; =>This Inner Loop Header: Depth=1
	v_sub_nc_u32_e32 v15, v10, v13
	v_lshrrev_b32_e32 v15, 1, v15
	v_add_nc_u32_e32 v19, v15, v13
	v_not_b32_e32 v15, v19
	v_lshl_add_u32 v16, v19, 3, v8
	v_lshl_add_u32 v17, v15, 3, v14
	ds_read_b64 v[15:16], v16
	ds_read_b64 v[17:18], v17
	s_waitcnt lgkmcnt(0)
	v_cmp_lt_i64_e64 s0, v[17:18], v[15:16]
	v_add_nc_u32_e32 v15, 1, v19
	v_cndmask_b32_e64 v10, v10, v19, s0
	v_cndmask_b32_e64 v13, v15, v13, s0
	v_cmp_ge_i32_e64 s0, v13, v10
	s_or_b32 s3, s0, s3
	s_andn2_b32 exec_lo, exec_lo, s3
	s_cbranch_execnz .LBB182_20
; %bb.21:
	s_or_b32 exec_lo, exec_lo, s3
.LBB182_22:
	s_or_b32 exec_lo, exec_lo, s1
	v_add_nc_u32_e32 v10, v11, v3
	v_add_nc_u32_e32 v19, 32, v2
	v_sub_nc_u32_e32 v18, v10, v13
	v_lshl_add_u32 v10, v13, 3, v8
	v_add_nc_u32_e32 v13, v13, v2
	v_lshl_add_u32 v16, v18, 3, v5
	v_cmp_gt_i32_e64 s2, v12, v18
	v_cmp_le_i32_e64 s1, v11, v13
	ds_read_b64 v[14:15], v10
	ds_read_b64 v[16:17], v16
	v_min_i32_e32 v10, v6, v19
	; wave barrier
	v_add_nc_u32_e32 v19, 32, v10
	v_sub_nc_u32_e32 v20, v10, v2
	v_min_i32_e32 v6, v6, v19
	v_min_i32_e32 v12, v3, v20
	v_sub_nc_u32_e32 v19, v6, v10
	s_waitcnt lgkmcnt(0)
	v_cmp_lt_i64_e64 s0, v[16:17], v[14:15]
	v_sub_nc_u32_e32 v11, v3, v19
	s_or_b32 s1, s1, s0
	v_cmp_ge_i32_e64 s0, v3, v19
	v_cndmask_b32_e64 v11, 0, v11, s0
	s_and_b32 s0, s2, s1
	s_mov_b32 s1, 0
	v_cndmask_b32_e64 v15, v15, v17, s0
	v_cndmask_b32_e64 v14, v14, v16, s0
	s_mov_b32 s2, exec_lo
	ds_write_b64 v7, v[14:15]
	; wave barrier
	v_cmpx_lt_i32_e64 v11, v12
	s_cbranch_execnz .LBB182_25
; %bb.23:
	s_or_b32 exec_lo, exec_lo, s2
	s_and_saveexec_b32 s0, vcc_lo
	s_cbranch_execnz .LBB182_28
.LBB182_24:
	s_endpgm
.LBB182_25:
	v_lshlrev_b32_e32 v7, 3, v10
	v_add3_u32 v7, v5, v7, v9
	.p2align	6
.LBB182_26:                             ; =>This Inner Loop Header: Depth=1
	v_sub_nc_u32_e32 v9, v12, v11
	v_lshrrev_b32_e32 v9, 1, v9
	v_add_nc_u32_e32 v9, v9, v11
	v_not_b32_e32 v13, v9
	v_lshl_add_u32 v14, v9, 3, v8
	v_lshl_add_u32 v15, v13, 3, v7
	ds_read_b64 v[13:14], v14
	ds_read_b64 v[15:16], v15
	s_waitcnt lgkmcnt(0)
	v_cmp_lt_i64_e64 s0, v[15:16], v[13:14]
	v_add_nc_u32_e32 v13, 1, v9
	v_cndmask_b32_e64 v12, v12, v9, s0
	v_cndmask_b32_e64 v11, v13, v11, s0
	v_cmp_ge_i32_e64 s0, v11, v12
	s_or_b32 s1, s0, s1
	s_andn2_b32 exec_lo, exec_lo, s1
	s_cbranch_execnz .LBB182_26
; %bb.27:
	s_or_b32 exec_lo, exec_lo, s1
	s_or_b32 exec_lo, exec_lo, s2
	s_and_saveexec_b32 s0, vcc_lo
	s_cbranch_execz .LBB182_24
.LBB182_28:
	v_add_nc_u32_e32 v3, v10, v3
	v_lshl_add_u32 v9, v11, 3, v8
	v_add_nc_u32_e32 v2, v11, v2
	v_add_co_u32 v0, s1, s6, v0
	v_sub_nc_u32_e32 v3, v3, v11
	v_add_co_ci_u32_e64 v1, null, s7, v1, s1
	v_cmp_le_i32_e32 vcc_lo, v10, v2
	v_lshl_add_u32 v5, v3, 3, v5
	v_cmp_gt_i32_e64 s1, v6, v3
	ds_read_b64 v[7:8], v5
	ds_read_b64 v[12:13], v9
	s_waitcnt lgkmcnt(0)
	v_cmp_lt_i64_e64 s0, v[7:8], v[12:13]
	s_or_b32 s0, vcc_lo, s0
	v_add_co_u32 v0, vcc_lo, v0, v4
	v_add_co_ci_u32_e64 v1, null, 0, v1, vcc_lo
	s_and_b32 vcc_lo, s1, s0
	v_cndmask_b32_e32 v3, v13, v8, vcc_lo
	v_cndmask_b32_e32 v2, v12, v7, vcc_lo
	global_store_dwordx2 v[0:1], v[2:3], off
	s_endpgm
	.section	.rodata,"a",@progbits
	.p2align	6, 0x0
	.amdhsa_kernel _Z19sort_keys_segmentedILj256ELj64ELj1ExN10test_utils4lessEEvPKT2_PS2_PKjT3_
		.amdhsa_group_segment_fixed_size 2080
		.amdhsa_private_segment_fixed_size 0
		.amdhsa_kernarg_size 28
		.amdhsa_user_sgpr_count 6
		.amdhsa_user_sgpr_private_segment_buffer 1
		.amdhsa_user_sgpr_dispatch_ptr 0
		.amdhsa_user_sgpr_queue_ptr 0
		.amdhsa_user_sgpr_kernarg_segment_ptr 1
		.amdhsa_user_sgpr_dispatch_id 0
		.amdhsa_user_sgpr_flat_scratch_init 0
		.amdhsa_user_sgpr_private_segment_size 0
		.amdhsa_wavefront_size32 1
		.amdhsa_uses_dynamic_stack 0
		.amdhsa_system_sgpr_private_segment_wavefront_offset 0
		.amdhsa_system_sgpr_workgroup_id_x 1
		.amdhsa_system_sgpr_workgroup_id_y 0
		.amdhsa_system_sgpr_workgroup_id_z 0
		.amdhsa_system_sgpr_workgroup_info 0
		.amdhsa_system_vgpr_workitem_id 0
		.amdhsa_next_free_vgpr 21
		.amdhsa_next_free_sgpr 8
		.amdhsa_reserve_vcc 1
		.amdhsa_reserve_flat_scratch 0
		.amdhsa_float_round_mode_32 0
		.amdhsa_float_round_mode_16_64 0
		.amdhsa_float_denorm_mode_32 3
		.amdhsa_float_denorm_mode_16_64 3
		.amdhsa_dx10_clamp 1
		.amdhsa_ieee_mode 1
		.amdhsa_fp16_overflow 0
		.amdhsa_workgroup_processor_mode 1
		.amdhsa_memory_ordered 1
		.amdhsa_forward_progress 1
		.amdhsa_shared_vgpr_count 0
		.amdhsa_exception_fp_ieee_invalid_op 0
		.amdhsa_exception_fp_denorm_src 0
		.amdhsa_exception_fp_ieee_div_zero 0
		.amdhsa_exception_fp_ieee_overflow 0
		.amdhsa_exception_fp_ieee_underflow 0
		.amdhsa_exception_fp_ieee_inexact 0
		.amdhsa_exception_int_div_zero 0
	.end_amdhsa_kernel
	.section	.text._Z19sort_keys_segmentedILj256ELj64ELj1ExN10test_utils4lessEEvPKT2_PS2_PKjT3_,"axG",@progbits,_Z19sort_keys_segmentedILj256ELj64ELj1ExN10test_utils4lessEEvPKT2_PS2_PKjT3_,comdat
.Lfunc_end182:
	.size	_Z19sort_keys_segmentedILj256ELj64ELj1ExN10test_utils4lessEEvPKT2_PS2_PKjT3_, .Lfunc_end182-_Z19sort_keys_segmentedILj256ELj64ELj1ExN10test_utils4lessEEvPKT2_PS2_PKjT3_
                                        ; -- End function
	.set _Z19sort_keys_segmentedILj256ELj64ELj1ExN10test_utils4lessEEvPKT2_PS2_PKjT3_.num_vgpr, 21
	.set _Z19sort_keys_segmentedILj256ELj64ELj1ExN10test_utils4lessEEvPKT2_PS2_PKjT3_.num_agpr, 0
	.set _Z19sort_keys_segmentedILj256ELj64ELj1ExN10test_utils4lessEEvPKT2_PS2_PKjT3_.numbered_sgpr, 8
	.set _Z19sort_keys_segmentedILj256ELj64ELj1ExN10test_utils4lessEEvPKT2_PS2_PKjT3_.num_named_barrier, 0
	.set _Z19sort_keys_segmentedILj256ELj64ELj1ExN10test_utils4lessEEvPKT2_PS2_PKjT3_.private_seg_size, 0
	.set _Z19sort_keys_segmentedILj256ELj64ELj1ExN10test_utils4lessEEvPKT2_PS2_PKjT3_.uses_vcc, 1
	.set _Z19sort_keys_segmentedILj256ELj64ELj1ExN10test_utils4lessEEvPKT2_PS2_PKjT3_.uses_flat_scratch, 0
	.set _Z19sort_keys_segmentedILj256ELj64ELj1ExN10test_utils4lessEEvPKT2_PS2_PKjT3_.has_dyn_sized_stack, 0
	.set _Z19sort_keys_segmentedILj256ELj64ELj1ExN10test_utils4lessEEvPKT2_PS2_PKjT3_.has_recursion, 0
	.set _Z19sort_keys_segmentedILj256ELj64ELj1ExN10test_utils4lessEEvPKT2_PS2_PKjT3_.has_indirect_call, 0
	.section	.AMDGPU.csdata,"",@progbits
; Kernel info:
; codeLenInByte = 2164
; TotalNumSgprs: 10
; NumVgprs: 21
; ScratchSize: 0
; MemoryBound: 0
; FloatMode: 240
; IeeeMode: 1
; LDSByteSize: 2080 bytes/workgroup (compile time only)
; SGPRBlocks: 0
; VGPRBlocks: 2
; NumSGPRsForWavesPerEU: 10
; NumVGPRsForWavesPerEU: 21
; Occupancy: 16
; WaveLimiterHint : 0
; COMPUTE_PGM_RSRC2:SCRATCH_EN: 0
; COMPUTE_PGM_RSRC2:USER_SGPR: 6
; COMPUTE_PGM_RSRC2:TRAP_HANDLER: 0
; COMPUTE_PGM_RSRC2:TGID_X_EN: 1
; COMPUTE_PGM_RSRC2:TGID_Y_EN: 0
; COMPUTE_PGM_RSRC2:TGID_Z_EN: 0
; COMPUTE_PGM_RSRC2:TIDIG_COMP_CNT: 0
	.section	.text._Z20sort_pairs_segmentedILj256ELj64ELj1ExN10test_utils4lessEEvPKT2_PS2_PKjT3_,"axG",@progbits,_Z20sort_pairs_segmentedILj256ELj64ELj1ExN10test_utils4lessEEvPKT2_PS2_PKjT3_,comdat
	.protected	_Z20sort_pairs_segmentedILj256ELj64ELj1ExN10test_utils4lessEEvPKT2_PS2_PKjT3_ ; -- Begin function _Z20sort_pairs_segmentedILj256ELj64ELj1ExN10test_utils4lessEEvPKT2_PS2_PKjT3_
	.globl	_Z20sort_pairs_segmentedILj256ELj64ELj1ExN10test_utils4lessEEvPKT2_PS2_PKjT3_
	.p2align	8
	.type	_Z20sort_pairs_segmentedILj256ELj64ELj1ExN10test_utils4lessEEvPKT2_PS2_PKjT3_,@function
_Z20sort_pairs_segmentedILj256ELj64ELj1ExN10test_utils4lessEEvPKT2_PS2_PKjT3_: ; @_Z20sort_pairs_segmentedILj256ELj64ELj1ExN10test_utils4lessEEvPKT2_PS2_PKjT3_
; %bb.0:
	s_load_dwordx2 s[0:1], s[4:5], 0x10
	v_lshrrev_b32_e32 v14, 6, v0
	v_mov_b32_e32 v1, 0
	v_mbcnt_lo_u32_b32 v5, -1, 0
	v_lshl_or_b32 v0, s6, 2, v14
	s_load_dwordx4 s[4:7], s[4:5], 0x0
	v_lshlrev_b32_e32 v8, 3, v5
	v_lshlrev_b64 v[2:3], 2, v[0:1]
	v_lshlrev_b32_e32 v0, 6, v0
	v_lshlrev_b64 v[0:1], 3, v[0:1]
	s_waitcnt lgkmcnt(0)
	v_add_co_u32 v2, vcc_lo, s0, v2
	v_add_co_ci_u32_e64 v3, null, s1, v3, vcc_lo
	global_load_dword v4, v[2:3], off
                                        ; implicit-def: $vgpr2_vgpr3
	s_waitcnt vmcnt(0)
	v_cmp_lt_u32_e32 vcc_lo, v5, v4
	s_and_saveexec_b32 s1, vcc_lo
	s_cbranch_execz .LBB183_2
; %bb.1:
	v_add_co_u32 v2, s0, s4, v0
	v_add_co_ci_u32_e64 v3, null, s5, v1, s0
	v_add_co_u32 v2, s0, v2, v8
	v_add_co_ci_u32_e64 v3, null, 0, v3, s0
	global_load_dwordx2 v[2:3], v[2:3], off
.LBB183_2:
	s_or_b32 exec_lo, exec_lo, s1
	v_and_b32_e32 v6, 30, v5
	v_and_b32_e32 v9, 1, v5
	s_mov_b32 s1, exec_lo
	; wave barrier
	v_min_i32_e32 v7, v4, v6
	v_add_nc_u32_e32 v6, 1, v7
	v_lshlrev_b32_e32 v16, 3, v7
	v_min_i32_e32 v11, v4, v6
	v_add_nc_u32_e32 v6, 1, v11
	v_sub_nc_u32_e32 v15, v11, v7
	v_min_i32_e32 v12, v4, v6
	v_min_i32_e32 v6, v4, v9
	v_sub_nc_u32_e32 v9, v12, v11
	v_min_i32_e32 v15, v6, v15
	v_sub_nc_u32_e32 v10, v6, v9
	v_cmp_ge_i32_e64 s0, v6, v9
	v_mul_u32_u24_e32 v9, 0x208, v14
	v_cndmask_b32_e64 v13, 0, v10, s0
	v_mad_u32_u24 v10, 0x208, v14, v8
	v_mad_u32_u24 v14, 0x208, v14, v16
	s_waitcnt vmcnt(0)
	ds_write_b64 v10, v[2:3]
	; wave barrier
	v_cmpx_lt_i32_e64 v13, v15
	s_cbranch_execz .LBB183_6
; %bb.3:
	v_lshlrev_b32_e32 v16, 3, v11
	v_lshlrev_b32_e32 v17, 3, v6
	s_mov_b32 s2, 0
	v_add3_u32 v16, v9, v16, v17
	.p2align	6
.LBB183_4:                              ; =>This Inner Loop Header: Depth=1
	v_sub_nc_u32_e32 v17, v15, v13
	v_lshrrev_b32_e32 v17, 1, v17
	v_add_nc_u32_e32 v21, v17, v13
	v_not_b32_e32 v17, v21
	v_lshl_add_u32 v18, v21, 3, v14
	v_lshl_add_u32 v19, v17, 3, v16
	ds_read_b64 v[17:18], v18
	ds_read_b64 v[19:20], v19
	s_waitcnt lgkmcnt(0)
	v_cmp_lt_i64_e64 s0, v[19:20], v[17:18]
	v_add_nc_u32_e32 v17, 1, v21
	v_cndmask_b32_e64 v15, v15, v21, s0
	v_cndmask_b32_e64 v13, v17, v13, s0
	v_cmp_ge_i32_e64 s0, v13, v15
	s_or_b32 s2, s0, s2
	s_andn2_b32 exec_lo, exec_lo, s2
	s_cbranch_execnz .LBB183_4
; %bb.5:
	s_or_b32 exec_lo, exec_lo, s2
.LBB183_6:
	s_or_b32 exec_lo, exec_lo, s1
	v_add_nc_u32_e32 v6, v11, v6
	v_add_nc_u32_e32 v7, v13, v7
	v_add_co_u32 v2, s3, v2, 1
	v_add_co_ci_u32_e64 v3, null, 0, v3, s3
	v_sub_nc_u32_e32 v18, v6, v13
	v_lshl_add_u32 v6, v13, 3, v14
	v_cmp_le_i32_e64 s0, v11, v7
	v_lshl_add_u32 v16, v18, 3, v9
	v_cmp_gt_i32_e64 s1, v12, v18
	ds_read_b64 v[14:15], v6
	ds_read_b64 v[16:17], v16
	v_and_b32_e32 v6, 28, v5
	; wave barrier
	ds_write_b64 v10, v[2:3]
	v_and_b32_e32 v2, 3, v5
	v_min_i32_e32 v6, v4, v6
	; wave barrier
	v_add_nc_u32_e32 v13, 2, v6
	v_min_i32_e32 v11, v4, v13
	s_waitcnt lgkmcnt(1)
	v_cmp_lt_i64_e64 s2, v[16:17], v[14:15]
	v_add_nc_u32_e32 v12, 2, v11
	v_min_i32_e32 v12, v4, v12
	s_or_b32 s0, s0, s2
	s_mov_b32 s2, 0
	s_and_b32 s0, s1, s0
	v_cndmask_b32_e64 v7, v7, v18, s0
	v_sub_nc_u32_e32 v13, v12, v11
	v_cndmask_b32_e64 v17, v15, v17, s0
	v_sub_nc_u32_e32 v18, v11, v6
	v_cndmask_b32_e64 v16, v14, v16, s0
	v_lshl_add_u32 v3, v7, 3, v9
	v_min_i32_e32 v7, v4, v2
	v_lshl_add_u32 v14, v6, 3, v9
	ds_read_b64 v[2:3], v3
	v_sub_nc_u32_e32 v15, v7, v13
	v_cmp_ge_i32_e64 s1, v7, v13
	; wave barrier
	ds_write_b64 v10, v[16:17]
	v_cndmask_b32_e64 v13, 0, v15, s1
	v_min_i32_e32 v15, v7, v18
	s_mov_b32 s1, exec_lo
	; wave barrier
	v_cmpx_lt_i32_e64 v13, v15
	s_cbranch_execz .LBB183_10
; %bb.7:
	v_lshlrev_b32_e32 v16, 3, v11
	v_lshlrev_b32_e32 v17, 3, v7
	v_add3_u32 v16, v9, v16, v17
	.p2align	6
.LBB183_8:                              ; =>This Inner Loop Header: Depth=1
	v_sub_nc_u32_e32 v17, v15, v13
	v_lshrrev_b32_e32 v17, 1, v17
	v_add_nc_u32_e32 v21, v17, v13
	v_not_b32_e32 v17, v21
	v_lshl_add_u32 v18, v21, 3, v14
	v_lshl_add_u32 v19, v17, 3, v16
	ds_read_b64 v[17:18], v18
	ds_read_b64 v[19:20], v19
	s_waitcnt lgkmcnt(0)
	v_cmp_lt_i64_e64 s0, v[19:20], v[17:18]
	v_add_nc_u32_e32 v17, 1, v21
	v_cndmask_b32_e64 v15, v15, v21, s0
	v_cndmask_b32_e64 v13, v17, v13, s0
	v_cmp_ge_i32_e64 s0, v13, v15
	s_or_b32 s2, s0, s2
	s_andn2_b32 exec_lo, exec_lo, s2
	s_cbranch_execnz .LBB183_8
; %bb.9:
	s_or_b32 exec_lo, exec_lo, s2
.LBB183_10:
	s_or_b32 exec_lo, exec_lo, s1
	v_add_nc_u32_e32 v7, v11, v7
	v_add_nc_u32_e32 v6, v13, v6
	v_sub_nc_u32_e32 v18, v7, v13
	v_lshl_add_u32 v7, v13, 3, v14
	v_cmp_le_i32_e64 s1, v11, v6
	v_lshl_add_u32 v16, v18, 3, v9
	v_cmp_gt_i32_e64 s2, v12, v18
	ds_read_b64 v[14:15], v7
	ds_read_b64 v[16:17], v16
	v_and_b32_e32 v7, 24, v5
	; wave barrier
	s_waitcnt lgkmcnt(3)
	ds_write_b64 v10, v[2:3]
	v_and_b32_e32 v2, 7, v5
	v_min_i32_e32 v7, v4, v7
	; wave barrier
	v_add_nc_u32_e32 v13, 4, v7
	v_min_i32_e32 v11, v4, v13
	s_waitcnt lgkmcnt(1)
	v_cmp_lt_i64_e64 s0, v[16:17], v[14:15]
	v_add_nc_u32_e32 v12, 4, v11
	v_min_i32_e32 v12, v4, v12
	s_or_b32 s0, s1, s0
	s_and_b32 s0, s2, s0
	s_mov_b32 s2, 0
	v_cndmask_b32_e64 v6, v6, v18, s0
	v_sub_nc_u32_e32 v13, v12, v11
	v_cndmask_b32_e64 v17, v15, v17, s0
	v_sub_nc_u32_e32 v18, v11, v7
	v_cndmask_b32_e64 v16, v14, v16, s0
	v_lshl_add_u32 v3, v6, 3, v9
	v_min_i32_e32 v6, v4, v2
	v_lshl_add_u32 v14, v7, 3, v9
	ds_read_b64 v[2:3], v3
	v_sub_nc_u32_e32 v15, v6, v13
	v_cmp_ge_i32_e64 s1, v6, v13
	; wave barrier
	ds_write_b64 v10, v[16:17]
	v_cndmask_b32_e64 v13, 0, v15, s1
	v_min_i32_e32 v15, v6, v18
	s_mov_b32 s1, exec_lo
	; wave barrier
	v_cmpx_lt_i32_e64 v13, v15
	s_cbranch_execz .LBB183_14
; %bb.11:
	v_lshlrev_b32_e32 v16, 3, v11
	v_lshlrev_b32_e32 v17, 3, v6
	v_add3_u32 v16, v9, v16, v17
	.p2align	6
.LBB183_12:                             ; =>This Inner Loop Header: Depth=1
	v_sub_nc_u32_e32 v17, v15, v13
	v_lshrrev_b32_e32 v17, 1, v17
	v_add_nc_u32_e32 v21, v17, v13
	v_not_b32_e32 v17, v21
	v_lshl_add_u32 v18, v21, 3, v14
	v_lshl_add_u32 v19, v17, 3, v16
	ds_read_b64 v[17:18], v18
	ds_read_b64 v[19:20], v19
	s_waitcnt lgkmcnt(0)
	v_cmp_lt_i64_e64 s0, v[19:20], v[17:18]
	v_add_nc_u32_e32 v17, 1, v21
	v_cndmask_b32_e64 v15, v15, v21, s0
	v_cndmask_b32_e64 v13, v17, v13, s0
	v_cmp_ge_i32_e64 s0, v13, v15
	s_or_b32 s2, s0, s2
	s_andn2_b32 exec_lo, exec_lo, s2
	s_cbranch_execnz .LBB183_12
; %bb.13:
	s_or_b32 exec_lo, exec_lo, s2
.LBB183_14:
	s_or_b32 exec_lo, exec_lo, s1
	v_add_nc_u32_e32 v6, v11, v6
	v_sub_nc_u32_e32 v18, v6, v13
	v_lshl_add_u32 v6, v13, 3, v14
	v_add_nc_u32_e32 v13, v13, v7
	v_lshl_add_u32 v16, v18, 3, v9
	v_cmp_gt_i32_e64 s2, v12, v18
	v_cmp_le_i32_e64 s1, v11, v13
	ds_read_b64 v[14:15], v6
	ds_read_b64 v[16:17], v16
	v_and_b32_e32 v6, 16, v5
	; wave barrier
	s_waitcnt lgkmcnt(3)
	ds_write_b64 v10, v[2:3]
	v_and_b32_e32 v2, 15, v5
	v_min_i32_e32 v6, v4, v6
	; wave barrier
	v_add_nc_u32_e32 v7, 8, v6
	v_min_i32_e32 v7, v4, v7
	s_waitcnt lgkmcnt(1)
	v_cmp_lt_i64_e64 s0, v[16:17], v[14:15]
	v_add_nc_u32_e32 v11, 8, v7
	s_or_b32 s0, s1, s0
	s_and_b32 s0, s2, s0
	s_mov_b32 s2, 0
	v_cndmask_b32_e64 v12, v13, v18, s0
	v_min_i32_e32 v13, v4, v11
	v_min_i32_e32 v11, v4, v2
	v_cndmask_b32_e64 v17, v15, v17, s0
	v_sub_nc_u32_e32 v18, v7, v6
	v_lshl_add_u32 v3, v12, 3, v9
	v_sub_nc_u32_e32 v12, v13, v7
	v_cndmask_b32_e64 v16, v14, v16, s0
	v_lshl_add_u32 v14, v6, 3, v9
	ds_read_b64 v[2:3], v3
	v_sub_nc_u32_e32 v15, v11, v12
	v_cmp_ge_i32_e64 s1, v11, v12
	; wave barrier
	ds_write_b64 v10, v[16:17]
	v_cndmask_b32_e64 v12, 0, v15, s1
	v_min_i32_e32 v15, v11, v18
	s_mov_b32 s1, exec_lo
	; wave barrier
	v_cmpx_lt_i32_e64 v12, v15
	s_cbranch_execz .LBB183_18
; %bb.15:
	v_lshlrev_b32_e32 v16, 3, v7
	v_lshlrev_b32_e32 v17, 3, v11
	v_add3_u32 v16, v9, v16, v17
	.p2align	6
.LBB183_16:                             ; =>This Inner Loop Header: Depth=1
	v_sub_nc_u32_e32 v17, v15, v12
	v_lshrrev_b32_e32 v17, 1, v17
	v_add_nc_u32_e32 v21, v17, v12
	v_not_b32_e32 v17, v21
	v_lshl_add_u32 v18, v21, 3, v14
	v_lshl_add_u32 v19, v17, 3, v16
	ds_read_b64 v[17:18], v18
	ds_read_b64 v[19:20], v19
	s_waitcnt lgkmcnt(0)
	v_cmp_lt_i64_e64 s0, v[19:20], v[17:18]
	v_add_nc_u32_e32 v17, 1, v21
	v_cndmask_b32_e64 v15, v15, v21, s0
	v_cndmask_b32_e64 v12, v17, v12, s0
	v_cmp_ge_i32_e64 s0, v12, v15
	s_or_b32 s2, s0, s2
	s_andn2_b32 exec_lo, exec_lo, s2
	s_cbranch_execnz .LBB183_16
; %bb.17:
	s_or_b32 exec_lo, exec_lo, s2
.LBB183_18:
	s_or_b32 exec_lo, exec_lo, s1
	v_add_nc_u32_e32 v11, v7, v11
	v_add_nc_u32_e32 v6, v12, v6
	v_min_i32_e32 v5, v4, v5
	v_sub_nc_u32_e32 v15, v11, v12
	v_lshl_add_u32 v11, v12, 3, v14
	v_cmp_le_i32_e64 s1, v7, v6
	v_lshl_add_u32 v14, v15, 3, v9
	v_cmp_gt_i32_e64 s2, v13, v15
	ds_read_b64 v[16:17], v11
	ds_read_b64 v[18:19], v14
	v_min_i32_e32 v11, 0, v4
	; wave barrier
	s_waitcnt lgkmcnt(3)
	ds_write_b64 v10, v[2:3]
	v_add_nc_u32_e32 v12, 16, v11
	; wave barrier
	v_min_i32_e32 v12, v4, v12
	v_add_nc_u32_e32 v7, 16, v12
	s_waitcnt lgkmcnt(1)
	v_cmp_lt_i64_e64 s0, v[18:19], v[16:17]
	v_min_i32_e32 v13, v4, v7
	s_or_b32 s0, s1, s0
	s_and_b32 s0, s2, s0
	s_mov_b32 s2, 0
	v_cndmask_b32_e64 v6, v6, v15, s0
	v_sub_nc_u32_e32 v15, v12, v11
	v_cndmask_b32_e64 v17, v17, v19, s0
	v_cndmask_b32_e64 v16, v16, v18, s0
	v_lshl_add_u32 v2, v6, 3, v9
	v_sub_nc_u32_e32 v6, v13, v12
	v_min_i32_e32 v15, v5, v15
	ds_read_b64 v[2:3], v2
	v_sub_nc_u32_e32 v7, v5, v6
	v_cmp_ge_i32_e64 s1, v5, v6
	v_lshl_add_u32 v6, v11, 3, v9
	; wave barrier
	ds_write_b64 v10, v[16:17]
	v_cndmask_b32_e64 v14, 0, v7, s1
	v_lshlrev_b32_e32 v7, 3, v5
	s_mov_b32 s1, exec_lo
	; wave barrier
	v_cmpx_lt_i32_e64 v14, v15
	s_cbranch_execz .LBB183_22
; %bb.19:
	v_lshlrev_b32_e32 v16, 3, v12
	v_add3_u32 v16, v9, v16, v7
	.p2align	6
.LBB183_20:                             ; =>This Inner Loop Header: Depth=1
	v_sub_nc_u32_e32 v17, v15, v14
	v_lshrrev_b32_e32 v17, 1, v17
	v_add_nc_u32_e32 v21, v17, v14
	v_not_b32_e32 v17, v21
	v_lshl_add_u32 v18, v21, 3, v6
	v_lshl_add_u32 v19, v17, 3, v16
	ds_read_b64 v[17:18], v18
	ds_read_b64 v[19:20], v19
	s_waitcnt lgkmcnt(0)
	v_cmp_lt_i64_e64 s0, v[19:20], v[17:18]
	v_add_nc_u32_e32 v17, 1, v21
	v_cndmask_b32_e64 v15, v15, v21, s0
	v_cndmask_b32_e64 v14, v17, v14, s0
	v_cmp_ge_i32_e64 s0, v14, v15
	s_or_b32 s2, s0, s2
	s_andn2_b32 exec_lo, exec_lo, s2
	s_cbranch_execnz .LBB183_20
; %bb.21:
	s_or_b32 exec_lo, exec_lo, s2
.LBB183_22:
	s_or_b32 exec_lo, exec_lo, s1
	v_add_nc_u32_e32 v15, v12, v5
	v_add_nc_u32_e32 v20, 32, v11
	v_sub_nc_u32_e32 v19, v15, v14
	v_lshl_add_u32 v15, v14, 3, v6
	v_add_nc_u32_e32 v14, v14, v11
	v_lshl_add_u32 v17, v19, 3, v9
	v_cmp_gt_i32_e64 s2, v13, v19
	v_cmp_le_i32_e64 s1, v12, v14
	v_min_i32_e32 v12, v4, v20
	ds_read_b64 v[15:16], v15
	ds_read_b64 v[17:18], v17
	; wave barrier
	s_waitcnt lgkmcnt(3)
	ds_write_b64 v10, v[2:3]
	v_add_nc_u32_e32 v13, 32, v12
	; wave barrier
	v_min_i32_e32 v13, v4, v13
	s_waitcnt lgkmcnt(1)
	v_cmp_lt_i64_e64 s0, v[17:18], v[15:16]
	s_or_b32 s0, s1, s0
	s_and_b32 s0, s2, s0
	s_mov_b32 s2, 0
	v_cndmask_b32_e64 v14, v14, v19, s0
	v_cndmask_b32_e64 v16, v16, v18, s0
	v_sub_nc_u32_e32 v18, v12, v11
	v_cndmask_b32_e64 v15, v15, v17, s0
	v_lshl_add_u32 v4, v14, 3, v9
	v_sub_nc_u32_e32 v14, v13, v12
	ds_read_b64 v[2:3], v4
	v_sub_nc_u32_e32 v4, v5, v14
	v_cmp_ge_i32_e64 s1, v5, v14
	; wave barrier
	ds_write_b64 v10, v[15:16]
	v_cndmask_b32_e64 v14, 0, v4, s1
	v_min_i32_e32 v4, v5, v18
	s_mov_b32 s1, exec_lo
	; wave barrier
	v_cmpx_lt_i32_e64 v14, v4
	s_cbranch_execz .LBB183_26
; %bb.23:
	v_lshlrev_b32_e32 v15, 3, v12
	v_add3_u32 v7, v9, v15, v7
	.p2align	6
.LBB183_24:                             ; =>This Inner Loop Header: Depth=1
	v_sub_nc_u32_e32 v15, v4, v14
	v_lshrrev_b32_e32 v15, 1, v15
	v_add_nc_u32_e32 v19, v15, v14
	v_not_b32_e32 v15, v19
	v_lshl_add_u32 v16, v19, 3, v6
	v_lshl_add_u32 v17, v15, 3, v7
	ds_read_b64 v[15:16], v16
	ds_read_b64 v[17:18], v17
	s_waitcnt lgkmcnt(0)
	v_cmp_lt_i64_e64 s0, v[17:18], v[15:16]
	v_add_nc_u32_e32 v15, 1, v19
	v_cndmask_b32_e64 v4, v4, v19, s0
	v_cndmask_b32_e64 v14, v15, v14, s0
	v_cmp_ge_i32_e64 s0, v14, v4
	s_or_b32 s2, s0, s2
	s_andn2_b32 exec_lo, exec_lo, s2
	s_cbranch_execnz .LBB183_24
; %bb.25:
	s_or_b32 exec_lo, exec_lo, s2
.LBB183_26:
	s_or_b32 exec_lo, exec_lo, s1
	v_add_nc_u32_e32 v4, v12, v5
	v_sub_nc_u32_e32 v15, v4, v14
	v_lshl_add_u32 v4, v14, 3, v6
	v_lshl_add_u32 v6, v15, 3, v9
	ds_read_b64 v[4:5], v4
	ds_read_b64 v[6:7], v6
	; wave barrier
	s_waitcnt lgkmcnt(3)
	ds_write_b64 v10, v[2:3]
	; wave barrier
	s_and_saveexec_b32 s0, vcc_lo
	s_cbranch_execz .LBB183_28
; %bb.27:
	v_add_nc_u32_e32 v2, v14, v11
	s_waitcnt lgkmcnt(1)
	v_cmp_lt_i64_e32 vcc_lo, v[6:7], v[4:5]
	v_cmp_gt_i32_e64 s1, v13, v15
	v_cmp_le_i32_e64 s0, v12, v2
	s_or_b32 s0, s0, vcc_lo
	s_and_b32 vcc_lo, s1, s0
	v_cndmask_b32_e32 v2, v2, v15, vcc_lo
	v_cndmask_b32_e32 v4, v4, v6, vcc_lo
	;; [unrolled: 1-line block ×3, first 2 shown]
	v_add_co_u32 v6, vcc_lo, s6, v0
	v_lshl_add_u32 v2, v2, 3, v9
	v_add_co_ci_u32_e64 v7, null, s7, v1, vcc_lo
	ds_read_b64 v[2:3], v2
	s_waitcnt lgkmcnt(0)
	v_add_co_u32 v0, vcc_lo, v2, v4
	v_add_co_ci_u32_e64 v1, null, v3, v5, vcc_lo
	v_add_co_u32 v2, vcc_lo, v6, v8
	v_add_co_ci_u32_e64 v3, null, 0, v7, vcc_lo
	global_store_dwordx2 v[2:3], v[0:1], off
.LBB183_28:
	s_endpgm
	.section	.rodata,"a",@progbits
	.p2align	6, 0x0
	.amdhsa_kernel _Z20sort_pairs_segmentedILj256ELj64ELj1ExN10test_utils4lessEEvPKT2_PS2_PKjT3_
		.amdhsa_group_segment_fixed_size 2080
		.amdhsa_private_segment_fixed_size 0
		.amdhsa_kernarg_size 28
		.amdhsa_user_sgpr_count 6
		.amdhsa_user_sgpr_private_segment_buffer 1
		.amdhsa_user_sgpr_dispatch_ptr 0
		.amdhsa_user_sgpr_queue_ptr 0
		.amdhsa_user_sgpr_kernarg_segment_ptr 1
		.amdhsa_user_sgpr_dispatch_id 0
		.amdhsa_user_sgpr_flat_scratch_init 0
		.amdhsa_user_sgpr_private_segment_size 0
		.amdhsa_wavefront_size32 1
		.amdhsa_uses_dynamic_stack 0
		.amdhsa_system_sgpr_private_segment_wavefront_offset 0
		.amdhsa_system_sgpr_workgroup_id_x 1
		.amdhsa_system_sgpr_workgroup_id_y 0
		.amdhsa_system_sgpr_workgroup_id_z 0
		.amdhsa_system_sgpr_workgroup_info 0
		.amdhsa_system_vgpr_workitem_id 0
		.amdhsa_next_free_vgpr 22
		.amdhsa_next_free_sgpr 8
		.amdhsa_reserve_vcc 1
		.amdhsa_reserve_flat_scratch 0
		.amdhsa_float_round_mode_32 0
		.amdhsa_float_round_mode_16_64 0
		.amdhsa_float_denorm_mode_32 3
		.amdhsa_float_denorm_mode_16_64 3
		.amdhsa_dx10_clamp 1
		.amdhsa_ieee_mode 1
		.amdhsa_fp16_overflow 0
		.amdhsa_workgroup_processor_mode 1
		.amdhsa_memory_ordered 1
		.amdhsa_forward_progress 1
		.amdhsa_shared_vgpr_count 0
		.amdhsa_exception_fp_ieee_invalid_op 0
		.amdhsa_exception_fp_denorm_src 0
		.amdhsa_exception_fp_ieee_div_zero 0
		.amdhsa_exception_fp_ieee_overflow 0
		.amdhsa_exception_fp_ieee_underflow 0
		.amdhsa_exception_fp_ieee_inexact 0
		.amdhsa_exception_int_div_zero 0
	.end_amdhsa_kernel
	.section	.text._Z20sort_pairs_segmentedILj256ELj64ELj1ExN10test_utils4lessEEvPKT2_PS2_PKjT3_,"axG",@progbits,_Z20sort_pairs_segmentedILj256ELj64ELj1ExN10test_utils4lessEEvPKT2_PS2_PKjT3_,comdat
.Lfunc_end183:
	.size	_Z20sort_pairs_segmentedILj256ELj64ELj1ExN10test_utils4lessEEvPKT2_PS2_PKjT3_, .Lfunc_end183-_Z20sort_pairs_segmentedILj256ELj64ELj1ExN10test_utils4lessEEvPKT2_PS2_PKjT3_
                                        ; -- End function
	.set _Z20sort_pairs_segmentedILj256ELj64ELj1ExN10test_utils4lessEEvPKT2_PS2_PKjT3_.num_vgpr, 22
	.set _Z20sort_pairs_segmentedILj256ELj64ELj1ExN10test_utils4lessEEvPKT2_PS2_PKjT3_.num_agpr, 0
	.set _Z20sort_pairs_segmentedILj256ELj64ELj1ExN10test_utils4lessEEvPKT2_PS2_PKjT3_.numbered_sgpr, 8
	.set _Z20sort_pairs_segmentedILj256ELj64ELj1ExN10test_utils4lessEEvPKT2_PS2_PKjT3_.num_named_barrier, 0
	.set _Z20sort_pairs_segmentedILj256ELj64ELj1ExN10test_utils4lessEEvPKT2_PS2_PKjT3_.private_seg_size, 0
	.set _Z20sort_pairs_segmentedILj256ELj64ELj1ExN10test_utils4lessEEvPKT2_PS2_PKjT3_.uses_vcc, 1
	.set _Z20sort_pairs_segmentedILj256ELj64ELj1ExN10test_utils4lessEEvPKT2_PS2_PKjT3_.uses_flat_scratch, 0
	.set _Z20sort_pairs_segmentedILj256ELj64ELj1ExN10test_utils4lessEEvPKT2_PS2_PKjT3_.has_dyn_sized_stack, 0
	.set _Z20sort_pairs_segmentedILj256ELj64ELj1ExN10test_utils4lessEEvPKT2_PS2_PKjT3_.has_recursion, 0
	.set _Z20sort_pairs_segmentedILj256ELj64ELj1ExN10test_utils4lessEEvPKT2_PS2_PKjT3_.has_indirect_call, 0
	.section	.AMDGPU.csdata,"",@progbits
; Kernel info:
; codeLenInByte = 2536
; TotalNumSgprs: 10
; NumVgprs: 22
; ScratchSize: 0
; MemoryBound: 0
; FloatMode: 240
; IeeeMode: 1
; LDSByteSize: 2080 bytes/workgroup (compile time only)
; SGPRBlocks: 0
; VGPRBlocks: 2
; NumSGPRsForWavesPerEU: 10
; NumVGPRsForWavesPerEU: 22
; Occupancy: 16
; WaveLimiterHint : 0
; COMPUTE_PGM_RSRC2:SCRATCH_EN: 0
; COMPUTE_PGM_RSRC2:USER_SGPR: 6
; COMPUTE_PGM_RSRC2:TRAP_HANDLER: 0
; COMPUTE_PGM_RSRC2:TGID_X_EN: 1
; COMPUTE_PGM_RSRC2:TGID_Y_EN: 0
; COMPUTE_PGM_RSRC2:TGID_Z_EN: 0
; COMPUTE_PGM_RSRC2:TIDIG_COMP_CNT: 0
	.section	.text._Z9sort_keysILj256ELj64ELj4ExN10test_utils4lessEEvPKT2_PS2_T3_,"axG",@progbits,_Z9sort_keysILj256ELj64ELj4ExN10test_utils4lessEEvPKT2_PS2_T3_,comdat
	.protected	_Z9sort_keysILj256ELj64ELj4ExN10test_utils4lessEEvPKT2_PS2_T3_ ; -- Begin function _Z9sort_keysILj256ELj64ELj4ExN10test_utils4lessEEvPKT2_PS2_T3_
	.globl	_Z9sort_keysILj256ELj64ELj4ExN10test_utils4lessEEvPKT2_PS2_T3_
	.p2align	8
	.type	_Z9sort_keysILj256ELj64ELj4ExN10test_utils4lessEEvPKT2_PS2_T3_,@function
_Z9sort_keysILj256ELj64ELj4ExN10test_utils4lessEEvPKT2_PS2_T3_: ; @_Z9sort_keysILj256ELj64ELj4ExN10test_utils4lessEEvPKT2_PS2_T3_
; %bb.0:
	s_load_dwordx4 s[8:11], s[4:5], 0x0
	s_mov_b32 s3, 0
	s_lshl_b32 s2, s6, 10
	v_lshlrev_b32_e32 v1, 5, v0
	s_lshl_b64 s[4:5], s[2:3], 3
	v_lshlrev_b32_e32 v16, 2, v0
	v_lshrrev_b32_e32 v2, 6, v0
	v_mul_u32_u24_e32 v17, 0x808, v2
	s_waitcnt lgkmcnt(0)
	s_add_u32 s0, s8, s4
	s_addc_u32 s1, s9, s5
	s_clause 0x1
	global_load_dwordx4 v[6:9], v1, s[0:1]
	global_load_dwordx4 v[10:13], v1, s[0:1] offset:16
	v_mbcnt_lo_u32_b32 v1, -1, 0
	; wave barrier
	v_lshlrev_b32_e32 v19, 2, v1
	v_lshlrev_b32_e32 v1, 5, v1
	v_and_b32_e32 v4, 0x78, v19
	v_and_b32_e32 v0, 4, v19
	v_mad_u32_u24 v18, 0x808, v2, v1
	v_or_b32_e32 v21, 4, v4
	v_add_nc_u32_e32 v20, 8, v4
	v_lshlrev_b32_e32 v5, 3, v4
	v_sub_nc_u32_e32 v14, v21, v4
	v_sub_nc_u32_e32 v3, v20, v21
	v_mad_u32_u24 v1, 0x808, v2, v5
	v_min_i32_e32 v2, v0, v14
	v_sub_nc_u32_e32 v15, v0, v3
	v_cmp_ge_i32_e32 vcc_lo, v0, v3
	v_cndmask_b32_e32 v5, 0, v15, vcc_lo
	s_waitcnt vmcnt(1)
	v_cmp_gt_i64_e32 vcc_lo, v[8:9], v[6:7]
	s_waitcnt vmcnt(0)
	v_cmp_lt_i64_e64 s0, v[12:13], v[10:11]
	v_cmp_lt_i64_e64 s1, v[8:9], v[6:7]
	v_cndmask_b32_e32 v15, v7, v9, vcc_lo
	v_cndmask_b32_e32 v14, v6, v8, vcc_lo
	v_cmp_gt_i64_e32 vcc_lo, v[12:13], v[10:11]
	v_cndmask_b32_e64 v23, v11, v13, s0
	v_cndmask_b32_e64 v22, v10, v12, s0
	;; [unrolled: 1-line block ×5, first 2 shown]
	v_cndmask_b32_e32 v25, v11, v13, vcc_lo
	v_cndmask_b32_e64 v6, v6, v8, s1
	v_cmp_gt_i64_e64 s1, v[22:23], v[14:15]
	v_cmp_lt_i64_e64 s2, v[22:23], v[14:15]
	v_cndmask_b32_e32 v24, v10, v12, vcc_lo
	v_cndmask_b32_e64 v26, v12, v10, s0
	v_cndmask_b32_e64 v8, v13, v11, s0
	v_cmp_lt_i64_e32 vcc_lo, v[22:23], v[6:7]
	v_cndmask_b32_e64 v28, v14, v22, s1
	v_cmp_gt_i64_e64 s0, v[14:15], v[24:25]
	v_cndmask_b32_e64 v29, v15, v23, s1
	v_cndmask_b32_e64 v12, v15, v23, s2
	;; [unrolled: 1-line block ×6, first 2 shown]
	v_cndmask_b32_e32 v9, v7, v12, vcc_lo
	v_cndmask_b32_e32 v13, v12, v7, vcc_lo
	;; [unrolled: 1-line block ×3, first 2 shown]
	v_cndmask_b32_e64 v14, v28, v24, s0
	v_cndmask_b32_e64 v23, v27, v23, s2
	;; [unrolled: 1-line block ×4, first 2 shown]
	v_cndmask_b32_e32 v8, v6, v30, vcc_lo
	v_cmp_lt_i64_e64 s1, v[14:15], v[12:13]
	v_cndmask_b32_e32 v23, v23, v7, vcc_lo
	v_cndmask_b32_e32 v3, v3, v6, vcc_lo
	v_cndmask_b32_e64 v22, v10, v25, s0
	v_cndmask_b32_e64 v6, v31, v24, s0
	;; [unrolled: 1-line block ×7, first 2 shown]
	s_mov_b32 s0, exec_lo
	ds_write2_b64 v18, v[8:9], v[14:15] offset1:1
	ds_write2_b64 v18, v[6:7], v[10:11] offset0:2 offset1:3
	; wave barrier
	v_cmpx_lt_i32_e64 v5, v2
	s_cbranch_execz .LBB184_4
; %bb.1:
	v_lshlrev_b32_e32 v3, 3, v21
	v_lshlrev_b32_e32 v6, 3, v0
	v_add3_u32 v3, v17, v3, v6
	.p2align	6
.LBB184_2:                              ; =>This Inner Loop Header: Depth=1
	v_sub_nc_u32_e32 v6, v2, v5
	v_lshrrev_b32_e32 v6, 1, v6
	v_add_nc_u32_e32 v10, v6, v5
	v_not_b32_e32 v6, v10
	v_lshl_add_u32 v7, v10, 3, v1
	v_lshl_add_u32 v8, v6, 3, v3
	ds_read_b64 v[6:7], v7
	ds_read_b64 v[8:9], v8
	s_waitcnt lgkmcnt(0)
	v_cmp_lt_i64_e32 vcc_lo, v[8:9], v[6:7]
	v_add_nc_u32_e32 v6, 1, v10
	v_cndmask_b32_e32 v2, v2, v10, vcc_lo
	v_cndmask_b32_e32 v5, v6, v5, vcc_lo
	v_cmp_ge_i32_e32 vcc_lo, v5, v2
	s_or_b32 s3, vcc_lo, s3
	s_andn2_b32 exec_lo, exec_lo, s3
	s_cbranch_execnz .LBB184_2
; %bb.3:
	s_or_b32 exec_lo, exec_lo, s3
.LBB184_4:
	s_or_b32 exec_lo, exec_lo, s0
	v_add_nc_u32_e32 v0, v21, v0
	v_lshl_add_u32 v6, v5, 3, v1
	v_add_nc_u32_e32 v9, v5, v4
	v_sub_nc_u32_e32 v8, v0, v5
                                        ; implicit-def: $vgpr4_vgpr5
	v_cmp_le_i32_e64 s0, v21, v9
	v_lshl_add_u32 v10, v8, 3, v17
	v_cmp_gt_i32_e64 s1, v20, v8
	ds_read_b64 v[0:1], v6
	ds_read_b64 v[2:3], v10
	s_waitcnt lgkmcnt(0)
	v_cmp_lt_i64_e32 vcc_lo, v[2:3], v[0:1]
	s_or_b32 s0, s0, vcc_lo
	s_and_b32 vcc_lo, s1, s0
	s_xor_b32 s0, vcc_lo, -1
	s_and_saveexec_b32 s1, s0
	s_xor_b32 s0, exec_lo, s1
; %bb.5:
	ds_read_b64 v[4:5], v6 offset:8
                                        ; implicit-def: $vgpr10
; %bb.6:
	s_or_saveexec_b32 s0, s0
	v_mov_b32_e32 v7, v3
	v_mov_b32_e32 v6, v2
	s_xor_b32 exec_lo, exec_lo, s0
	s_cbranch_execz .LBB184_8
; %bb.7:
	ds_read_b64 v[6:7], v10 offset:8
	s_waitcnt lgkmcnt(1)
	v_mov_b32_e32 v5, v1
	v_mov_b32_e32 v4, v0
.LBB184_8:
	s_or_b32 exec_lo, exec_lo, s0
	v_add_nc_u32_e32 v10, 1, v9
	v_add_nc_u32_e32 v11, 1, v8
	s_waitcnt lgkmcnt(0)
	v_cmp_lt_i64_e64 s0, v[6:7], v[4:5]
	v_cndmask_b32_e32 v9, v10, v9, vcc_lo
	v_cndmask_b32_e32 v8, v8, v11, vcc_lo
                                        ; implicit-def: $vgpr10_vgpr11
	v_cmp_ge_i32_e64 s1, v9, v21
	v_cmp_lt_i32_e64 s2, v8, v20
	s_or_b32 s0, s1, s0
	s_and_b32 s0, s2, s0
	s_xor_b32 s1, s0, -1
	s_and_saveexec_b32 s2, s1
	s_xor_b32 s1, exec_lo, s2
; %bb.9:
	v_lshl_add_u32 v10, v9, 3, v17
	ds_read_b64 v[10:11], v10 offset:8
; %bb.10:
	s_or_saveexec_b32 s1, s1
	v_mov_b32_e32 v15, v7
	v_mov_b32_e32 v14, v6
	s_xor_b32 exec_lo, exec_lo, s1
	s_cbranch_execz .LBB184_12
; %bb.11:
	s_waitcnt lgkmcnt(0)
	v_lshl_add_u32 v10, v8, 3, v17
	ds_read_b64 v[14:15], v10 offset:8
	v_mov_b32_e32 v11, v5
	v_mov_b32_e32 v10, v4
.LBB184_12:
	s_or_b32 exec_lo, exec_lo, s1
	v_add_nc_u32_e32 v12, 1, v9
	v_add_nc_u32_e32 v13, 1, v8
	s_waitcnt lgkmcnt(0)
	v_cmp_lt_i64_e64 s1, v[14:15], v[10:11]
	v_cndmask_b32_e64 v22, v12, v9, s0
	v_cndmask_b32_e64 v23, v8, v13, s0
                                        ; implicit-def: $vgpr8_vgpr9
	v_cmp_ge_i32_e64 s2, v22, v21
	v_cmp_lt_i32_e64 s3, v23, v20
	s_or_b32 s1, s2, s1
	s_and_b32 s1, s3, s1
	s_xor_b32 s2, s1, -1
	s_and_saveexec_b32 s3, s2
	s_xor_b32 s2, exec_lo, s3
; %bb.13:
	v_lshl_add_u32 v8, v22, 3, v17
	ds_read_b64 v[8:9], v8 offset:8
; %bb.14:
	s_or_saveexec_b32 s2, s2
	v_mov_b32_e32 v12, v14
	v_mov_b32_e32 v13, v15
	s_xor_b32 exec_lo, exec_lo, s2
	s_cbranch_execz .LBB184_16
; %bb.15:
	s_waitcnt lgkmcnt(0)
	v_lshl_add_u32 v8, v23, 3, v17
	ds_read_b64 v[12:13], v8 offset:8
	v_mov_b32_e32 v8, v10
	v_mov_b32_e32 v9, v11
.LBB184_16:
	s_or_b32 exec_lo, exec_lo, s2
	v_add_nc_u32_e32 v24, 1, v23
	v_add_nc_u32_e32 v25, 1, v22
	v_cndmask_b32_e64 v14, v10, v14, s1
	v_and_b32_e32 v10, 0x70, v19
	v_cndmask_b32_e64 v15, v11, v15, s1
	v_cndmask_b32_e64 v11, v23, v24, s1
	v_cndmask_b32_e64 v24, v25, v22, s1
	v_cndmask_b32_e64 v7, v5, v7, s0
	v_cndmask_b32_e64 v6, v4, v6, s0
	v_or_b32_e32 v23, 8, v10
	v_add_nc_u32_e32 v22, 16, v10
	s_waitcnt lgkmcnt(0)
	v_cmp_lt_i64_e64 s0, v[12:13], v[8:9]
	v_cmp_ge_i32_e64 s1, v24, v21
	v_cmp_lt_i32_e64 s2, v11, v20
	v_cndmask_b32_e32 v25, v1, v3, vcc_lo
	v_and_b32_e32 v1, 12, v19
	v_sub_nc_u32_e32 v3, v22, v23
	s_or_b32 s0, s1, s0
	v_cndmask_b32_e32 v24, v0, v2, vcc_lo
	s_and_b32 vcc_lo, s2, s0
	v_sub_nc_u32_e32 v0, v23, v10
	v_sub_nc_u32_e32 v2, v1, v3
	v_cndmask_b32_e32 v9, v9, v13, vcc_lo
	v_cndmask_b32_e32 v8, v8, v12, vcc_lo
	v_cmp_ge_i32_e32 vcc_lo, v1, v3
	s_mov_b32 s1, 0
	s_mov_b32 s0, exec_lo
	; wave barrier
	v_cndmask_b32_e32 v4, 0, v2, vcc_lo
	v_min_i32_e32 v2, v1, v0
	v_lshl_add_u32 v0, v10, 3, v17
	ds_write2_b64 v18, v[24:25], v[6:7] offset1:1
	ds_write2_b64 v18, v[14:15], v[8:9] offset0:2 offset1:3
	; wave barrier
	v_cmpx_lt_i32_e64 v4, v2
	s_cbranch_execz .LBB184_20
; %bb.17:
	v_lshlrev_b32_e32 v3, 3, v23
	v_lshlrev_b32_e32 v5, 3, v1
	v_add3_u32 v3, v17, v3, v5
	.p2align	6
.LBB184_18:                             ; =>This Inner Loop Header: Depth=1
	v_sub_nc_u32_e32 v5, v2, v4
	v_lshrrev_b32_e32 v5, 1, v5
	v_add_nc_u32_e32 v9, v5, v4
	v_not_b32_e32 v5, v9
	v_lshl_add_u32 v6, v9, 3, v0
	v_lshl_add_u32 v7, v5, 3, v3
	ds_read_b64 v[5:6], v6
	ds_read_b64 v[7:8], v7
	s_waitcnt lgkmcnt(0)
	v_cmp_lt_i64_e32 vcc_lo, v[7:8], v[5:6]
	v_add_nc_u32_e32 v5, 1, v9
	v_cndmask_b32_e32 v2, v2, v9, vcc_lo
	v_cndmask_b32_e32 v4, v5, v4, vcc_lo
	v_cmp_ge_i32_e32 vcc_lo, v4, v2
	s_or_b32 s1, vcc_lo, s1
	s_andn2_b32 exec_lo, exec_lo, s1
	s_cbranch_execnz .LBB184_18
; %bb.19:
	s_or_b32 exec_lo, exec_lo, s1
.LBB184_20:
	s_or_b32 exec_lo, exec_lo, s0
	v_add_nc_u32_e32 v1, v23, v1
	v_lshl_add_u32 v6, v4, 3, v0
	v_add_nc_u32_e32 v9, v4, v10
	v_sub_nc_u32_e32 v8, v1, v4
                                        ; implicit-def: $vgpr4_vgpr5
	v_cmp_le_i32_e64 s0, v23, v9
	v_lshl_add_u32 v11, v8, 3, v17
	v_cmp_gt_i32_e64 s1, v22, v8
	ds_read_b64 v[0:1], v6
	ds_read_b64 v[2:3], v11
	s_waitcnt lgkmcnt(0)
	v_cmp_lt_i64_e32 vcc_lo, v[2:3], v[0:1]
	s_or_b32 s0, s0, vcc_lo
	s_and_b32 vcc_lo, s1, s0
	s_xor_b32 s0, vcc_lo, -1
	s_and_saveexec_b32 s1, s0
	s_xor_b32 s0, exec_lo, s1
; %bb.21:
	ds_read_b64 v[4:5], v6 offset:8
                                        ; implicit-def: $vgpr11
; %bb.22:
	s_or_saveexec_b32 s0, s0
	v_mov_b32_e32 v7, v3
	v_mov_b32_e32 v6, v2
	s_xor_b32 exec_lo, exec_lo, s0
	s_cbranch_execz .LBB184_24
; %bb.23:
	ds_read_b64 v[6:7], v11 offset:8
	s_waitcnt lgkmcnt(1)
	v_mov_b32_e32 v5, v1
	v_mov_b32_e32 v4, v0
.LBB184_24:
	s_or_b32 exec_lo, exec_lo, s0
	v_add_nc_u32_e32 v10, 1, v9
	v_add_nc_u32_e32 v11, 1, v8
	s_waitcnt lgkmcnt(0)
	v_cmp_lt_i64_e64 s0, v[6:7], v[4:5]
	v_cndmask_b32_e32 v9, v10, v9, vcc_lo
	v_cndmask_b32_e32 v8, v8, v11, vcc_lo
                                        ; implicit-def: $vgpr10_vgpr11
	v_cmp_ge_i32_e64 s1, v9, v23
	v_cmp_lt_i32_e64 s2, v8, v22
	s_or_b32 s0, s1, s0
	s_and_b32 s0, s2, s0
	s_xor_b32 s1, s0, -1
	s_and_saveexec_b32 s2, s1
	s_xor_b32 s1, exec_lo, s2
; %bb.25:
	v_lshl_add_u32 v10, v9, 3, v17
	ds_read_b64 v[10:11], v10 offset:8
; %bb.26:
	s_or_saveexec_b32 s1, s1
	v_mov_b32_e32 v15, v7
	v_mov_b32_e32 v14, v6
	s_xor_b32 exec_lo, exec_lo, s1
	s_cbranch_execz .LBB184_28
; %bb.27:
	s_waitcnt lgkmcnt(0)
	v_lshl_add_u32 v10, v8, 3, v17
	ds_read_b64 v[14:15], v10 offset:8
	v_mov_b32_e32 v11, v5
	v_mov_b32_e32 v10, v4
.LBB184_28:
	s_or_b32 exec_lo, exec_lo, s1
	v_add_nc_u32_e32 v12, 1, v9
	v_add_nc_u32_e32 v13, 1, v8
	s_waitcnt lgkmcnt(0)
	v_cmp_lt_i64_e64 s1, v[14:15], v[10:11]
	v_cndmask_b32_e64 v20, v12, v9, s0
	v_cndmask_b32_e64 v21, v8, v13, s0
                                        ; implicit-def: $vgpr8_vgpr9
	v_cmp_ge_i32_e64 s2, v20, v23
	v_cmp_lt_i32_e64 s3, v21, v22
	s_or_b32 s1, s2, s1
	s_and_b32 s1, s3, s1
	s_xor_b32 s2, s1, -1
	s_and_saveexec_b32 s3, s2
	s_xor_b32 s2, exec_lo, s3
; %bb.29:
	v_lshl_add_u32 v8, v20, 3, v17
	ds_read_b64 v[8:9], v8 offset:8
; %bb.30:
	s_or_saveexec_b32 s2, s2
	v_mov_b32_e32 v12, v14
	v_mov_b32_e32 v13, v15
	s_xor_b32 exec_lo, exec_lo, s2
	s_cbranch_execz .LBB184_32
; %bb.31:
	s_waitcnt lgkmcnt(0)
	v_lshl_add_u32 v8, v21, 3, v17
	ds_read_b64 v[12:13], v8 offset:8
	v_mov_b32_e32 v8, v10
	v_mov_b32_e32 v9, v11
.LBB184_32:
	s_or_b32 exec_lo, exec_lo, s2
	v_add_nc_u32_e32 v25, 1, v20
	v_add_nc_u32_e32 v24, 1, v21
	v_cndmask_b32_e64 v14, v10, v14, s1
	v_and_b32_e32 v10, 0x60, v19
	v_cndmask_b32_e64 v15, v11, v15, s1
	v_cndmask_b32_e64 v25, v25, v20, s1
	;; [unrolled: 1-line block ×5, first 2 shown]
	v_or_b32_e32 v21, 16, v10
	v_add_nc_u32_e32 v20, 32, v10
	s_waitcnt lgkmcnt(0)
	v_cmp_lt_i64_e64 s0, v[12:13], v[8:9]
	v_cmp_ge_i32_e64 s1, v25, v23
	v_cmp_lt_i32_e64 s2, v11, v22
	v_cndmask_b32_e32 v24, v1, v3, vcc_lo
	v_and_b32_e32 v1, 28, v19
	v_sub_nc_u32_e32 v3, v20, v21
	s_or_b32 s0, s1, s0
	v_cndmask_b32_e32 v23, v0, v2, vcc_lo
	s_and_b32 vcc_lo, s2, s0
	v_sub_nc_u32_e32 v0, v21, v10
	v_sub_nc_u32_e32 v2, v1, v3
	v_cndmask_b32_e32 v9, v9, v13, vcc_lo
	v_cndmask_b32_e32 v8, v8, v12, vcc_lo
	v_cmp_ge_i32_e32 vcc_lo, v1, v3
	s_mov_b32 s1, 0
	s_mov_b32 s0, exec_lo
	; wave barrier
	v_cndmask_b32_e32 v4, 0, v2, vcc_lo
	v_min_i32_e32 v2, v1, v0
	v_lshl_add_u32 v0, v10, 3, v17
	ds_write2_b64 v18, v[23:24], v[6:7] offset1:1
	ds_write2_b64 v18, v[14:15], v[8:9] offset0:2 offset1:3
	; wave barrier
	v_cmpx_lt_i32_e64 v4, v2
	s_cbranch_execz .LBB184_36
; %bb.33:
	v_lshlrev_b32_e32 v3, 3, v21
	v_lshlrev_b32_e32 v5, 3, v1
	v_add3_u32 v3, v17, v3, v5
	.p2align	6
.LBB184_34:                             ; =>This Inner Loop Header: Depth=1
	v_sub_nc_u32_e32 v5, v2, v4
	v_lshrrev_b32_e32 v5, 1, v5
	v_add_nc_u32_e32 v9, v5, v4
	v_not_b32_e32 v5, v9
	v_lshl_add_u32 v6, v9, 3, v0
	v_lshl_add_u32 v7, v5, 3, v3
	ds_read_b64 v[5:6], v6
	ds_read_b64 v[7:8], v7
	s_waitcnt lgkmcnt(0)
	v_cmp_lt_i64_e32 vcc_lo, v[7:8], v[5:6]
	v_add_nc_u32_e32 v5, 1, v9
	v_cndmask_b32_e32 v2, v2, v9, vcc_lo
	v_cndmask_b32_e32 v4, v5, v4, vcc_lo
	v_cmp_ge_i32_e32 vcc_lo, v4, v2
	s_or_b32 s1, vcc_lo, s1
	s_andn2_b32 exec_lo, exec_lo, s1
	s_cbranch_execnz .LBB184_34
; %bb.35:
	s_or_b32 exec_lo, exec_lo, s1
.LBB184_36:
	s_or_b32 exec_lo, exec_lo, s0
	v_add_nc_u32_e32 v1, v21, v1
	v_lshl_add_u32 v6, v4, 3, v0
	v_add_nc_u32_e32 v9, v4, v10
	v_sub_nc_u32_e32 v8, v1, v4
                                        ; implicit-def: $vgpr4_vgpr5
	v_cmp_le_i32_e64 s0, v21, v9
	v_lshl_add_u32 v11, v8, 3, v17
	v_cmp_gt_i32_e64 s1, v20, v8
	ds_read_b64 v[0:1], v6
	ds_read_b64 v[2:3], v11
	s_waitcnt lgkmcnt(0)
	v_cmp_lt_i64_e32 vcc_lo, v[2:3], v[0:1]
	s_or_b32 s0, s0, vcc_lo
	s_and_b32 vcc_lo, s1, s0
	s_xor_b32 s0, vcc_lo, -1
	s_and_saveexec_b32 s1, s0
	s_xor_b32 s0, exec_lo, s1
; %bb.37:
	ds_read_b64 v[4:5], v6 offset:8
                                        ; implicit-def: $vgpr11
; %bb.38:
	s_or_saveexec_b32 s0, s0
	v_mov_b32_e32 v7, v3
	v_mov_b32_e32 v6, v2
	s_xor_b32 exec_lo, exec_lo, s0
	s_cbranch_execz .LBB184_40
; %bb.39:
	ds_read_b64 v[6:7], v11 offset:8
	s_waitcnt lgkmcnt(1)
	v_mov_b32_e32 v5, v1
	v_mov_b32_e32 v4, v0
.LBB184_40:
	s_or_b32 exec_lo, exec_lo, s0
	v_add_nc_u32_e32 v10, 1, v9
	v_add_nc_u32_e32 v11, 1, v8
	s_waitcnt lgkmcnt(0)
	v_cmp_lt_i64_e64 s0, v[6:7], v[4:5]
	v_cndmask_b32_e32 v9, v10, v9, vcc_lo
	v_cndmask_b32_e32 v8, v8, v11, vcc_lo
                                        ; implicit-def: $vgpr10_vgpr11
	v_cmp_ge_i32_e64 s1, v9, v21
	v_cmp_lt_i32_e64 s2, v8, v20
	s_or_b32 s0, s1, s0
	s_and_b32 s0, s2, s0
	s_xor_b32 s1, s0, -1
	s_and_saveexec_b32 s2, s1
	s_xor_b32 s1, exec_lo, s2
; %bb.41:
	v_lshl_add_u32 v10, v9, 3, v17
	ds_read_b64 v[10:11], v10 offset:8
; %bb.42:
	s_or_saveexec_b32 s1, s1
	v_mov_b32_e32 v15, v7
	v_mov_b32_e32 v14, v6
	s_xor_b32 exec_lo, exec_lo, s1
	s_cbranch_execz .LBB184_44
; %bb.43:
	s_waitcnt lgkmcnt(0)
	v_lshl_add_u32 v10, v8, 3, v17
	ds_read_b64 v[14:15], v10 offset:8
	v_mov_b32_e32 v11, v5
	v_mov_b32_e32 v10, v4
.LBB184_44:
	s_or_b32 exec_lo, exec_lo, s1
	v_add_nc_u32_e32 v12, 1, v9
	v_add_nc_u32_e32 v13, 1, v8
	s_waitcnt lgkmcnt(0)
	v_cmp_lt_i64_e64 s1, v[14:15], v[10:11]
	v_cndmask_b32_e64 v22, v12, v9, s0
	v_cndmask_b32_e64 v23, v8, v13, s0
                                        ; implicit-def: $vgpr8_vgpr9
	v_cmp_ge_i32_e64 s2, v22, v21
	v_cmp_lt_i32_e64 s3, v23, v20
	s_or_b32 s1, s2, s1
	s_and_b32 s1, s3, s1
	s_xor_b32 s2, s1, -1
	s_and_saveexec_b32 s3, s2
	s_xor_b32 s2, exec_lo, s3
; %bb.45:
	v_lshl_add_u32 v8, v22, 3, v17
	ds_read_b64 v[8:9], v8 offset:8
; %bb.46:
	s_or_saveexec_b32 s2, s2
	v_mov_b32_e32 v12, v14
	v_mov_b32_e32 v13, v15
	s_xor_b32 exec_lo, exec_lo, s2
	s_cbranch_execz .LBB184_48
; %bb.47:
	s_waitcnt lgkmcnt(0)
	v_lshl_add_u32 v8, v23, 3, v17
	ds_read_b64 v[12:13], v8 offset:8
	v_mov_b32_e32 v8, v10
	v_mov_b32_e32 v9, v11
.LBB184_48:
	s_or_b32 exec_lo, exec_lo, s2
	v_add_nc_u32_e32 v24, 1, v23
	v_add_nc_u32_e32 v25, 1, v22
	v_cndmask_b32_e64 v14, v10, v14, s1
	v_and_b32_e32 v10, 64, v19
	v_cndmask_b32_e64 v15, v11, v15, s1
	v_cndmask_b32_e64 v11, v23, v24, s1
	;; [unrolled: 1-line block ×5, first 2 shown]
	v_or_b32_e32 v23, 32, v10
	v_add_nc_u32_e32 v22, 64, v10
	s_waitcnt lgkmcnt(0)
	v_cmp_lt_i64_e64 s0, v[12:13], v[8:9]
	v_cmp_ge_i32_e64 s1, v24, v21
	v_cmp_lt_i32_e64 s2, v11, v20
	v_cndmask_b32_e32 v25, v1, v3, vcc_lo
	v_and_b32_e32 v1, 60, v19
	v_sub_nc_u32_e32 v3, v22, v23
	s_or_b32 s0, s1, s0
	v_cndmask_b32_e32 v24, v0, v2, vcc_lo
	s_and_b32 vcc_lo, s2, s0
	v_sub_nc_u32_e32 v0, v23, v10
	v_sub_nc_u32_e32 v2, v1, v3
	v_cndmask_b32_e32 v9, v9, v13, vcc_lo
	v_cndmask_b32_e32 v8, v8, v12, vcc_lo
	v_cmp_ge_i32_e32 vcc_lo, v1, v3
	s_mov_b32 s1, 0
	s_mov_b32 s0, exec_lo
	; wave barrier
	v_cndmask_b32_e32 v4, 0, v2, vcc_lo
	v_min_i32_e32 v2, v1, v0
	v_lshl_add_u32 v0, v10, 3, v17
	ds_write2_b64 v18, v[24:25], v[6:7] offset1:1
	ds_write2_b64 v18, v[14:15], v[8:9] offset0:2 offset1:3
	; wave barrier
	v_cmpx_lt_i32_e64 v4, v2
	s_cbranch_execz .LBB184_52
; %bb.49:
	v_lshlrev_b32_e32 v3, 3, v23
	v_lshlrev_b32_e32 v5, 3, v1
	v_add3_u32 v3, v17, v3, v5
	.p2align	6
.LBB184_50:                             ; =>This Inner Loop Header: Depth=1
	v_sub_nc_u32_e32 v5, v2, v4
	v_lshrrev_b32_e32 v5, 1, v5
	v_add_nc_u32_e32 v9, v5, v4
	v_not_b32_e32 v5, v9
	v_lshl_add_u32 v6, v9, 3, v0
	v_lshl_add_u32 v7, v5, 3, v3
	ds_read_b64 v[5:6], v6
	ds_read_b64 v[7:8], v7
	s_waitcnt lgkmcnt(0)
	v_cmp_lt_i64_e32 vcc_lo, v[7:8], v[5:6]
	v_add_nc_u32_e32 v5, 1, v9
	v_cndmask_b32_e32 v2, v2, v9, vcc_lo
	v_cndmask_b32_e32 v4, v5, v4, vcc_lo
	v_cmp_ge_i32_e32 vcc_lo, v4, v2
	s_or_b32 s1, vcc_lo, s1
	s_andn2_b32 exec_lo, exec_lo, s1
	s_cbranch_execnz .LBB184_50
; %bb.51:
	s_or_b32 exec_lo, exec_lo, s1
.LBB184_52:
	s_or_b32 exec_lo, exec_lo, s0
	v_add_nc_u32_e32 v1, v23, v1
	v_lshl_add_u32 v6, v4, 3, v0
	v_add_nc_u32_e32 v9, v4, v10
	v_sub_nc_u32_e32 v8, v1, v4
                                        ; implicit-def: $vgpr4_vgpr5
	v_cmp_le_i32_e64 s0, v23, v9
	v_lshl_add_u32 v11, v8, 3, v17
	v_cmp_gt_i32_e64 s1, v22, v8
	ds_read_b64 v[0:1], v6
	ds_read_b64 v[2:3], v11
	s_waitcnt lgkmcnt(0)
	v_cmp_lt_i64_e32 vcc_lo, v[2:3], v[0:1]
	s_or_b32 s0, s0, vcc_lo
	s_and_b32 vcc_lo, s1, s0
	s_xor_b32 s0, vcc_lo, -1
	s_and_saveexec_b32 s1, s0
	s_xor_b32 s0, exec_lo, s1
; %bb.53:
	ds_read_b64 v[4:5], v6 offset:8
                                        ; implicit-def: $vgpr11
; %bb.54:
	s_or_saveexec_b32 s0, s0
	v_mov_b32_e32 v7, v3
	v_mov_b32_e32 v6, v2
	s_xor_b32 exec_lo, exec_lo, s0
	s_cbranch_execz .LBB184_56
; %bb.55:
	ds_read_b64 v[6:7], v11 offset:8
	s_waitcnt lgkmcnt(1)
	v_mov_b32_e32 v5, v1
	v_mov_b32_e32 v4, v0
.LBB184_56:
	s_or_b32 exec_lo, exec_lo, s0
	v_add_nc_u32_e32 v10, 1, v9
	v_add_nc_u32_e32 v11, 1, v8
	s_waitcnt lgkmcnt(0)
	v_cmp_lt_i64_e64 s0, v[6:7], v[4:5]
	v_cndmask_b32_e32 v9, v10, v9, vcc_lo
	v_cndmask_b32_e32 v8, v8, v11, vcc_lo
                                        ; implicit-def: $vgpr10_vgpr11
	v_cmp_ge_i32_e64 s1, v9, v23
	v_cmp_lt_i32_e64 s2, v8, v22
	s_or_b32 s0, s1, s0
	s_and_b32 s0, s2, s0
	s_xor_b32 s1, s0, -1
	s_and_saveexec_b32 s2, s1
	s_xor_b32 s1, exec_lo, s2
; %bb.57:
	v_lshl_add_u32 v10, v9, 3, v17
	ds_read_b64 v[10:11], v10 offset:8
; %bb.58:
	s_or_saveexec_b32 s1, s1
	v_mov_b32_e32 v15, v7
	v_mov_b32_e32 v14, v6
	s_xor_b32 exec_lo, exec_lo, s1
	s_cbranch_execz .LBB184_60
; %bb.59:
	s_waitcnt lgkmcnt(0)
	v_lshl_add_u32 v10, v8, 3, v17
	ds_read_b64 v[14:15], v10 offset:8
	v_mov_b32_e32 v11, v5
	v_mov_b32_e32 v10, v4
.LBB184_60:
	s_or_b32 exec_lo, exec_lo, s1
	v_add_nc_u32_e32 v12, 1, v9
	v_add_nc_u32_e32 v13, 1, v8
	s_waitcnt lgkmcnt(0)
	v_cmp_lt_i64_e64 s1, v[14:15], v[10:11]
	v_cndmask_b32_e64 v21, v12, v9, s0
	v_cndmask_b32_e64 v20, v8, v13, s0
                                        ; implicit-def: $vgpr8_vgpr9
	v_cmp_ge_i32_e64 s2, v21, v23
	v_cmp_lt_i32_e64 s3, v20, v22
	s_or_b32 s1, s2, s1
	s_and_b32 s1, s3, s1
	s_xor_b32 s2, s1, -1
	s_and_saveexec_b32 s3, s2
	s_xor_b32 s2, exec_lo, s3
; %bb.61:
	v_lshl_add_u32 v8, v21, 3, v17
	ds_read_b64 v[8:9], v8 offset:8
; %bb.62:
	s_or_saveexec_b32 s2, s2
	v_mov_b32_e32 v12, v14
	v_mov_b32_e32 v13, v15
	s_xor_b32 exec_lo, exec_lo, s2
	s_cbranch_execz .LBB184_64
; %bb.63:
	s_waitcnt lgkmcnt(0)
	v_lshl_add_u32 v8, v20, 3, v17
	ds_read_b64 v[12:13], v8 offset:8
	v_mov_b32_e32 v8, v10
	v_mov_b32_e32 v9, v11
.LBB184_64:
	s_or_b32 exec_lo, exec_lo, s2
	v_add_nc_u32_e32 v24, 1, v21
	v_cndmask_b32_e64 v14, v10, v14, s1
	v_add_nc_u32_e32 v10, 1, v20
	v_cndmask_b32_e64 v5, v5, v7, s0
	v_cndmask_b32_e64 v4, v4, v6, s0
	;; [unrolled: 1-line block ×3, first 2 shown]
	s_waitcnt lgkmcnt(0)
	v_cmp_lt_i64_e64 s0, v[12:13], v[8:9]
	v_cndmask_b32_e64 v6, v20, v10, s1
	v_cndmask_b32_e64 v15, v11, v15, s1
	v_and_b32_e32 v19, 0x7c, v19
	v_cmp_ge_i32_e64 s1, v7, v23
	v_cndmask_b32_e32 v3, v1, v3, vcc_lo
	v_cndmask_b32_e32 v2, v0, v2, vcc_lo
	v_cmp_lt_i32_e32 vcc_lo, v6, v22
	v_subrev_nc_u32_e32 v1, 64, v19
	s_or_b32 s1, s1, s0
	v_cmp_lt_i32_e64 s0, 63, v19
	v_min_i32_e32 v0, 64, v19
	s_and_b32 vcc_lo, vcc_lo, s1
	v_cndmask_b32_e32 v7, v9, v13, vcc_lo
	v_cndmask_b32_e64 v10, 0, v1, s0
	v_cndmask_b32_e32 v6, v8, v12, vcc_lo
	s_mov_b32 s0, exec_lo
	; wave barrier
	ds_write2_b64 v18, v[2:3], v[4:5] offset1:1
	ds_write2_b64 v18, v[14:15], v[6:7] offset0:2 offset1:3
	; wave barrier
	v_cmpx_lt_i32_e64 v10, v0
	s_cbranch_execz .LBB184_68
; %bb.65:
	v_lshlrev_b32_e32 v1, 3, v19
	s_mov_b32 s1, 0
	v_add3_u32 v1, 0x200, v17, v1
	.p2align	6
.LBB184_66:                             ; =>This Inner Loop Header: Depth=1
	v_sub_nc_u32_e32 v2, v0, v10
	v_lshrrev_b32_e32 v2, 1, v2
	v_add_nc_u32_e32 v6, v2, v10
	v_not_b32_e32 v2, v6
	v_lshl_add_u32 v3, v6, 3, v17
	v_lshl_add_u32 v4, v2, 3, v1
	ds_read_b64 v[2:3], v3
	ds_read_b64 v[4:5], v4
	s_waitcnt lgkmcnt(0)
	v_cmp_lt_i64_e32 vcc_lo, v[4:5], v[2:3]
	v_add_nc_u32_e32 v2, 1, v6
	v_cndmask_b32_e32 v0, v0, v6, vcc_lo
	v_cndmask_b32_e32 v10, v2, v10, vcc_lo
	v_cmp_ge_i32_e32 vcc_lo, v10, v0
	s_or_b32 s1, vcc_lo, s1
	s_andn2_b32 exec_lo, exec_lo, s1
	s_cbranch_execnz .LBB184_66
; %bb.67:
	s_or_b32 exec_lo, exec_lo, s1
.LBB184_68:
	s_or_b32 exec_lo, exec_lo, s0
	v_add_nc_u32_e32 v0, 64, v19
	v_lshl_add_u32 v6, v10, 3, v17
	v_cmp_le_i32_e64 s0, 64, v10
                                        ; implicit-def: $vgpr4_vgpr5
	v_sub_nc_u32_e32 v8, v0, v10
	v_lshl_add_u32 v9, v8, 3, v17
	v_cmp_gt_i32_e64 s1, 0x80, v8
	ds_read_b64 v[0:1], v6
	ds_read_b64 v[2:3], v9
	s_waitcnt lgkmcnt(0)
	v_cmp_lt_i64_e32 vcc_lo, v[2:3], v[0:1]
	s_or_b32 s0, s0, vcc_lo
	s_and_b32 vcc_lo, s1, s0
	s_xor_b32 s0, vcc_lo, -1
	s_and_saveexec_b32 s1, s0
	s_xor_b32 s0, exec_lo, s1
; %bb.69:
	ds_read_b64 v[4:5], v6 offset:8
                                        ; implicit-def: $vgpr9
; %bb.70:
	s_or_saveexec_b32 s0, s0
	v_mov_b32_e32 v7, v3
	v_mov_b32_e32 v6, v2
	s_xor_b32 exec_lo, exec_lo, s0
	s_cbranch_execz .LBB184_72
; %bb.71:
	ds_read_b64 v[6:7], v9 offset:8
	s_waitcnt lgkmcnt(1)
	v_mov_b32_e32 v5, v1
	v_mov_b32_e32 v4, v0
.LBB184_72:
	s_or_b32 exec_lo, exec_lo, s0
	v_add_nc_u32_e32 v9, 1, v10
	v_add_nc_u32_e32 v12, 1, v8
	s_waitcnt lgkmcnt(0)
	v_cmp_lt_i64_e64 s0, v[6:7], v[4:5]
	v_cndmask_b32_e32 v11, v9, v10, vcc_lo
	v_cndmask_b32_e32 v10, v8, v12, vcc_lo
                                        ; implicit-def: $vgpr8_vgpr9
	v_cmp_le_i32_e64 s1, 64, v11
	v_cmp_gt_i32_e64 s2, 0x80, v10
	s_or_b32 s0, s1, s0
	s_and_b32 s0, s2, s0
	s_xor_b32 s1, s0, -1
	s_and_saveexec_b32 s2, s1
	s_xor_b32 s1, exec_lo, s2
; %bb.73:
	v_lshl_add_u32 v8, v11, 3, v17
	ds_read_b64 v[8:9], v8 offset:8
; %bb.74:
	s_or_saveexec_b32 s1, s1
	v_mov_b32_e32 v13, v7
	v_mov_b32_e32 v12, v6
	s_xor_b32 exec_lo, exec_lo, s1
	s_cbranch_execz .LBB184_76
; %bb.75:
	s_waitcnt lgkmcnt(0)
	v_lshl_add_u32 v8, v10, 3, v17
	ds_read_b64 v[12:13], v8 offset:8
	v_mov_b32_e32 v9, v5
	v_mov_b32_e32 v8, v4
.LBB184_76:
	s_or_b32 exec_lo, exec_lo, s1
	v_add_nc_u32_e32 v14, 1, v11
	v_add_nc_u32_e32 v15, 1, v10
	s_waitcnt lgkmcnt(0)
	v_cmp_lt_i64_e64 s1, v[12:13], v[8:9]
	v_cndmask_b32_e64 v21, v14, v11, s0
	v_cndmask_b32_e64 v20, v10, v15, s0
                                        ; implicit-def: $vgpr10_vgpr11
	v_cmp_le_i32_e64 s2, 64, v21
	v_cmp_gt_i32_e64 s3, 0x80, v20
	s_or_b32 s1, s2, s1
	s_and_b32 s1, s3, s1
	s_xor_b32 s2, s1, -1
	s_and_saveexec_b32 s3, s2
	s_xor_b32 s2, exec_lo, s3
; %bb.77:
	v_lshl_add_u32 v10, v21, 3, v17
	ds_read_b64 v[10:11], v10 offset:8
; %bb.78:
	s_or_saveexec_b32 s2, s2
	v_mov_b32_e32 v15, v13
	v_mov_b32_e32 v14, v12
	s_xor_b32 exec_lo, exec_lo, s2
	s_cbranch_execz .LBB184_80
; %bb.79:
	s_waitcnt lgkmcnt(0)
	v_lshl_add_u32 v10, v20, 3, v17
	ds_read_b64 v[14:15], v10 offset:8
	v_mov_b32_e32 v11, v9
	v_mov_b32_e32 v10, v8
.LBB184_80:
	s_or_b32 exec_lo, exec_lo, s2
	v_add_nc_u32_e32 v22, 1, v21
	v_cndmask_b32_e64 v9, v9, v13, s1
	v_add_nc_u32_e32 v13, 1, v20
	v_cndmask_b32_e64 v8, v8, v12, s1
	v_cndmask_b32_e64 v4, v4, v6, s0
	;; [unrolled: 1-line block ×5, first 2 shown]
	s_waitcnt lgkmcnt(0)
	v_cmp_lt_i64_e64 s0, v[14:15], v[10:11]
	v_cndmask_b32_e32 v3, v1, v3, vcc_lo
	v_cmp_le_i32_e64 s1, 64, v12
	v_or_b32_e32 v1, 0xffffff80, v19
	v_cmp_gt_i32_e64 s2, 0x80, v6
	v_cndmask_b32_e32 v2, v0, v2, vcc_lo
	v_cmp_lt_i32_e32 vcc_lo, 0x7f, v19
	s_or_b32 s0, s1, s0
	; wave barrier
	v_cndmask_b32_e32 v0, 0, v1, vcc_lo
	s_and_b32 vcc_lo, s2, s0
	s_mov_b32 s0, exec_lo
	v_cndmask_b32_e32 v7, v11, v15, vcc_lo
	v_cndmask_b32_e32 v6, v10, v14, vcc_lo
	ds_write2_b64 v18, v[2:3], v[4:5] offset1:1
	ds_write2_b64 v18, v[8:9], v[6:7] offset0:2 offset1:3
	; wave barrier
	v_cmpx_lt_i32_e64 v0, v19
	s_cbranch_execz .LBB184_84
; %bb.81:
	v_lshlrev_b32_e32 v1, 3, v19
	v_mov_b32_e32 v2, v19
	s_mov_b32 s1, 0
	v_add3_u32 v1, 0x400, v17, v1
	.p2align	6
.LBB184_82:                             ; =>This Inner Loop Header: Depth=1
	v_sub_nc_u32_e32 v3, v2, v0
	v_lshrrev_b32_e32 v3, 1, v3
	v_add_nc_u32_e32 v7, v3, v0
	v_not_b32_e32 v3, v7
	v_lshl_add_u32 v4, v7, 3, v17
	v_lshl_add_u32 v5, v3, 3, v1
	ds_read_b64 v[3:4], v4
	ds_read_b64 v[5:6], v5
	s_waitcnt lgkmcnt(0)
	v_cmp_lt_i64_e32 vcc_lo, v[5:6], v[3:4]
	v_add_nc_u32_e32 v3, 1, v7
	v_cndmask_b32_e32 v2, v2, v7, vcc_lo
	v_cndmask_b32_e32 v0, v3, v0, vcc_lo
	v_cmp_ge_i32_e32 vcc_lo, v0, v2
	s_or_b32 s1, vcc_lo, s1
	s_andn2_b32 exec_lo, exec_lo, s1
	s_cbranch_execnz .LBB184_82
; %bb.83:
	s_or_b32 exec_lo, exec_lo, s1
.LBB184_84:
	s_or_b32 exec_lo, exec_lo, s0
	v_add_nc_u32_e32 v1, 0x80, v19
	v_lshl_add_u32 v8, v0, 3, v17
	v_cmp_le_i32_e64 s0, 0x80, v0
                                        ; implicit-def: $vgpr6_vgpr7
	v_sub_nc_u32_e32 v1, v1, v0
	v_lshl_add_u32 v10, v1, 3, v17
	v_cmp_gt_i32_e64 s1, 0x100, v1
	ds_read_b64 v[2:3], v8
	ds_read_b64 v[4:5], v10
	s_waitcnt lgkmcnt(0)
	v_cmp_lt_i64_e32 vcc_lo, v[4:5], v[2:3]
	s_or_b32 s0, s0, vcc_lo
	s_and_b32 vcc_lo, s1, s0
	s_xor_b32 s0, vcc_lo, -1
	s_and_saveexec_b32 s1, s0
	s_xor_b32 s0, exec_lo, s1
; %bb.85:
	ds_read_b64 v[6:7], v8 offset:8
                                        ; implicit-def: $vgpr10
; %bb.86:
	s_or_saveexec_b32 s0, s0
	v_mov_b32_e32 v9, v5
	v_mov_b32_e32 v8, v4
	s_xor_b32 exec_lo, exec_lo, s0
	s_cbranch_execz .LBB184_88
; %bb.87:
	ds_read_b64 v[8:9], v10 offset:8
	s_waitcnt lgkmcnt(1)
	v_mov_b32_e32 v7, v3
	v_mov_b32_e32 v6, v2
.LBB184_88:
	s_or_b32 exec_lo, exec_lo, s0
	v_add_nc_u32_e32 v10, 1, v0
	v_add_nc_u32_e32 v11, 1, v1
	s_waitcnt lgkmcnt(0)
	v_cmp_lt_i64_e64 s0, v[8:9], v[6:7]
                                        ; implicit-def: $vgpr12_vgpr13
	v_cndmask_b32_e32 v14, v10, v0, vcc_lo
	v_cndmask_b32_e32 v0, v1, v11, vcc_lo
	v_cmp_le_i32_e64 s1, 0x80, v14
	v_cmp_gt_i32_e64 s2, 0x100, v0
	s_or_b32 s0, s1, s0
	s_and_b32 s0, s2, s0
	s_xor_b32 s1, s0, -1
	s_and_saveexec_b32 s2, s1
	s_xor_b32 s1, exec_lo, s2
; %bb.89:
	v_lshl_add_u32 v1, v14, 3, v17
	ds_read_b64 v[12:13], v1 offset:8
; %bb.90:
	s_or_saveexec_b32 s1, s1
	v_mov_b32_e32 v11, v9
	v_mov_b32_e32 v10, v8
	s_xor_b32 exec_lo, exec_lo, s1
	s_cbranch_execz .LBB184_92
; %bb.91:
	v_lshl_add_u32 v1, v0, 3, v17
	s_waitcnt lgkmcnt(0)
	v_mov_b32_e32 v13, v7
	v_mov_b32_e32 v12, v6
	ds_read_b64 v[10:11], v1 offset:8
.LBB184_92:
	s_or_b32 exec_lo, exec_lo, s1
	v_add_nc_u32_e32 v1, 1, v14
	v_add_nc_u32_e32 v15, 1, v0
	s_waitcnt lgkmcnt(0)
	v_cmp_ge_i64_e64 s1, v[10:11], v[12:13]
                                        ; implicit-def: $vgpr19
	v_cndmask_b32_e64 v20, v1, v14, s0
	v_cndmask_b32_e64 v18, v0, v15, s0
                                        ; implicit-def: $vgpr14_vgpr15
	v_cmp_gt_i32_e64 s2, 0x80, v20
	v_cmp_le_i32_e64 s3, 0x100, v18
	s_and_b32 s1, s2, s1
	s_or_b32 s1, s3, s1
	s_and_saveexec_b32 s2, s1
	s_xor_b32 s1, exec_lo, s2
; %bb.93:
	v_lshl_add_u32 v0, v20, 3, v17
	v_add_nc_u32_e32 v19, 1, v20
                                        ; implicit-def: $vgpr17
                                        ; implicit-def: $vgpr20
	ds_read_b64 v[14:15], v0 offset:8
; %bb.94:
	s_or_saveexec_b32 s1, s1
	v_mov_b32_e32 v0, v12
	v_mov_b32_e32 v1, v13
	s_xor_b32 exec_lo, exec_lo, s1
	s_cbranch_execz .LBB184_96
; %bb.95:
	v_lshl_add_u32 v0, v18, 3, v17
	s_waitcnt lgkmcnt(0)
	v_mov_b32_e32 v15, v13
	v_add_nc_u32_e32 v18, 1, v18
	v_mov_b32_e32 v19, v20
	v_mov_b32_e32 v14, v12
	ds_read_b64 v[21:22], v0 offset:8
	v_mov_b32_e32 v0, v10
	v_mov_b32_e32 v1, v11
	s_waitcnt lgkmcnt(0)
	v_mov_b32_e32 v10, v21
	v_mov_b32_e32 v11, v22
.LBB184_96:
	s_or_b32 exec_lo, exec_lo, s1
	s_waitcnt lgkmcnt(0)
	v_cmp_lt_i64_e64 s1, v[10:11], v[14:15]
	v_cmp_le_i32_e64 s2, 0x80, v19
	v_cmp_gt_i32_e64 s3, 0x100, v18
	v_cndmask_b32_e64 v7, v7, v9, s0
	v_cndmask_b32_e64 v6, v6, v8, s0
	v_cndmask_b32_e32 v5, v3, v5, vcc_lo
	s_or_b32 s0, s2, s1
	v_cndmask_b32_e32 v4, v2, v4, vcc_lo
	s_and_b32 vcc_lo, s3, s0
	v_lshlrev_b32_e32 v8, 3, v16
	v_cndmask_b32_e32 v3, v15, v11, vcc_lo
	v_cndmask_b32_e32 v2, v14, v10, vcc_lo
	s_add_u32 s0, s10, s4
	s_addc_u32 s1, s11, s5
	global_store_dwordx4 v8, v[4:7], s[0:1]
	global_store_dwordx4 v8, v[0:3], s[0:1] offset:16
	s_endpgm
	.section	.rodata,"a",@progbits
	.p2align	6, 0x0
	.amdhsa_kernel _Z9sort_keysILj256ELj64ELj4ExN10test_utils4lessEEvPKT2_PS2_T3_
		.amdhsa_group_segment_fixed_size 8224
		.amdhsa_private_segment_fixed_size 0
		.amdhsa_kernarg_size 20
		.amdhsa_user_sgpr_count 6
		.amdhsa_user_sgpr_private_segment_buffer 1
		.amdhsa_user_sgpr_dispatch_ptr 0
		.amdhsa_user_sgpr_queue_ptr 0
		.amdhsa_user_sgpr_kernarg_segment_ptr 1
		.amdhsa_user_sgpr_dispatch_id 0
		.amdhsa_user_sgpr_flat_scratch_init 0
		.amdhsa_user_sgpr_private_segment_size 0
		.amdhsa_wavefront_size32 1
		.amdhsa_uses_dynamic_stack 0
		.amdhsa_system_sgpr_private_segment_wavefront_offset 0
		.amdhsa_system_sgpr_workgroup_id_x 1
		.amdhsa_system_sgpr_workgroup_id_y 0
		.amdhsa_system_sgpr_workgroup_id_z 0
		.amdhsa_system_sgpr_workgroup_info 0
		.amdhsa_system_vgpr_workitem_id 0
		.amdhsa_next_free_vgpr 32
		.amdhsa_next_free_sgpr 12
		.amdhsa_reserve_vcc 1
		.amdhsa_reserve_flat_scratch 0
		.amdhsa_float_round_mode_32 0
		.amdhsa_float_round_mode_16_64 0
		.amdhsa_float_denorm_mode_32 3
		.amdhsa_float_denorm_mode_16_64 3
		.amdhsa_dx10_clamp 1
		.amdhsa_ieee_mode 1
		.amdhsa_fp16_overflow 0
		.amdhsa_workgroup_processor_mode 1
		.amdhsa_memory_ordered 1
		.amdhsa_forward_progress 1
		.amdhsa_shared_vgpr_count 0
		.amdhsa_exception_fp_ieee_invalid_op 0
		.amdhsa_exception_fp_denorm_src 0
		.amdhsa_exception_fp_ieee_div_zero 0
		.amdhsa_exception_fp_ieee_overflow 0
		.amdhsa_exception_fp_ieee_underflow 0
		.amdhsa_exception_fp_ieee_inexact 0
		.amdhsa_exception_int_div_zero 0
	.end_amdhsa_kernel
	.section	.text._Z9sort_keysILj256ELj64ELj4ExN10test_utils4lessEEvPKT2_PS2_T3_,"axG",@progbits,_Z9sort_keysILj256ELj64ELj4ExN10test_utils4lessEEvPKT2_PS2_T3_,comdat
.Lfunc_end184:
	.size	_Z9sort_keysILj256ELj64ELj4ExN10test_utils4lessEEvPKT2_PS2_T3_, .Lfunc_end184-_Z9sort_keysILj256ELj64ELj4ExN10test_utils4lessEEvPKT2_PS2_T3_
                                        ; -- End function
	.set _Z9sort_keysILj256ELj64ELj4ExN10test_utils4lessEEvPKT2_PS2_T3_.num_vgpr, 32
	.set _Z9sort_keysILj256ELj64ELj4ExN10test_utils4lessEEvPKT2_PS2_T3_.num_agpr, 0
	.set _Z9sort_keysILj256ELj64ELj4ExN10test_utils4lessEEvPKT2_PS2_T3_.numbered_sgpr, 12
	.set _Z9sort_keysILj256ELj64ELj4ExN10test_utils4lessEEvPKT2_PS2_T3_.num_named_barrier, 0
	.set _Z9sort_keysILj256ELj64ELj4ExN10test_utils4lessEEvPKT2_PS2_T3_.private_seg_size, 0
	.set _Z9sort_keysILj256ELj64ELj4ExN10test_utils4lessEEvPKT2_PS2_T3_.uses_vcc, 1
	.set _Z9sort_keysILj256ELj64ELj4ExN10test_utils4lessEEvPKT2_PS2_T3_.uses_flat_scratch, 0
	.set _Z9sort_keysILj256ELj64ELj4ExN10test_utils4lessEEvPKT2_PS2_T3_.has_dyn_sized_stack, 0
	.set _Z9sort_keysILj256ELj64ELj4ExN10test_utils4lessEEvPKT2_PS2_T3_.has_recursion, 0
	.set _Z9sort_keysILj256ELj64ELj4ExN10test_utils4lessEEvPKT2_PS2_T3_.has_indirect_call, 0
	.section	.AMDGPU.csdata,"",@progbits
; Kernel info:
; codeLenInByte = 4952
; TotalNumSgprs: 14
; NumVgprs: 32
; ScratchSize: 0
; MemoryBound: 0
; FloatMode: 240
; IeeeMode: 1
; LDSByteSize: 8224 bytes/workgroup (compile time only)
; SGPRBlocks: 0
; VGPRBlocks: 3
; NumSGPRsForWavesPerEU: 14
; NumVGPRsForWavesPerEU: 32
; Occupancy: 16
; WaveLimiterHint : 0
; COMPUTE_PGM_RSRC2:SCRATCH_EN: 0
; COMPUTE_PGM_RSRC2:USER_SGPR: 6
; COMPUTE_PGM_RSRC2:TRAP_HANDLER: 0
; COMPUTE_PGM_RSRC2:TGID_X_EN: 1
; COMPUTE_PGM_RSRC2:TGID_Y_EN: 0
; COMPUTE_PGM_RSRC2:TGID_Z_EN: 0
; COMPUTE_PGM_RSRC2:TIDIG_COMP_CNT: 0
	.section	.text._Z10sort_pairsILj256ELj64ELj4ExN10test_utils4lessEEvPKT2_PS2_T3_,"axG",@progbits,_Z10sort_pairsILj256ELj64ELj4ExN10test_utils4lessEEvPKT2_PS2_T3_,comdat
	.protected	_Z10sort_pairsILj256ELj64ELj4ExN10test_utils4lessEEvPKT2_PS2_T3_ ; -- Begin function _Z10sort_pairsILj256ELj64ELj4ExN10test_utils4lessEEvPKT2_PS2_T3_
	.globl	_Z10sort_pairsILj256ELj64ELj4ExN10test_utils4lessEEvPKT2_PS2_T3_
	.p2align	8
	.type	_Z10sort_pairsILj256ELj64ELj4ExN10test_utils4lessEEvPKT2_PS2_T3_,@function
_Z10sort_pairsILj256ELj64ELj4ExN10test_utils4lessEEvPKT2_PS2_T3_: ; @_Z10sort_pairsILj256ELj64ELj4ExN10test_utils4lessEEvPKT2_PS2_T3_
; %bb.0:
	s_load_dwordx4 s[8:11], s[4:5], 0x0
	s_mov_b32 s1, 0
	s_lshl_b32 s0, s6, 10
	v_lshlrev_b32_e32 v1, 5, v0
	s_lshl_b64 s[6:7], s[0:1], 3
	s_waitcnt lgkmcnt(0)
	s_add_u32 s0, s8, s6
	s_addc_u32 s1, s9, s7
	s_clause 0x1
	global_load_dwordx4 v[17:20], v1, s[0:1] offset:16
	global_load_dwordx4 v[1:4], v1, s[0:1]
	s_mov_b32 s1, exec_lo
	s_waitcnt vmcnt(1)
	v_add_co_u32 v5, vcc_lo, v19, 1
	v_add_co_ci_u32_e64 v6, null, 0, v20, vcc_lo
	s_waitcnt vmcnt(0)
	v_cmp_lt_i64_e64 s0, v[3:4], v[1:2]
	v_add_co_u32 v23, vcc_lo, v17, 1
	v_mov_b32_e32 v22, v6
	v_mov_b32_e32 v13, v17
	;; [unrolled: 1-line block ×4, first 2 shown]
	v_add_co_ci_u32_e64 v24, null, 0, v18, vcc_lo
	v_cndmask_b32_e64 v12, v4, v2, s0
	v_mov_b32_e32 v21, v5
	v_cndmask_b32_e64 v11, v3, v1, s0
	v_cndmask_b32_e64 v10, v2, v4, s0
	v_cndmask_b32_e64 v9, v1, v3, s0
	v_mov_b32_e32 v14, v18
	v_cmpx_lt_i64_e64 v[15:16], v[17:18]
	s_cbranch_execz .LBB185_2
; %bb.1:
	v_mov_b32_e32 v7, v17
	v_mov_b32_e32 v8, v18
	;; [unrolled: 1-line block ×12, first 2 shown]
.LBB185_2:
	s_or_b32 exec_lo, exec_lo, s1
	v_add_co_u32 v27, vcc_lo, v1, 1
	v_add_co_ci_u32_e64 v28, null, 0, v2, vcc_lo
	v_add_co_u32 v29, vcc_lo, v3, 1
	v_add_co_ci_u32_e64 v30, null, 0, v4, vcc_lo
	v_mov_b32_e32 v1, v9
	v_mov_b32_e32 v26, v24
	v_cndmask_b32_e64 v19, v29, v27, s0
	v_cndmask_b32_e64 v20, v30, v28, s0
	v_mov_b32_e32 v2, v10
	v_mov_b32_e32 v3, v11
	;; [unrolled: 1-line block ×8, first 2 shown]
	s_mov_b32 s1, exec_lo
	v_cmpx_lt_i64_e64 v[17:18], v[11:12]
	s_xor_b32 s1, exec_lo, s1
	s_cbranch_execz .LBB185_4
; %bb.3:
	v_mov_b32_e32 v1, v9
	v_mov_b32_e32 v5, v13
	;; [unrolled: 1-line block ×20, first 2 shown]
.LBB185_4:
	s_or_b32 exec_lo, exec_lo, s1
	v_cmp_lt_i64_e32 vcc_lo, v[11:12], v[9:10]
	v_mov_b32_e32 v9, v21
	v_mov_b32_e32 v14, v6
	;; [unrolled: 1-line block ×4, first 2 shown]
	s_mov_b32 s2, exec_lo
	v_cndmask_b32_e32 v16, v4, v2, vcc_lo
	v_cndmask_b32_e32 v15, v3, v1, vcc_lo
	;; [unrolled: 1-line block ×4, first 2 shown]
	v_cmpx_lt_i64_e64 v[7:8], v[5:6]
	s_cbranch_execz .LBB185_6
; %bb.5:
	v_mov_b32_e32 v1, v5
	v_mov_b32_e32 v2, v6
	;; [unrolled: 1-line block ×12, first 2 shown]
.LBB185_6:
	s_or_b32 exec_lo, exec_lo, s2
	v_cndmask_b32_e64 v30, v28, v30, s0
	v_cndmask_b32_e64 v29, v27, v29, s0
	v_mov_b32_e32 v18, v16
	v_mov_b32_e32 v1, v25
	;; [unrolled: 1-line block ×3, first 2 shown]
	v_cndmask_b32_e32 v4, v20, v30, vcc_lo
	v_cndmask_b32_e32 v3, v19, v29, vcc_lo
	v_mov_b32_e32 v2, v26
	s_mov_b32 s1, exec_lo
	v_cmpx_lt_i64_e64 v[5:6], v[15:16]
	s_cbranch_execz .LBB185_8
; %bb.7:
	v_mov_b32_e32 v1, v3
	v_mov_b32_e32 v18, v6
	;; [unrolled: 1-line block ×8, first 2 shown]
.LBB185_8:
	s_or_b32 exec_lo, exec_lo, s1
	v_mbcnt_lo_u32_b32 v6, -1, 0
	v_lshlrev_b32_e32 v25, 2, v0
	v_lshrrev_b32_e32 v16, 6, v0
	s_mov_b32 s1, 0
	s_mov_b32 s2, exec_lo
	v_lshlrev_b32_e32 v28, 2, v6
	v_lshlrev_b32_e32 v6, 5, v6
	v_mul_u32_u24_e32 v26, 0x808, v16
	; wave barrier
	v_and_b32_e32 v5, 0x78, v28
	v_and_b32_e32 v0, 4, v28
	v_mad_u32_u24 v27, 0x808, v16, v6
	v_or_b32_e32 v32, 4, v5
	v_add_nc_u32_e32 v31, 8, v5
	v_lshlrev_b32_e32 v23, 3, v5
	v_sub_nc_u32_e32 v22, v32, v5
	v_sub_nc_u32_e32 v15, v31, v32
	;; [unrolled: 1-line block ×3, first 2 shown]
	v_cmp_ge_i32_e64 s0, v0, v15
	v_min_i32_e32 v15, v0, v22
	v_mov_b32_e32 v22, v8
	v_cndmask_b32_e64 v6, 0, v21, s0
	v_mov_b32_e32 v21, v7
	v_mad_u32_u24 v7, 0x808, v16, v23
	ds_write2_b64 v27, v[11:12], v[17:18] offset1:1
	ds_write2_b64 v27, v[13:14], v[21:22] offset0:2 offset1:3
	; wave barrier
	v_cmpx_lt_i32_e64 v6, v15
	s_cbranch_execz .LBB185_12
; %bb.9:
	v_lshlrev_b32_e32 v8, 3, v32
	v_lshlrev_b32_e32 v11, 3, v0
	v_add3_u32 v8, v26, v8, v11
	.p2align	6
.LBB185_10:                             ; =>This Inner Loop Header: Depth=1
	v_sub_nc_u32_e32 v11, v15, v6
	v_lshrrev_b32_e32 v11, 1, v11
	v_add_nc_u32_e32 v16, v11, v6
	v_not_b32_e32 v11, v16
	v_lshl_add_u32 v12, v16, 3, v7
	v_lshl_add_u32 v13, v11, 3, v8
	ds_read_b64 v[11:12], v12
	ds_read_b64 v[13:14], v13
	s_waitcnt lgkmcnt(0)
	v_cmp_lt_i64_e64 s0, v[13:14], v[11:12]
	v_add_nc_u32_e32 v11, 1, v16
	v_cndmask_b32_e64 v15, v15, v16, s0
	v_cndmask_b32_e64 v6, v11, v6, s0
	v_cmp_ge_i32_e64 s0, v6, v15
	s_or_b32 s1, s0, s1
	s_andn2_b32 exec_lo, exec_lo, s1
	s_cbranch_execnz .LBB185_10
; %bb.11:
	s_or_b32 exec_lo, exec_lo, s1
.LBB185_12:
	s_or_b32 exec_lo, exec_lo, s2
	v_add_nc_u32_e32 v0, v32, v0
	v_lshl_add_u32 v8, v6, 3, v7
	v_add_nc_u32_e32 v33, v6, v5
                                        ; implicit-def: $vgpr15_vgpr16
	v_sub_nc_u32_e32 v0, v0, v6
	v_cmp_le_i32_e64 s1, v32, v33
	v_lshl_add_u32 v7, v0, 3, v26
	v_cmp_gt_i32_e64 s2, v31, v0
	ds_read_b64 v[11:12], v8
	ds_read_b64 v[13:14], v7
	s_waitcnt lgkmcnt(0)
	v_cmp_lt_i64_e64 s0, v[13:14], v[11:12]
	s_or_b32 s0, s1, s0
	s_and_b32 s0, s2, s0
	s_xor_b32 s1, s0, -1
	s_and_saveexec_b32 s2, s1
	s_xor_b32 s1, exec_lo, s2
; %bb.13:
	ds_read_b64 v[15:16], v8 offset:8
                                        ; implicit-def: $vgpr7
; %bb.14:
	s_or_saveexec_b32 s1, s1
	v_mov_b32_e32 v18, v14
	v_mov_b32_e32 v17, v13
	s_xor_b32 exec_lo, exec_lo, s1
	s_cbranch_execz .LBB185_16
; %bb.15:
	ds_read_b64 v[17:18], v7 offset:8
	s_waitcnt lgkmcnt(1)
	v_mov_b32_e32 v16, v12
	v_mov_b32_e32 v15, v11
.LBB185_16:
	s_or_b32 exec_lo, exec_lo, s1
	v_add_nc_u32_e32 v5, 1, v33
	v_add_nc_u32_e32 v6, 1, v0
	s_waitcnt lgkmcnt(0)
	v_cmp_lt_i64_e64 s1, v[17:18], v[15:16]
	v_cndmask_b32_e64 v34, v5, v33, s0
	v_cndmask_b32_e64 v35, v0, v6, s0
                                        ; implicit-def: $vgpr5_vgpr6
	v_cmp_ge_i32_e64 s2, v34, v32
	v_cmp_lt_i32_e64 s3, v35, v31
	s_or_b32 s1, s2, s1
	s_and_b32 s1, s3, s1
	s_xor_b32 s2, s1, -1
	s_and_saveexec_b32 s3, s2
	s_xor_b32 s2, exec_lo, s3
; %bb.17:
	v_lshl_add_u32 v5, v34, 3, v26
	ds_read_b64 v[5:6], v5 offset:8
; %bb.18:
	s_or_saveexec_b32 s2, s2
	v_mov_b32_e32 v7, v17
	v_mov_b32_e32 v8, v18
	s_xor_b32 exec_lo, exec_lo, s2
	s_cbranch_execz .LBB185_20
; %bb.19:
	s_waitcnt lgkmcnt(0)
	v_lshl_add_u32 v5, v35, 3, v26
	ds_read_b64 v[7:8], v5 offset:8
	v_mov_b32_e32 v5, v15
	v_mov_b32_e32 v6, v16
.LBB185_20:
	s_or_b32 exec_lo, exec_lo, s2
	v_add_nc_u32_e32 v21, 1, v34
	v_add_nc_u32_e32 v22, 1, v35
	s_waitcnt lgkmcnt(0)
	v_cmp_lt_i64_e64 s2, v[7:8], v[5:6]
	v_cndmask_b32_e64 v37, v21, v34, s1
	v_cndmask_b32_e64 v36, v35, v22, s1
                                        ; implicit-def: $vgpr21_vgpr22
	v_cmp_ge_i32_e64 s3, v37, v32
	v_cmp_lt_i32_e64 s4, v36, v31
	s_or_b32 s2, s3, s2
	s_and_b32 s2, s4, s2
	s_xor_b32 s3, s2, -1
	s_and_saveexec_b32 s4, s3
	s_xor_b32 s3, exec_lo, s4
; %bb.21:
	v_lshl_add_u32 v21, v37, 3, v26
	ds_read_b64 v[21:22], v21 offset:8
; %bb.22:
	s_or_saveexec_b32 s3, s3
	v_mov_b32_e32 v24, v8
	v_mov_b32_e32 v23, v7
	s_xor_b32 exec_lo, exec_lo, s3
	s_cbranch_execz .LBB185_24
; %bb.23:
	s_waitcnt lgkmcnt(0)
	v_lshl_add_u32 v21, v36, 3, v26
	ds_read_b64 v[23:24], v21 offset:8
	v_mov_b32_e32 v22, v6
	v_mov_b32_e32 v21, v5
.LBB185_24:
	s_or_b32 exec_lo, exec_lo, s3
	v_add_nc_u32_e32 v40, 1, v37
	v_cndmask_b32_e64 v39, v6, v8, s2
	v_add_nc_u32_e32 v6, 1, v36
	v_cndmask_b32_e64 v34, v34, v35, s1
	v_cndmask_b32_e64 v38, v5, v7, s2
	;; [unrolled: 1-line block ×5, first 2 shown]
	s_waitcnt lgkmcnt(0)
	v_cmp_lt_i64_e64 s2, v[23:24], v[21:22]
	v_cndmask_b32_e64 v0, v33, v0, s0
	v_cmp_ge_i32_e64 s3, v8, v32
	v_cndmask_b32_e32 v6, v30, v20, vcc_lo
	v_cmp_lt_i32_e64 s4, v35, v31
	v_cndmask_b32_e32 v5, v29, v19, vcc_lo
	v_lshl_add_u32 v0, v0, 3, v26
	s_or_b32 s2, s3, s2
	s_and_b32 vcc_lo, s4, s2
	; wave barrier
	v_cndmask_b32_e32 v8, v8, v35, vcc_lo
	ds_write2_b64 v27, v[1:2], v[9:10] offset0:2 offset1:3
	v_lshl_add_u32 v1, v34, 3, v26
	v_and_b32_e32 v19, 0x70, v28
	v_lshl_add_u32 v2, v7, 3, v26
	ds_write2_b64 v27, v[5:6], v[3:4] offset1:1
	v_lshl_add_u32 v3, v8, 3, v26
	; wave barrier
	ds_read_b64 v[4:5], v0
	ds_read_b64 v[6:7], v1
	;; [unrolled: 1-line block ×4, first 2 shown]
	v_cndmask_b32_e32 v22, v22, v24, vcc_lo
	v_or_b32_e32 v29, 8, v19
	v_add_nc_u32_e32 v24, 16, v19
	v_and_b32_e32 v8, 12, v28
	v_cndmask_b32_e64 v15, v15, v17, s1
	v_cndmask_b32_e32 v21, v21, v23, vcc_lo
	v_sub_nc_u32_e32 v17, v29, v19
	v_sub_nc_u32_e32 v9, v24, v29
	v_cndmask_b32_e64 v16, v16, v18, s1
	v_cndmask_b32_e64 v14, v12, v14, s0
	;; [unrolled: 1-line block ×3, first 2 shown]
	s_mov_b32 s1, 0
	v_sub_nc_u32_e32 v10, v8, v9
	v_cmp_ge_i32_e32 vcc_lo, v8, v9
	v_lshl_add_u32 v9, v19, 3, v26
	s_mov_b32 s0, exec_lo
	; wave barrier
	v_cndmask_b32_e32 v12, 0, v10, vcc_lo
	v_min_i32_e32 v10, v8, v17
	ds_write2_b64 v27, v[13:14], v[15:16] offset1:1
	ds_write2_b64 v27, v[38:39], v[21:22] offset0:2 offset1:3
	; wave barrier
	v_cmpx_lt_i32_e64 v12, v10
	s_cbranch_execz .LBB185_28
; %bb.25:
	v_lshlrev_b32_e32 v11, 3, v29
	v_lshlrev_b32_e32 v13, 3, v8
	v_add3_u32 v11, v26, v11, v13
	.p2align	6
.LBB185_26:                             ; =>This Inner Loop Header: Depth=1
	v_sub_nc_u32_e32 v13, v10, v12
	v_lshrrev_b32_e32 v13, 1, v13
	v_add_nc_u32_e32 v17, v13, v12
	v_not_b32_e32 v13, v17
	v_lshl_add_u32 v14, v17, 3, v9
	v_lshl_add_u32 v15, v13, 3, v11
	ds_read_b64 v[13:14], v14
	ds_read_b64 v[15:16], v15
	s_waitcnt lgkmcnt(0)
	v_cmp_lt_i64_e32 vcc_lo, v[15:16], v[13:14]
	v_add_nc_u32_e32 v13, 1, v17
	v_cndmask_b32_e32 v10, v10, v17, vcc_lo
	v_cndmask_b32_e32 v12, v13, v12, vcc_lo
	v_cmp_ge_i32_e32 vcc_lo, v12, v10
	s_or_b32 s1, vcc_lo, s1
	s_andn2_b32 exec_lo, exec_lo, s1
	s_cbranch_execnz .LBB185_26
; %bb.27:
	s_or_b32 exec_lo, exec_lo, s1
.LBB185_28:
	s_or_b32 exec_lo, exec_lo, s0
	v_add_nc_u32_e32 v8, v29, v8
	v_lshl_add_u32 v14, v12, 3, v9
	v_add_nc_u32_e32 v31, v12, v19
	v_sub_nc_u32_e32 v30, v8, v12
                                        ; implicit-def: $vgpr12_vgpr13
	v_cmp_le_i32_e64 s0, v29, v31
	v_lshl_add_u32 v16, v30, 3, v26
	v_cmp_gt_i32_e64 s1, v24, v30
	ds_read_b64 v[8:9], v14
	ds_read_b64 v[10:11], v16
	s_waitcnt lgkmcnt(0)
	v_cmp_lt_i64_e32 vcc_lo, v[10:11], v[8:9]
	s_or_b32 s0, s0, vcc_lo
	s_and_b32 vcc_lo, s1, s0
	s_xor_b32 s0, vcc_lo, -1
	s_and_saveexec_b32 s1, s0
	s_xor_b32 s0, exec_lo, s1
; %bb.29:
	ds_read_b64 v[12:13], v14 offset:8
                                        ; implicit-def: $vgpr16
; %bb.30:
	s_or_saveexec_b32 s0, s0
	v_mov_b32_e32 v15, v11
	v_mov_b32_e32 v14, v10
	s_xor_b32 exec_lo, exec_lo, s0
	s_cbranch_execz .LBB185_32
; %bb.31:
	ds_read_b64 v[14:15], v16 offset:8
	s_waitcnt lgkmcnt(1)
	v_mov_b32_e32 v13, v9
	v_mov_b32_e32 v12, v8
.LBB185_32:
	s_or_b32 exec_lo, exec_lo, s0
	v_add_nc_u32_e32 v16, 1, v31
	v_add_nc_u32_e32 v17, 1, v30
	s_waitcnt lgkmcnt(0)
	v_cmp_lt_i64_e64 s0, v[14:15], v[12:13]
                                        ; implicit-def: $vgpr20_vgpr21
	v_cndmask_b32_e32 v32, v16, v31, vcc_lo
	v_cndmask_b32_e32 v33, v30, v17, vcc_lo
	v_cmp_ge_i32_e64 s1, v32, v29
	v_cmp_lt_i32_e64 s2, v33, v24
	s_or_b32 s0, s1, s0
	s_and_b32 s0, s2, s0
	s_xor_b32 s1, s0, -1
	s_and_saveexec_b32 s2, s1
	s_xor_b32 s1, exec_lo, s2
; %bb.33:
	v_lshl_add_u32 v16, v32, 3, v26
	ds_read_b64 v[20:21], v16 offset:8
; %bb.34:
	s_or_saveexec_b32 s1, s1
	v_mov_b32_e32 v23, v15
	v_mov_b32_e32 v22, v14
	s_xor_b32 exec_lo, exec_lo, s1
	s_cbranch_execz .LBB185_36
; %bb.35:
	v_lshl_add_u32 v16, v33, 3, v26
	s_waitcnt lgkmcnt(0)
	v_mov_b32_e32 v21, v13
	v_mov_b32_e32 v20, v12
	ds_read_b64 v[22:23], v16 offset:8
.LBB185_36:
	s_or_b32 exec_lo, exec_lo, s1
	v_add_nc_u32_e32 v16, 1, v32
	v_add_nc_u32_e32 v17, 1, v33
	s_waitcnt lgkmcnt(0)
	v_cmp_lt_i64_e64 s1, v[22:23], v[20:21]
	v_cndmask_b32_e64 v35, v16, v32, s0
	v_cndmask_b32_e64 v34, v33, v17, s0
                                        ; implicit-def: $vgpr16_vgpr17
	v_cmp_ge_i32_e64 s2, v35, v29
	v_cmp_lt_i32_e64 s3, v34, v24
	s_or_b32 s1, s2, s1
	s_and_b32 s1, s3, s1
	s_xor_b32 s2, s1, -1
	s_and_saveexec_b32 s3, s2
	s_xor_b32 s2, exec_lo, s3
; %bb.37:
	v_lshl_add_u32 v16, v35, 3, v26
	ds_read_b64 v[16:17], v16 offset:8
; %bb.38:
	s_or_saveexec_b32 s2, s2
	v_mov_b32_e32 v18, v22
	v_mov_b32_e32 v19, v23
	s_xor_b32 exec_lo, exec_lo, s2
	s_cbranch_execz .LBB185_40
; %bb.39:
	s_waitcnt lgkmcnt(0)
	v_lshl_add_u32 v16, v34, 3, v26
	ds_read_b64 v[18:19], v16 offset:8
	v_mov_b32_e32 v16, v20
	v_mov_b32_e32 v17, v21
.LBB185_40:
	s_or_b32 exec_lo, exec_lo, s2
	v_add_nc_u32_e32 v36, 1, v35
	v_cndmask_b32_e64 v23, v21, v23, s1
	v_add_nc_u32_e32 v21, 1, v34
	v_cndmask_b32_e64 v37, v35, v34, s1
	v_cndmask_b32_e64 v22, v20, v22, s1
	;; [unrolled: 1-line block ×3, first 2 shown]
	v_cndmask_b32_e32 v30, v31, v30, vcc_lo
	v_cndmask_b32_e64 v21, v34, v21, s1
	s_waitcnt lgkmcnt(0)
	v_cmp_lt_i64_e64 s1, v[18:19], v[16:17]
	v_cndmask_b32_e64 v32, v32, v33, s0
	v_cmp_ge_i32_e64 s2, v35, v29
	v_cmp_lt_i32_e64 s3, v21, v24
	; wave barrier
	ds_write2_b64 v27, v[4:5], v[6:7] offset1:1
	s_or_b32 s1, s2, s1
	ds_write2_b64 v27, v[0:1], v[2:3] offset0:2 offset1:3
	s_and_b32 s1, s3, s1
	v_lshl_add_u32 v0, v30, 3, v26
	v_cndmask_b32_e64 v4, v35, v21, s1
	v_lshl_add_u32 v1, v32, 3, v26
	v_and_b32_e32 v20, 0x60, v28
	v_lshl_add_u32 v2, v37, 3, v26
	v_lshl_add_u32 v3, v4, 3, v26
	; wave barrier
	ds_read_b64 v[4:5], v0
	ds_read_b64 v[6:7], v1
	;; [unrolled: 1-line block ×4, first 2 shown]
	v_or_b32_e32 v29, 16, v20
	v_add_nc_u32_e32 v24, 32, v20
	v_cndmask_b32_e64 v19, v17, v19, s1
	v_and_b32_e32 v17, 28, v28
	v_cndmask_b32_e64 v15, v13, v15, s0
	v_cndmask_b32_e32 v11, v9, v11, vcc_lo
	v_sub_nc_u32_e32 v21, v24, v29
	v_sub_nc_u32_e32 v13, v29, v20
	v_cndmask_b32_e32 v10, v8, v10, vcc_lo
	v_cndmask_b32_e64 v14, v12, v14, s0
	v_cndmask_b32_e64 v18, v16, v18, s1
	v_sub_nc_u32_e32 v9, v17, v21
	v_cmp_ge_i32_e32 vcc_lo, v17, v21
	v_lshl_add_u32 v8, v20, 3, v26
	s_mov_b32 s1, 0
	s_mov_b32 s0, exec_lo
	v_cndmask_b32_e32 v12, 0, v9, vcc_lo
	v_min_i32_e32 v9, v17, v13
	; wave barrier
	ds_write2_b64 v27, v[10:11], v[14:15] offset1:1
	ds_write2_b64 v27, v[22:23], v[18:19] offset0:2 offset1:3
	; wave barrier
	v_cmpx_lt_i32_e64 v12, v9
	s_cbranch_execz .LBB185_44
; %bb.41:
	v_lshlrev_b32_e32 v10, 3, v29
	v_lshlrev_b32_e32 v11, 3, v17
	v_add3_u32 v10, v26, v10, v11
	.p2align	6
.LBB185_42:                             ; =>This Inner Loop Header: Depth=1
	v_sub_nc_u32_e32 v11, v9, v12
	v_lshrrev_b32_e32 v11, 1, v11
	v_add_nc_u32_e32 v11, v11, v12
	v_not_b32_e32 v13, v11
	v_lshl_add_u32 v14, v11, 3, v8
	v_lshl_add_u32 v15, v13, 3, v10
	ds_read_b64 v[13:14], v14
	ds_read_b64 v[15:16], v15
	s_waitcnt lgkmcnt(0)
	v_cmp_lt_i64_e32 vcc_lo, v[15:16], v[13:14]
	v_add_nc_u32_e32 v13, 1, v11
	v_cndmask_b32_e32 v9, v9, v11, vcc_lo
	v_cndmask_b32_e32 v12, v13, v12, vcc_lo
	v_cmp_ge_i32_e32 vcc_lo, v12, v9
	s_or_b32 s1, vcc_lo, s1
	s_andn2_b32 exec_lo, exec_lo, s1
	s_cbranch_execnz .LBB185_42
; %bb.43:
	s_or_b32 exec_lo, exec_lo, s1
.LBB185_44:
	s_or_b32 exec_lo, exec_lo, s0
	v_add_nc_u32_e32 v9, v29, v17
	v_lshl_add_u32 v14, v12, 3, v8
	v_add_nc_u32_e32 v31, v12, v20
	v_sub_nc_u32_e32 v30, v9, v12
                                        ; implicit-def: $vgpr12_vgpr13
	v_cmp_le_i32_e64 s0, v29, v31
	v_lshl_add_u32 v16, v30, 3, v26
	v_cmp_gt_i32_e64 s1, v24, v30
	ds_read_b64 v[8:9], v14
	ds_read_b64 v[10:11], v16
	s_waitcnt lgkmcnt(0)
	v_cmp_lt_i64_e32 vcc_lo, v[10:11], v[8:9]
	s_or_b32 s0, s0, vcc_lo
	s_and_b32 vcc_lo, s1, s0
	s_xor_b32 s0, vcc_lo, -1
	s_and_saveexec_b32 s1, s0
	s_xor_b32 s0, exec_lo, s1
; %bb.45:
	ds_read_b64 v[12:13], v14 offset:8
                                        ; implicit-def: $vgpr16
; %bb.46:
	s_or_saveexec_b32 s0, s0
	v_mov_b32_e32 v15, v11
	v_mov_b32_e32 v14, v10
	s_xor_b32 exec_lo, exec_lo, s0
	s_cbranch_execz .LBB185_48
; %bb.47:
	ds_read_b64 v[14:15], v16 offset:8
	s_waitcnt lgkmcnt(1)
	v_mov_b32_e32 v13, v9
	v_mov_b32_e32 v12, v8
.LBB185_48:
	s_or_b32 exec_lo, exec_lo, s0
	v_add_nc_u32_e32 v16, 1, v31
	v_add_nc_u32_e32 v17, 1, v30
	s_waitcnt lgkmcnt(0)
	v_cmp_lt_i64_e64 s0, v[14:15], v[12:13]
                                        ; implicit-def: $vgpr20_vgpr21
	v_cndmask_b32_e32 v32, v16, v31, vcc_lo
	v_cndmask_b32_e32 v33, v30, v17, vcc_lo
	v_cmp_ge_i32_e64 s1, v32, v29
	v_cmp_lt_i32_e64 s2, v33, v24
	s_or_b32 s0, s1, s0
	s_and_b32 s0, s2, s0
	s_xor_b32 s1, s0, -1
	s_and_saveexec_b32 s2, s1
	s_xor_b32 s1, exec_lo, s2
; %bb.49:
	v_lshl_add_u32 v16, v32, 3, v26
	ds_read_b64 v[20:21], v16 offset:8
; %bb.50:
	s_or_saveexec_b32 s1, s1
	v_mov_b32_e32 v23, v15
	v_mov_b32_e32 v22, v14
	s_xor_b32 exec_lo, exec_lo, s1
	s_cbranch_execz .LBB185_52
; %bb.51:
	v_lshl_add_u32 v16, v33, 3, v26
	s_waitcnt lgkmcnt(0)
	v_mov_b32_e32 v21, v13
	v_mov_b32_e32 v20, v12
	ds_read_b64 v[22:23], v16 offset:8
.LBB185_52:
	s_or_b32 exec_lo, exec_lo, s1
	v_add_nc_u32_e32 v16, 1, v32
	v_add_nc_u32_e32 v17, 1, v33
	s_waitcnt lgkmcnt(0)
	v_cmp_lt_i64_e64 s1, v[22:23], v[20:21]
	v_cndmask_b32_e64 v35, v16, v32, s0
	v_cndmask_b32_e64 v34, v33, v17, s0
                                        ; implicit-def: $vgpr16_vgpr17
	v_cmp_ge_i32_e64 s2, v35, v29
	v_cmp_lt_i32_e64 s3, v34, v24
	s_or_b32 s1, s2, s1
	s_and_b32 s1, s3, s1
	s_xor_b32 s2, s1, -1
	s_and_saveexec_b32 s3, s2
	s_xor_b32 s2, exec_lo, s3
; %bb.53:
	v_lshl_add_u32 v16, v35, 3, v26
	ds_read_b64 v[16:17], v16 offset:8
; %bb.54:
	s_or_saveexec_b32 s2, s2
	v_mov_b32_e32 v18, v22
	v_mov_b32_e32 v19, v23
	s_xor_b32 exec_lo, exec_lo, s2
	s_cbranch_execz .LBB185_56
; %bb.55:
	s_waitcnt lgkmcnt(0)
	v_lshl_add_u32 v16, v34, 3, v26
	ds_read_b64 v[18:19], v16 offset:8
	v_mov_b32_e32 v16, v20
	v_mov_b32_e32 v17, v21
.LBB185_56:
	s_or_b32 exec_lo, exec_lo, s2
	v_add_nc_u32_e32 v36, 1, v35
	v_cndmask_b32_e64 v23, v21, v23, s1
	v_add_nc_u32_e32 v21, 1, v34
	v_cndmask_b32_e64 v37, v35, v34, s1
	v_cndmask_b32_e64 v22, v20, v22, s1
	;; [unrolled: 1-line block ×3, first 2 shown]
	v_cndmask_b32_e32 v30, v31, v30, vcc_lo
	v_cndmask_b32_e64 v21, v34, v21, s1
	s_waitcnt lgkmcnt(0)
	v_cmp_lt_i64_e64 s1, v[18:19], v[16:17]
	v_cndmask_b32_e64 v32, v32, v33, s0
	v_cmp_ge_i32_e64 s2, v35, v29
	v_cmp_lt_i32_e64 s3, v21, v24
	; wave barrier
	ds_write2_b64 v27, v[4:5], v[6:7] offset1:1
	s_or_b32 s1, s2, s1
	ds_write2_b64 v27, v[0:1], v[2:3] offset0:2 offset1:3
	s_and_b32 s1, s3, s1
	v_lshl_add_u32 v0, v30, 3, v26
	v_cndmask_b32_e64 v4, v35, v21, s1
	v_lshl_add_u32 v1, v32, 3, v26
	v_and_b32_e32 v20, 64, v28
	v_lshl_add_u32 v2, v37, 3, v26
	v_lshl_add_u32 v3, v4, 3, v26
	; wave barrier
	ds_read_b64 v[4:5], v0
	ds_read_b64 v[6:7], v1
	;; [unrolled: 1-line block ×4, first 2 shown]
	v_or_b32_e32 v29, 32, v20
	v_add_nc_u32_e32 v24, 64, v20
	v_cndmask_b32_e64 v19, v17, v19, s1
	v_and_b32_e32 v17, 60, v28
	v_cndmask_b32_e64 v15, v13, v15, s0
	v_cndmask_b32_e32 v11, v9, v11, vcc_lo
	v_sub_nc_u32_e32 v21, v24, v29
	v_sub_nc_u32_e32 v13, v29, v20
	v_cndmask_b32_e32 v10, v8, v10, vcc_lo
	v_cndmask_b32_e64 v14, v12, v14, s0
	v_cndmask_b32_e64 v18, v16, v18, s1
	v_sub_nc_u32_e32 v9, v17, v21
	v_cmp_ge_i32_e32 vcc_lo, v17, v21
	v_lshl_add_u32 v8, v20, 3, v26
	s_mov_b32 s1, 0
	s_mov_b32 s0, exec_lo
	v_cndmask_b32_e32 v12, 0, v9, vcc_lo
	v_min_i32_e32 v9, v17, v13
	; wave barrier
	ds_write2_b64 v27, v[10:11], v[14:15] offset1:1
	ds_write2_b64 v27, v[22:23], v[18:19] offset0:2 offset1:3
	; wave barrier
	v_cmpx_lt_i32_e64 v12, v9
	s_cbranch_execz .LBB185_60
; %bb.57:
	v_lshlrev_b32_e32 v10, 3, v29
	v_lshlrev_b32_e32 v11, 3, v17
	v_add3_u32 v10, v26, v10, v11
	.p2align	6
.LBB185_58:                             ; =>This Inner Loop Header: Depth=1
	v_sub_nc_u32_e32 v11, v9, v12
	v_lshrrev_b32_e32 v11, 1, v11
	v_add_nc_u32_e32 v11, v11, v12
	v_not_b32_e32 v13, v11
	v_lshl_add_u32 v14, v11, 3, v8
	v_lshl_add_u32 v15, v13, 3, v10
	ds_read_b64 v[13:14], v14
	ds_read_b64 v[15:16], v15
	s_waitcnt lgkmcnt(0)
	v_cmp_lt_i64_e32 vcc_lo, v[15:16], v[13:14]
	v_add_nc_u32_e32 v13, 1, v11
	v_cndmask_b32_e32 v9, v9, v11, vcc_lo
	v_cndmask_b32_e32 v12, v13, v12, vcc_lo
	v_cmp_ge_i32_e32 vcc_lo, v12, v9
	s_or_b32 s1, vcc_lo, s1
	s_andn2_b32 exec_lo, exec_lo, s1
	s_cbranch_execnz .LBB185_58
; %bb.59:
	s_or_b32 exec_lo, exec_lo, s1
.LBB185_60:
	s_or_b32 exec_lo, exec_lo, s0
	v_add_nc_u32_e32 v9, v29, v17
	v_lshl_add_u32 v14, v12, 3, v8
	v_add_nc_u32_e32 v31, v12, v20
	v_sub_nc_u32_e32 v30, v9, v12
                                        ; implicit-def: $vgpr12_vgpr13
	v_cmp_le_i32_e64 s0, v29, v31
	v_lshl_add_u32 v16, v30, 3, v26
	v_cmp_gt_i32_e64 s1, v24, v30
	ds_read_b64 v[8:9], v14
	ds_read_b64 v[10:11], v16
	s_waitcnt lgkmcnt(0)
	v_cmp_lt_i64_e32 vcc_lo, v[10:11], v[8:9]
	s_or_b32 s0, s0, vcc_lo
	s_and_b32 vcc_lo, s1, s0
	s_xor_b32 s0, vcc_lo, -1
	s_and_saveexec_b32 s1, s0
	s_xor_b32 s0, exec_lo, s1
; %bb.61:
	ds_read_b64 v[12:13], v14 offset:8
                                        ; implicit-def: $vgpr16
; %bb.62:
	s_or_saveexec_b32 s0, s0
	v_mov_b32_e32 v15, v11
	v_mov_b32_e32 v14, v10
	s_xor_b32 exec_lo, exec_lo, s0
	s_cbranch_execz .LBB185_64
; %bb.63:
	ds_read_b64 v[14:15], v16 offset:8
	s_waitcnt lgkmcnt(1)
	v_mov_b32_e32 v13, v9
	v_mov_b32_e32 v12, v8
.LBB185_64:
	s_or_b32 exec_lo, exec_lo, s0
	v_add_nc_u32_e32 v16, 1, v31
	v_add_nc_u32_e32 v17, 1, v30
	s_waitcnt lgkmcnt(0)
	v_cmp_lt_i64_e64 s0, v[14:15], v[12:13]
	v_cndmask_b32_e32 v32, v16, v31, vcc_lo
	v_cndmask_b32_e32 v33, v30, v17, vcc_lo
                                        ; implicit-def: $vgpr16_vgpr17
	v_cmp_ge_i32_e64 s1, v32, v29
	v_cmp_lt_i32_e64 s2, v33, v24
	s_or_b32 s0, s1, s0
	s_and_b32 s0, s2, s0
	s_xor_b32 s1, s0, -1
	s_and_saveexec_b32 s2, s1
	s_xor_b32 s1, exec_lo, s2
; %bb.65:
	v_lshl_add_u32 v16, v32, 3, v26
	ds_read_b64 v[16:17], v16 offset:8
; %bb.66:
	s_or_saveexec_b32 s1, s1
	v_mov_b32_e32 v19, v15
	v_mov_b32_e32 v18, v14
	s_xor_b32 exec_lo, exec_lo, s1
	s_cbranch_execz .LBB185_68
; %bb.67:
	s_waitcnt lgkmcnt(0)
	v_lshl_add_u32 v16, v33, 3, v26
	ds_read_b64 v[18:19], v16 offset:8
	v_mov_b32_e32 v17, v13
	v_mov_b32_e32 v16, v12
.LBB185_68:
	s_or_b32 exec_lo, exec_lo, s1
	v_add_nc_u32_e32 v20, 1, v32
	v_add_nc_u32_e32 v21, 1, v33
	s_waitcnt lgkmcnt(0)
	v_cmp_lt_i64_e64 s1, v[18:19], v[16:17]
	v_cndmask_b32_e64 v35, v20, v32, s0
	v_cndmask_b32_e64 v34, v33, v21, s0
                                        ; implicit-def: $vgpr20_vgpr21
	v_cmp_ge_i32_e64 s2, v35, v29
	v_cmp_lt_i32_e64 s3, v34, v24
	s_or_b32 s1, s2, s1
	s_and_b32 s1, s3, s1
	s_xor_b32 s2, s1, -1
	s_and_saveexec_b32 s3, s2
	s_xor_b32 s2, exec_lo, s3
; %bb.69:
	v_lshl_add_u32 v20, v35, 3, v26
	ds_read_b64 v[20:21], v20 offset:8
; %bb.70:
	s_or_saveexec_b32 s2, s2
	v_mov_b32_e32 v23, v19
	v_mov_b32_e32 v22, v18
	s_xor_b32 exec_lo, exec_lo, s2
	s_cbranch_execz .LBB185_72
; %bb.71:
	s_waitcnt lgkmcnt(0)
	v_lshl_add_u32 v20, v34, 3, v26
	ds_read_b64 v[22:23], v20 offset:8
	v_mov_b32_e32 v21, v17
	v_mov_b32_e32 v20, v16
.LBB185_72:
	s_or_b32 exec_lo, exec_lo, s2
	v_add_nc_u32_e32 v36, 1, v35
	v_add_nc_u32_e32 v37, 1, v34
	v_cndmask_b32_e64 v38, v35, v34, s1
	v_cndmask_b32_e64 v32, v32, v33, s0
	s_waitcnt lgkmcnt(0)
	v_cmp_lt_i64_e64 s2, v[22:23], v[20:21]
	v_cndmask_b32_e64 v35, v36, v35, s1
	v_cndmask_b32_e64 v33, v34, v37, s1
	v_cndmask_b32_e32 v30, v31, v30, vcc_lo
	; wave barrier
	v_cmp_ge_i32_e64 s3, v35, v29
	v_cmp_lt_i32_e64 s4, v33, v24
	ds_write2_b64 v27, v[0:1], v[2:3] offset0:2 offset1:3
	v_lshl_add_u32 v1, v30, 3, v26
	v_lshl_add_u32 v2, v32, 3, v26
	s_or_b32 s2, s3, s2
	v_lshl_add_u32 v3, v38, 3, v26
	s_and_b32 s2, s4, s2
	ds_write2_b64 v27, v[4:5], v[6:7] offset1:1
	v_cndmask_b32_e64 v0, v35, v33, s2
	v_cndmask_b32_e64 v21, v21, v23, s2
	; wave barrier
	v_and_b32_e32 v24, 0x7c, v28
	v_lshl_add_u32 v23, v0, 3, v26
	v_cndmask_b32_e64 v16, v16, v18, s1
	ds_read_b64 v[4:5], v1
	ds_read_b64 v[6:7], v2
	;; [unrolled: 1-line block ×4, first 2 shown]
	v_cndmask_b32_e64 v13, v13, v15, s0
	v_subrev_nc_u32_e32 v18, 64, v24
	v_cndmask_b32_e64 v12, v12, v14, s0
	v_cmp_lt_i32_e64 s0, 63, v24
	v_cndmask_b32_e32 v11, v9, v11, vcc_lo
	v_min_i32_e32 v9, 64, v24
	v_cndmask_b32_e32 v10, v8, v10, vcc_lo
	v_cndmask_b32_e64 v17, v17, v19, s1
	v_cndmask_b32_e64 v28, 0, v18, s0
	v_cndmask_b32_e64 v20, v20, v22, s2
	s_mov_b32 s0, exec_lo
	; wave barrier
	ds_write2_b64 v27, v[10:11], v[12:13] offset1:1
	ds_write2_b64 v27, v[16:17], v[20:21] offset0:2 offset1:3
	; wave barrier
	v_cmpx_lt_i32_e64 v28, v9
	s_cbranch_execz .LBB185_76
; %bb.73:
	v_lshlrev_b32_e32 v8, 3, v24
	s_mov_b32 s1, 0
	v_add3_u32 v8, 0x200, v26, v8
	.p2align	6
.LBB185_74:                             ; =>This Inner Loop Header: Depth=1
	v_sub_nc_u32_e32 v10, v9, v28
	v_lshrrev_b32_e32 v10, 1, v10
	v_add_nc_u32_e32 v14, v10, v28
	v_not_b32_e32 v10, v14
	v_lshl_add_u32 v11, v14, 3, v26
	v_lshl_add_u32 v12, v10, 3, v8
	ds_read_b64 v[10:11], v11
	ds_read_b64 v[12:13], v12
	s_waitcnt lgkmcnt(0)
	v_cmp_lt_i64_e32 vcc_lo, v[12:13], v[10:11]
	v_add_nc_u32_e32 v10, 1, v14
	v_cndmask_b32_e32 v9, v9, v14, vcc_lo
	v_cndmask_b32_e32 v28, v10, v28, vcc_lo
	v_cmp_ge_i32_e32 vcc_lo, v28, v9
	s_or_b32 s1, vcc_lo, s1
	s_andn2_b32 exec_lo, exec_lo, s1
	s_cbranch_execnz .LBB185_74
; %bb.75:
	s_or_b32 exec_lo, exec_lo, s1
.LBB185_76:
	s_or_b32 exec_lo, exec_lo, s0
	v_add_nc_u32_e32 v8, 64, v24
	v_lshl_add_u32 v14, v28, 3, v26
	v_cmp_le_i32_e64 s0, 64, v28
                                        ; implicit-def: $vgpr12_vgpr13
	v_sub_nc_u32_e32 v29, v8, v28
	v_lshl_add_u32 v16, v29, 3, v26
	v_cmp_gt_i32_e64 s1, 0x80, v29
	ds_read_b64 v[8:9], v14
	ds_read_b64 v[10:11], v16
	s_waitcnt lgkmcnt(0)
	v_cmp_lt_i64_e32 vcc_lo, v[10:11], v[8:9]
	s_or_b32 s0, s0, vcc_lo
	s_and_b32 vcc_lo, s1, s0
	s_xor_b32 s0, vcc_lo, -1
	s_and_saveexec_b32 s1, s0
	s_xor_b32 s0, exec_lo, s1
; %bb.77:
	ds_read_b64 v[12:13], v14 offset:8
                                        ; implicit-def: $vgpr16
; %bb.78:
	s_or_saveexec_b32 s0, s0
	v_mov_b32_e32 v15, v11
	v_mov_b32_e32 v14, v10
	s_xor_b32 exec_lo, exec_lo, s0
	s_cbranch_execz .LBB185_80
; %bb.79:
	ds_read_b64 v[14:15], v16 offset:8
	s_waitcnt lgkmcnt(1)
	v_mov_b32_e32 v13, v9
	v_mov_b32_e32 v12, v8
.LBB185_80:
	s_or_b32 exec_lo, exec_lo, s0
	v_add_nc_u32_e32 v16, 1, v28
	v_add_nc_u32_e32 v17, 1, v29
	s_waitcnt lgkmcnt(0)
	v_cmp_lt_i64_e64 s0, v[14:15], v[12:13]
	v_cndmask_b32_e32 v30, v16, v28, vcc_lo
	v_cndmask_b32_e32 v31, v29, v17, vcc_lo
                                        ; implicit-def: $vgpr16_vgpr17
	v_cmp_le_i32_e64 s1, 64, v30
	v_cmp_gt_i32_e64 s2, 0x80, v31
	s_or_b32 s0, s1, s0
	s_and_b32 s0, s2, s0
	s_xor_b32 s1, s0, -1
	s_and_saveexec_b32 s2, s1
	s_xor_b32 s1, exec_lo, s2
; %bb.81:
	v_lshl_add_u32 v16, v30, 3, v26
	ds_read_b64 v[16:17], v16 offset:8
; %bb.82:
	s_or_saveexec_b32 s1, s1
	v_mov_b32_e32 v19, v15
	v_mov_b32_e32 v18, v14
	s_xor_b32 exec_lo, exec_lo, s1
	s_cbranch_execz .LBB185_84
; %bb.83:
	s_waitcnt lgkmcnt(0)
	v_lshl_add_u32 v16, v31, 3, v26
	ds_read_b64 v[18:19], v16 offset:8
	v_mov_b32_e32 v17, v13
	v_mov_b32_e32 v16, v12
.LBB185_84:
	s_or_b32 exec_lo, exec_lo, s1
	v_add_nc_u32_e32 v20, 1, v30
	v_add_nc_u32_e32 v21, 1, v31
	s_waitcnt lgkmcnt(0)
	v_cmp_lt_i64_e64 s1, v[18:19], v[16:17]
	v_cndmask_b32_e64 v33, v20, v30, s0
	v_cndmask_b32_e64 v32, v31, v21, s0
                                        ; implicit-def: $vgpr20_vgpr21
	v_cmp_le_i32_e64 s2, 64, v33
	v_cmp_gt_i32_e64 s3, 0x80, v32
	s_or_b32 s1, s2, s1
	s_and_b32 s1, s3, s1
	s_xor_b32 s2, s1, -1
	s_and_saveexec_b32 s3, s2
	s_xor_b32 s2, exec_lo, s3
; %bb.85:
	v_lshl_add_u32 v20, v33, 3, v26
	ds_read_b64 v[20:21], v20 offset:8
; %bb.86:
	s_or_saveexec_b32 s2, s2
	v_mov_b32_e32 v23, v19
	v_mov_b32_e32 v22, v18
	s_xor_b32 exec_lo, exec_lo, s2
	s_cbranch_execz .LBB185_88
; %bb.87:
	s_waitcnt lgkmcnt(0)
	v_lshl_add_u32 v20, v32, 3, v26
	ds_read_b64 v[22:23], v20 offset:8
	v_mov_b32_e32 v21, v17
	v_mov_b32_e32 v20, v16
.LBB185_88:
	s_or_b32 exec_lo, exec_lo, s2
	v_add_nc_u32_e32 v34, 1, v33
	v_add_nc_u32_e32 v35, 1, v32
	s_waitcnt lgkmcnt(0)
	v_cmp_lt_i64_e64 s2, v[22:23], v[20:21]
	v_cndmask_b32_e32 v28, v28, v29, vcc_lo
	v_cndmask_b32_e64 v30, v30, v31, s0
	v_cndmask_b32_e64 v34, v34, v33, s1
	;; [unrolled: 1-line block ×4, first 2 shown]
	; wave barrier
	v_cmp_le_i32_e64 s3, 64, v34
	ds_write2_b64 v27, v[4:5], v[6:7] offset1:1
	v_cmp_gt_i32_e64 s4, 0x80, v32
	ds_write2_b64 v27, v[0:1], v[2:3] offset0:2 offset1:3
	v_lshl_add_u32 v0, v28, 3, v26
	s_or_b32 s2, s3, s2
	v_lshl_add_u32 v2, v30, 3, v26
	s_and_b32 s2, s4, s2
	v_lshl_add_u32 v3, v33, 3, v26
	v_cndmask_b32_e64 v4, v34, v32, s2
	; wave barrier
	v_cndmask_b32_e64 v16, v16, v18, s1
	v_or_b32_e32 v18, 0xffffff80, v24
	v_lshl_add_u32 v6, v4, 3, v26
	v_cndmask_b32_e64 v13, v13, v15, s0
	ds_read_b64 v[0:1], v0
	ds_read_b64 v[4:5], v2
	;; [unrolled: 1-line block ×4, first 2 shown]
	v_cndmask_b32_e64 v12, v12, v14, s0
	v_cmp_lt_i32_e64 s0, 0x7f, v24
	v_cndmask_b32_e32 v9, v9, v11, vcc_lo
	v_cndmask_b32_e32 v8, v8, v10, vcc_lo
	v_cndmask_b32_e64 v21, v21, v23, s2
	v_cndmask_b32_e64 v17, v17, v19, s1
	;; [unrolled: 1-line block ×4, first 2 shown]
	s_mov_b32 s0, exec_lo
	; wave barrier
	ds_write2_b64 v27, v[8:9], v[12:13] offset1:1
	ds_write2_b64 v27, v[16:17], v[20:21] offset0:2 offset1:3
	; wave barrier
	v_cmpx_lt_i32_e64 v28, v24
	s_cbranch_execz .LBB185_92
; %bb.89:
	v_lshlrev_b32_e32 v8, 3, v24
	v_mov_b32_e32 v9, v24
	s_mov_b32 s1, 0
	v_add3_u32 v8, 0x400, v26, v8
	.p2align	6
.LBB185_90:                             ; =>This Inner Loop Header: Depth=1
	v_sub_nc_u32_e32 v10, v9, v28
	v_lshrrev_b32_e32 v10, 1, v10
	v_add_nc_u32_e32 v14, v10, v28
	v_not_b32_e32 v10, v14
	v_lshl_add_u32 v11, v14, 3, v26
	v_lshl_add_u32 v12, v10, 3, v8
	ds_read_b64 v[10:11], v11
	ds_read_b64 v[12:13], v12
	s_waitcnt lgkmcnt(0)
	v_cmp_lt_i64_e32 vcc_lo, v[12:13], v[10:11]
	v_add_nc_u32_e32 v10, 1, v14
	v_cndmask_b32_e32 v9, v9, v14, vcc_lo
	v_cndmask_b32_e32 v28, v10, v28, vcc_lo
	v_cmp_ge_i32_e32 vcc_lo, v28, v9
	s_or_b32 s1, vcc_lo, s1
	s_andn2_b32 exec_lo, exec_lo, s1
	s_cbranch_execnz .LBB185_90
; %bb.91:
	s_or_b32 exec_lo, exec_lo, s1
.LBB185_92:
	s_or_b32 exec_lo, exec_lo, s0
	v_add_nc_u32_e32 v8, 0x80, v24
	v_lshl_add_u32 v14, v28, 3, v26
	v_cmp_le_i32_e64 s0, 0x80, v28
                                        ; implicit-def: $vgpr12_vgpr13
	v_sub_nc_u32_e32 v24, v8, v28
	v_lshl_add_u32 v16, v24, 3, v26
	v_cmp_gt_i32_e64 s1, 0x100, v24
	ds_read_b64 v[8:9], v14
	ds_read_b64 v[10:11], v16
	s_waitcnt lgkmcnt(0)
	v_cmp_lt_i64_e32 vcc_lo, v[10:11], v[8:9]
	s_or_b32 s0, s0, vcc_lo
	s_and_b32 vcc_lo, s1, s0
	s_xor_b32 s0, vcc_lo, -1
	s_and_saveexec_b32 s1, s0
	s_xor_b32 s0, exec_lo, s1
; %bb.93:
	ds_read_b64 v[12:13], v14 offset:8
                                        ; implicit-def: $vgpr16
; %bb.94:
	s_or_saveexec_b32 s0, s0
	v_mov_b32_e32 v15, v11
	v_mov_b32_e32 v14, v10
	s_xor_b32 exec_lo, exec_lo, s0
	s_cbranch_execz .LBB185_96
; %bb.95:
	ds_read_b64 v[14:15], v16 offset:8
	s_waitcnt lgkmcnt(1)
	v_mov_b32_e32 v13, v9
	v_mov_b32_e32 v12, v8
.LBB185_96:
	s_or_b32 exec_lo, exec_lo, s0
	v_add_nc_u32_e32 v16, 1, v28
	v_add_nc_u32_e32 v17, 1, v24
	s_waitcnt lgkmcnt(0)
	v_cmp_lt_i64_e64 s0, v[14:15], v[12:13]
                                        ; implicit-def: $vgpr22_vgpr23
	v_cndmask_b32_e32 v29, v16, v28, vcc_lo
	v_cndmask_b32_e32 v30, v24, v17, vcc_lo
	v_cmp_le_i32_e64 s1, 0x80, v29
	v_cmp_gt_i32_e64 s2, 0x100, v30
	s_or_b32 s0, s1, s0
	s_and_b32 s0, s2, s0
	s_xor_b32 s1, s0, -1
	s_and_saveexec_b32 s2, s1
	s_xor_b32 s1, exec_lo, s2
; %bb.97:
	v_lshl_add_u32 v16, v29, 3, v26
	ds_read_b64 v[22:23], v16 offset:8
; %bb.98:
	s_or_saveexec_b32 s1, s1
	v_mov_b32_e32 v17, v15
	v_mov_b32_e32 v16, v14
	s_xor_b32 exec_lo, exec_lo, s1
	s_cbranch_execz .LBB185_100
; %bb.99:
	v_lshl_add_u32 v16, v30, 3, v26
	s_waitcnt lgkmcnt(0)
	v_mov_b32_e32 v23, v13
	v_mov_b32_e32 v22, v12
	ds_read_b64 v[16:17], v16 offset:8
.LBB185_100:
	s_or_b32 exec_lo, exec_lo, s1
	v_add_nc_u32_e32 v18, 1, v29
	v_add_nc_u32_e32 v19, 1, v30
	s_waitcnt lgkmcnt(0)
	v_cmp_ge_i64_e64 s1, v[16:17], v[22:23]
                                        ; implicit-def: $vgpr32
	v_cndmask_b32_e64 v34, v18, v29, s0
	v_cndmask_b32_e64 v31, v30, v19, s0
                                        ; implicit-def: $vgpr18_vgpr19
	v_cmp_gt_i32_e64 s2, 0x80, v34
	v_cmp_le_i32_e64 s3, 0x100, v31
	s_and_b32 s1, s2, s1
	s_or_b32 s1, s3, s1
	s_and_saveexec_b32 s2, s1
	s_xor_b32 s1, exec_lo, s2
; %bb.101:
	v_lshl_add_u32 v18, v34, 3, v26
	v_add_nc_u32_e32 v32, 1, v34
	ds_read_b64 v[18:19], v18 offset:8
; %bb.102:
	s_or_saveexec_b32 s1, s1
	v_mov_b32_e32 v20, v22
	v_mov_b32_e32 v21, v23
	;; [unrolled: 1-line block ×3, first 2 shown]
	s_xor_b32 exec_lo, exec_lo, s1
	s_cbranch_execz .LBB185_104
; %bb.103:
	s_waitcnt lgkmcnt(0)
	v_lshl_add_u32 v18, v31, 3, v26
	v_mov_b32_e32 v21, v17
	v_mov_b32_e32 v20, v16
	;; [unrolled: 1-line block ×4, first 2 shown]
	ds_read_b64 v[35:36], v18 offset:8
	v_add_nc_u32_e32 v18, 1, v31
	v_mov_b32_e32 v31, v18
	v_mov_b32_e32 v18, v22
	;; [unrolled: 1-line block ×3, first 2 shown]
	s_waitcnt lgkmcnt(0)
	v_mov_b32_e32 v16, v35
	v_mov_b32_e32 v17, v36
.LBB185_104:
	s_or_b32 exec_lo, exec_lo, s1
	s_waitcnt lgkmcnt(0)
	v_cmp_lt_i64_e64 s1, v[16:17], v[18:19]
	v_cmp_le_i32_e64 s2, 0x80, v32
	v_cmp_gt_i32_e64 s3, 0x100, v31
	v_cndmask_b32_e32 v23, v28, v24, vcc_lo
	v_cndmask_b32_e64 v22, v29, v30, s0
	s_or_b32 s1, s2, s1
	; wave barrier
	s_and_b32 s1, s3, s1
	v_lshl_add_u32 v23, v23, 3, v26
	ds_write2_b64 v27, v[0:1], v[4:5] offset1:1
	ds_write2_b64 v27, v[2:3], v[6:7] offset0:2 offset1:3
	v_cndmask_b32_e64 v4, v32, v31, s1
	v_lshl_add_u32 v2, v22, 3, v26
	; wave barrier
	ds_read_b64 v[0:1], v23
	v_lshl_add_u32 v5, v33, 3, v26
	v_lshl_add_u32 v6, v4, 3, v26
	ds_read_b64 v[2:3], v2
	ds_read_b64 v[4:5], v5
	;; [unrolled: 1-line block ×3, first 2 shown]
	v_cndmask_b32_e32 v8, v8, v10, vcc_lo
	v_cndmask_b32_e64 v10, v12, v14, s0
	v_cndmask_b32_e32 v9, v9, v11, vcc_lo
	v_cndmask_b32_e64 v13, v13, v15, s0
	v_cndmask_b32_e64 v11, v18, v16, s1
	;; [unrolled: 1-line block ×3, first 2 shown]
	s_add_u32 s0, s10, s6
	s_addc_u32 s1, s11, s7
	s_waitcnt lgkmcnt(3)
	v_add_co_u32 v0, vcc_lo, v0, v8
	v_add_co_ci_u32_e64 v1, null, v1, v9, vcc_lo
	s_waitcnt lgkmcnt(2)
	v_add_co_u32 v2, vcc_lo, v2, v10
	v_add_co_ci_u32_e64 v3, null, v3, v13, vcc_lo
	;; [unrolled: 3-line block ×3, first 2 shown]
	s_waitcnt lgkmcnt(0)
	v_add_co_u32 v6, vcc_lo, v6, v11
	v_lshlrev_b32_e32 v8, 3, v25
	v_add_co_ci_u32_e64 v7, null, v7, v17, vcc_lo
	global_store_dwordx4 v8, v[0:3], s[0:1]
	global_store_dwordx4 v8, v[4:7], s[0:1] offset:16
	s_endpgm
	.section	.rodata,"a",@progbits
	.p2align	6, 0x0
	.amdhsa_kernel _Z10sort_pairsILj256ELj64ELj4ExN10test_utils4lessEEvPKT2_PS2_T3_
		.amdhsa_group_segment_fixed_size 8224
		.amdhsa_private_segment_fixed_size 0
		.amdhsa_kernarg_size 20
		.amdhsa_user_sgpr_count 6
		.amdhsa_user_sgpr_private_segment_buffer 1
		.amdhsa_user_sgpr_dispatch_ptr 0
		.amdhsa_user_sgpr_queue_ptr 0
		.amdhsa_user_sgpr_kernarg_segment_ptr 1
		.amdhsa_user_sgpr_dispatch_id 0
		.amdhsa_user_sgpr_flat_scratch_init 0
		.amdhsa_user_sgpr_private_segment_size 0
		.amdhsa_wavefront_size32 1
		.amdhsa_uses_dynamic_stack 0
		.amdhsa_system_sgpr_private_segment_wavefront_offset 0
		.amdhsa_system_sgpr_workgroup_id_x 1
		.amdhsa_system_sgpr_workgroup_id_y 0
		.amdhsa_system_sgpr_workgroup_id_z 0
		.amdhsa_system_sgpr_workgroup_info 0
		.amdhsa_system_vgpr_workitem_id 0
		.amdhsa_next_free_vgpr 41
		.amdhsa_next_free_sgpr 12
		.amdhsa_reserve_vcc 1
		.amdhsa_reserve_flat_scratch 0
		.amdhsa_float_round_mode_32 0
		.amdhsa_float_round_mode_16_64 0
		.amdhsa_float_denorm_mode_32 3
		.amdhsa_float_denorm_mode_16_64 3
		.amdhsa_dx10_clamp 1
		.amdhsa_ieee_mode 1
		.amdhsa_fp16_overflow 0
		.amdhsa_workgroup_processor_mode 1
		.amdhsa_memory_ordered 1
		.amdhsa_forward_progress 1
		.amdhsa_shared_vgpr_count 0
		.amdhsa_exception_fp_ieee_invalid_op 0
		.amdhsa_exception_fp_denorm_src 0
		.amdhsa_exception_fp_ieee_div_zero 0
		.amdhsa_exception_fp_ieee_overflow 0
		.amdhsa_exception_fp_ieee_underflow 0
		.amdhsa_exception_fp_ieee_inexact 0
		.amdhsa_exception_int_div_zero 0
	.end_amdhsa_kernel
	.section	.text._Z10sort_pairsILj256ELj64ELj4ExN10test_utils4lessEEvPKT2_PS2_T3_,"axG",@progbits,_Z10sort_pairsILj256ELj64ELj4ExN10test_utils4lessEEvPKT2_PS2_T3_,comdat
.Lfunc_end185:
	.size	_Z10sort_pairsILj256ELj64ELj4ExN10test_utils4lessEEvPKT2_PS2_T3_, .Lfunc_end185-_Z10sort_pairsILj256ELj64ELj4ExN10test_utils4lessEEvPKT2_PS2_T3_
                                        ; -- End function
	.set _Z10sort_pairsILj256ELj64ELj4ExN10test_utils4lessEEvPKT2_PS2_T3_.num_vgpr, 41
	.set _Z10sort_pairsILj256ELj64ELj4ExN10test_utils4lessEEvPKT2_PS2_T3_.num_agpr, 0
	.set _Z10sort_pairsILj256ELj64ELj4ExN10test_utils4lessEEvPKT2_PS2_T3_.numbered_sgpr, 12
	.set _Z10sort_pairsILj256ELj64ELj4ExN10test_utils4lessEEvPKT2_PS2_T3_.num_named_barrier, 0
	.set _Z10sort_pairsILj256ELj64ELj4ExN10test_utils4lessEEvPKT2_PS2_T3_.private_seg_size, 0
	.set _Z10sort_pairsILj256ELj64ELj4ExN10test_utils4lessEEvPKT2_PS2_T3_.uses_vcc, 1
	.set _Z10sort_pairsILj256ELj64ELj4ExN10test_utils4lessEEvPKT2_PS2_T3_.uses_flat_scratch, 0
	.set _Z10sort_pairsILj256ELj64ELj4ExN10test_utils4lessEEvPKT2_PS2_T3_.has_dyn_sized_stack, 0
	.set _Z10sort_pairsILj256ELj64ELj4ExN10test_utils4lessEEvPKT2_PS2_T3_.has_recursion, 0
	.set _Z10sort_pairsILj256ELj64ELj4ExN10test_utils4lessEEvPKT2_PS2_T3_.has_indirect_call, 0
	.section	.AMDGPU.csdata,"",@progbits
; Kernel info:
; codeLenInByte = 5920
; TotalNumSgprs: 14
; NumVgprs: 41
; ScratchSize: 0
; MemoryBound: 0
; FloatMode: 240
; IeeeMode: 1
; LDSByteSize: 8224 bytes/workgroup (compile time only)
; SGPRBlocks: 0
; VGPRBlocks: 5
; NumSGPRsForWavesPerEU: 14
; NumVGPRsForWavesPerEU: 41
; Occupancy: 16
; WaveLimiterHint : 0
; COMPUTE_PGM_RSRC2:SCRATCH_EN: 0
; COMPUTE_PGM_RSRC2:USER_SGPR: 6
; COMPUTE_PGM_RSRC2:TRAP_HANDLER: 0
; COMPUTE_PGM_RSRC2:TGID_X_EN: 1
; COMPUTE_PGM_RSRC2:TGID_Y_EN: 0
; COMPUTE_PGM_RSRC2:TGID_Z_EN: 0
; COMPUTE_PGM_RSRC2:TIDIG_COMP_CNT: 0
	.section	.text._Z19sort_keys_segmentedILj256ELj64ELj4ExN10test_utils4lessEEvPKT2_PS2_PKjT3_,"axG",@progbits,_Z19sort_keys_segmentedILj256ELj64ELj4ExN10test_utils4lessEEvPKT2_PS2_PKjT3_,comdat
	.protected	_Z19sort_keys_segmentedILj256ELj64ELj4ExN10test_utils4lessEEvPKT2_PS2_PKjT3_ ; -- Begin function _Z19sort_keys_segmentedILj256ELj64ELj4ExN10test_utils4lessEEvPKT2_PS2_PKjT3_
	.globl	_Z19sort_keys_segmentedILj256ELj64ELj4ExN10test_utils4lessEEvPKT2_PS2_PKjT3_
	.p2align	8
	.type	_Z19sort_keys_segmentedILj256ELj64ELj4ExN10test_utils4lessEEvPKT2_PS2_PKjT3_,@function
_Z19sort_keys_segmentedILj256ELj64ELj4ExN10test_utils4lessEEvPKT2_PS2_PKjT3_: ; @_Z19sort_keys_segmentedILj256ELj64ELj4ExN10test_utils4lessEEvPKT2_PS2_PKjT3_
; %bb.0:
	s_clause 0x1
	s_load_dwordx2 s[0:1], s[4:5], 0x10
	s_load_dwordx4 s[8:11], s[4:5], 0x0
	v_lshrrev_b32_e32 v14, 6, v0
	v_mov_b32_e32 v1, 0
	v_lshl_or_b32 v0, s6, 2, v14
	v_mov_b32_e32 v4, v1
	v_mov_b32_e32 v5, v1
	;; [unrolled: 1-line block ×3, first 2 shown]
	v_lshlrev_b64 v[2:3], 2, v[0:1]
	v_lshlrev_b32_e32 v0, 8, v0
	v_lshlrev_b64 v[8:9], 3, v[0:1]
	v_mov_b32_e32 v0, v1
	s_waitcnt lgkmcnt(0)
	v_add_co_u32 v2, vcc_lo, s0, v2
	v_add_co_ci_u32_e64 v3, null, s1, v3, vcc_lo
	v_add_co_u32 v10, vcc_lo, s8, v8
	v_add_co_ci_u32_e64 v11, null, s9, v9, vcc_lo
	global_load_dword v18, v[2:3], off
	v_mbcnt_lo_u32_b32 v2, -1, 0
	v_mov_b32_e32 v3, v1
	v_lshlrev_b32_e32 v7, 5, v2
	v_lshlrev_b32_e32 v21, 2, v2
	v_mov_b32_e32 v2, v1
	v_add_co_u32 v10, vcc_lo, v10, v7
	v_add_co_ci_u32_e64 v11, null, 0, v11, vcc_lo
	v_mov_b32_e32 v7, v1
	s_waitcnt vmcnt(0)
	v_cmp_lt_u32_e32 vcc_lo, v21, v18
	s_and_saveexec_b32 s0, vcc_lo
	s_cbranch_execz .LBB186_2
; %bb.1:
	global_load_dwordx2 v[22:23], v[10:11], off
	v_mov_b32_e32 v24, v1
	v_mov_b32_e32 v25, v1
	v_mov_b32_e32 v26, v1
	v_mov_b32_e32 v27, v1
	v_mov_b32_e32 v28, v1
	v_mov_b32_e32 v29, v1
	s_waitcnt vmcnt(0)
	v_mov_b32_e32 v0, v22
	v_mov_b32_e32 v1, v23
	;; [unrolled: 1-line block ×8, first 2 shown]
.LBB186_2:
	s_or_b32 exec_lo, exec_lo, s0
	v_or_b32_e32 v12, 1, v21
	v_cmp_lt_u32_e64 s0, v12, v18
	s_and_saveexec_b32 s1, s0
	s_cbranch_execz .LBB186_4
; %bb.3:
	global_load_dwordx2 v[2:3], v[10:11], off offset:8
.LBB186_4:
	s_or_b32 exec_lo, exec_lo, s1
	v_or_b32_e32 v13, 2, v21
	v_cmp_lt_u32_e64 s1, v13, v18
	s_and_saveexec_b32 s2, s1
	s_cbranch_execz .LBB186_6
; %bb.5:
	global_load_dwordx2 v[4:5], v[10:11], off offset:16
.LBB186_6:
	;; [unrolled: 8-line block ×3, first 2 shown]
	s_or_b32 exec_lo, exec_lo, s3
	v_cmp_lt_i32_e64 s3, v13, v18
	v_cmp_lt_i32_e64 s4, v15, v18
	v_cmp_lt_i32_e64 s5, v12, v18
	s_mov_b32 s6, exec_lo
	s_or_b32 s3, s4, s3
	s_waitcnt vmcnt(0)
	v_cndmask_b32_e64 v7, 0x7fffffff, v7, s4
	v_cndmask_b32_e64 v5, 0x7fffffff, v5, s3
	v_cndmask_b32_e64 v4, -1, v4, s3
	s_or_b32 s3, s3, s5
	v_cndmask_b32_e64 v6, -1, v6, s4
	v_cndmask_b32_e64 v3, 0x7fffffff, v3, s3
	v_cndmask_b32_e64 v2, -1, v2, s3
	v_cmpx_lt_i32_e64 v21, v18
	s_cbranch_execz .LBB186_12
; %bb.9:
	v_cmp_gt_i64_e64 s3, v[2:3], v[0:1]
	v_cmp_lt_i64_e64 s4, v[6:7], v[4:5]
	v_cmp_lt_i64_e64 s5, v[2:3], v[0:1]
	v_cndmask_b32_e64 v11, v1, v3, s3
	v_cndmask_b32_e64 v10, v0, v2, s3
	v_cmp_gt_i64_e64 s3, v[6:7], v[4:5]
	v_cndmask_b32_e64 v13, v5, v7, s4
	v_cndmask_b32_e64 v12, v4, v6, s4
	;; [unrolled: 1-line block ×7, first 2 shown]
	v_cmp_lt_i64_e64 s5, v[12:13], v[10:11]
	v_cndmask_b32_e64 v19, v7, v5, s4
	v_cndmask_b32_e64 v5, v5, v7, s3
	;; [unrolled: 1-line block ×3, first 2 shown]
	v_cmp_gt_i64_e64 s3, v[12:13], v[10:11]
	v_cmp_lt_i64_e64 s4, v[12:13], v[0:1]
	v_cndmask_b32_e64 v3, v15, v13, s5
	v_cndmask_b32_e64 v20, v12, v10, s5
	;; [unrolled: 1-line block ×6, first 2 shown]
	v_cmp_gt_i64_e64 s3, v[10:11], v[4:5]
	v_cndmask_b32_e64 v17, v11, v13, s5
	v_cndmask_b32_e64 v23, v10, v12, s5
	;; [unrolled: 1-line block ×14, first 2 shown]
	s_mov_b32 s3, exec_lo
	v_cmpx_lt_i64_e64 v[12:13], v[10:11]
; %bb.10:
	v_mov_b32_e32 v2, v12
	v_mov_b32_e32 v3, v13
	;; [unrolled: 1-line block ×4, first 2 shown]
; %bb.11:
	s_or_b32 exec_lo, exec_lo, s3
.LBB186_12:
	s_or_b32 exec_lo, exec_lo, s6
	v_and_b32_e32 v10, 0x78, v21
	v_and_b32_e32 v12, 4, v21
	v_lshlrev_b32_e32 v19, 3, v21
	v_mul_u32_u24_e32 v20, 0x808, v14
	v_min_i32_e32 v10, v18, v10
	; wave barrier
	v_mad_u32_u24 v22, 0x808, v14, v19
	s_mov_b32 s5, 0
	s_mov_b32 s4, exec_lo
	v_add_nc_u32_e32 v11, 4, v10
	v_lshlrev_b32_e32 v16, 3, v10
	ds_write2_b64 v22, v[0:1], v[2:3] offset1:1
	ds_write2_b64 v22, v[4:5], v[6:7] offset0:2 offset1:3
	v_min_i32_e32 v26, v18, v11
	v_mad_u32_u24 v0, 0x808, v14, v16
	; wave barrier
	v_add_nc_u32_e32 v11, 4, v26
	v_sub_nc_u32_e32 v15, v26, v10
	v_min_i32_e32 v24, v18, v11
	v_min_i32_e32 v11, v18, v12
	v_sub_nc_u32_e32 v12, v24, v26
	v_sub_nc_u32_e32 v13, v11, v12
	v_cmp_ge_i32_e64 s3, v11, v12
	v_cndmask_b32_e64 v12, 0, v13, s3
	v_min_i32_e32 v13, v11, v15
	v_cmpx_lt_i32_e64 v12, v13
	s_cbranch_execz .LBB186_16
; %bb.13:
	v_lshlrev_b32_e32 v1, 3, v26
	v_lshlrev_b32_e32 v2, 3, v11
	v_add3_u32 v1, v20, v1, v2
	.p2align	6
.LBB186_14:                             ; =>This Inner Loop Header: Depth=1
	v_sub_nc_u32_e32 v2, v13, v12
	v_lshrrev_b32_e32 v2, 1, v2
	v_add_nc_u32_e32 v6, v2, v12
	v_not_b32_e32 v2, v6
	v_lshl_add_u32 v3, v6, 3, v0
	v_lshl_add_u32 v4, v2, 3, v1
	ds_read_b64 v[2:3], v3
	ds_read_b64 v[4:5], v4
	s_waitcnt lgkmcnt(0)
	v_cmp_lt_i64_e64 s3, v[4:5], v[2:3]
	v_add_nc_u32_e32 v2, 1, v6
	v_cndmask_b32_e64 v13, v13, v6, s3
	v_cndmask_b32_e64 v12, v2, v12, s3
	v_cmp_ge_i32_e64 s3, v12, v13
	s_or_b32 s5, s3, s5
	s_andn2_b32 exec_lo, exec_lo, s5
	s_cbranch_execnz .LBB186_14
; %bb.15:
	s_or_b32 exec_lo, exec_lo, s5
.LBB186_16:
	s_or_b32 exec_lo, exec_lo, s4
	v_add_nc_u32_e32 v1, v26, v11
	v_lshl_add_u32 v6, v12, 3, v0
	v_add_nc_u32_e32 v10, v12, v10
                                        ; implicit-def: $vgpr4_vgpr5
	v_sub_nc_u32_e32 v11, v1, v12
	v_cmp_le_i32_e64 s4, v26, v10
	v_lshl_add_u32 v13, v11, 3, v20
	v_cmp_gt_i32_e64 s5, v24, v11
	ds_read_b64 v[0:1], v6
	ds_read_b64 v[2:3], v13
	s_waitcnt lgkmcnt(0)
	v_cmp_lt_i64_e64 s3, v[2:3], v[0:1]
	s_or_b32 s3, s4, s3
	s_and_b32 s3, s5, s3
	s_xor_b32 s4, s3, -1
	s_and_saveexec_b32 s5, s4
	s_xor_b32 s4, exec_lo, s5
; %bb.17:
	ds_read_b64 v[4:5], v6 offset:8
                                        ; implicit-def: $vgpr13
; %bb.18:
	s_or_saveexec_b32 s4, s4
	v_mov_b32_e32 v7, v3
	v_mov_b32_e32 v6, v2
	s_xor_b32 exec_lo, exec_lo, s4
	s_cbranch_execz .LBB186_20
; %bb.19:
	ds_read_b64 v[6:7], v13 offset:8
	s_waitcnt lgkmcnt(1)
	v_mov_b32_e32 v5, v1
	v_mov_b32_e32 v4, v0
.LBB186_20:
	s_or_b32 exec_lo, exec_lo, s4
	v_add_nc_u32_e32 v12, 1, v10
	v_add_nc_u32_e32 v13, 1, v11
	s_waitcnt lgkmcnt(0)
	v_cmp_lt_i64_e64 s4, v[6:7], v[4:5]
	v_cndmask_b32_e64 v15, v12, v10, s3
	v_cndmask_b32_e64 v14, v11, v13, s3
                                        ; implicit-def: $vgpr10_vgpr11
	v_cmp_ge_i32_e64 s5, v15, v26
	v_cmp_lt_i32_e64 s6, v14, v24
	s_or_b32 s4, s5, s4
	s_and_b32 s4, s6, s4
	s_xor_b32 s5, s4, -1
	s_and_saveexec_b32 s6, s5
	s_xor_b32 s5, exec_lo, s6
; %bb.21:
	v_lshl_add_u32 v10, v15, 3, v20
	ds_read_b64 v[10:11], v10 offset:8
; %bb.22:
	s_or_saveexec_b32 s5, s5
	v_mov_b32_e32 v13, v7
	v_mov_b32_e32 v12, v6
	s_xor_b32 exec_lo, exec_lo, s5
	s_cbranch_execz .LBB186_24
; %bb.23:
	s_waitcnt lgkmcnt(0)
	v_lshl_add_u32 v10, v14, 3, v20
	ds_read_b64 v[12:13], v10 offset:8
	v_mov_b32_e32 v11, v5
	v_mov_b32_e32 v10, v4
.LBB186_24:
	s_or_b32 exec_lo, exec_lo, s5
	v_add_nc_u32_e32 v16, 1, v15
	v_add_nc_u32_e32 v17, 1, v14
	s_waitcnt lgkmcnt(0)
	v_cmp_lt_i64_e64 s5, v[12:13], v[10:11]
	v_cndmask_b32_e64 v25, v16, v15, s4
	v_cndmask_b32_e64 v28, v14, v17, s4
                                        ; implicit-def: $vgpr14_vgpr15
	v_cmp_ge_i32_e64 s6, v25, v26
	v_cmp_lt_i32_e64 s7, v28, v24
	s_or_b32 s5, s6, s5
	s_and_b32 s5, s7, s5
	s_xor_b32 s6, s5, -1
	s_and_saveexec_b32 s7, s6
	s_xor_b32 s6, exec_lo, s7
; %bb.25:
	v_lshl_add_u32 v14, v25, 3, v20
	ds_read_b64 v[14:15], v14 offset:8
; %bb.26:
	s_or_saveexec_b32 s6, s6
	v_mov_b32_e32 v17, v13
	v_mov_b32_e32 v16, v12
	s_xor_b32 exec_lo, exec_lo, s6
	s_cbranch_execz .LBB186_28
; %bb.27:
	s_waitcnt lgkmcnt(0)
	v_lshl_add_u32 v14, v28, 3, v20
	ds_read_b64 v[16:17], v14 offset:8
	v_mov_b32_e32 v15, v11
	v_mov_b32_e32 v14, v10
.LBB186_28:
	s_or_b32 exec_lo, exec_lo, s6
	v_and_b32_e32 v23, 0x70, v21
	v_add_nc_u32_e32 v29, 1, v25
	v_cndmask_b32_e64 v10, v10, v12, s5
	v_add_nc_u32_e32 v12, 1, v28
	v_cndmask_b32_e64 v7, v5, v7, s4
	v_min_i32_e32 v27, v18, v23
	v_cndmask_b32_e64 v11, v11, v13, s5
	v_cndmask_b32_e64 v13, v1, v3, s3
	;; [unrolled: 1-line block ×4, first 2 shown]
	v_add_nc_u32_e32 v23, 8, v27
	v_cndmask_b32_e64 v4, v28, v12, s5
	v_and_b32_e32 v3, 12, v21
	s_waitcnt lgkmcnt(0)
	v_cmp_lt_i64_e64 s4, v[16:17], v[14:15]
	v_cmp_ge_i32_e64 s5, v1, v26
	v_min_i32_e32 v23, v18, v23
	v_cmp_lt_i32_e64 s6, v4, v24
	v_min_i32_e32 v1, v18, v3
	v_cndmask_b32_e64 v12, v0, v2, s3
	s_or_b32 s3, s5, s4
	v_add_nc_u32_e32 v5, 8, v23
	s_and_b32 s3, s6, s3
	v_sub_nc_u32_e32 v0, v23, v27
	v_cndmask_b32_e64 v15, v15, v17, s3
	v_cndmask_b32_e64 v14, v14, v16, s3
	v_min_i32_e32 v25, v18, v5
	s_mov_b32 s5, 0
	s_mov_b32 s4, exec_lo
	; wave barrier
	v_sub_nc_u32_e32 v3, v25, v23
	ds_write2_b64 v22, v[12:13], v[6:7] offset1:1
	ds_write2_b64 v22, v[10:11], v[14:15] offset0:2 offset1:3
	; wave barrier
	v_sub_nc_u32_e32 v2, v1, v3
	v_cmp_ge_i32_e64 s3, v1, v3
	v_cndmask_b32_e64 v4, 0, v2, s3
	v_min_i32_e32 v2, v1, v0
	v_lshl_add_u32 v0, v27, 3, v20
	v_cmpx_lt_i32_e64 v4, v2
	s_cbranch_execz .LBB186_32
; %bb.29:
	v_lshlrev_b32_e32 v3, 3, v23
	v_lshlrev_b32_e32 v5, 3, v1
	v_add3_u32 v3, v20, v3, v5
	.p2align	6
.LBB186_30:                             ; =>This Inner Loop Header: Depth=1
	v_sub_nc_u32_e32 v5, v2, v4
	v_lshrrev_b32_e32 v5, 1, v5
	v_add_nc_u32_e32 v7, v5, v4
	v_not_b32_e32 v5, v7
	v_lshl_add_u32 v6, v7, 3, v0
	v_lshl_add_u32 v10, v5, 3, v3
	ds_read_b64 v[5:6], v6
	ds_read_b64 v[10:11], v10
	s_waitcnt lgkmcnt(0)
	v_cmp_lt_i64_e64 s3, v[10:11], v[5:6]
	v_add_nc_u32_e32 v5, 1, v7
	v_cndmask_b32_e64 v2, v2, v7, s3
	v_cndmask_b32_e64 v4, v5, v4, s3
	v_cmp_ge_i32_e64 s3, v4, v2
	s_or_b32 s5, s3, s5
	s_andn2_b32 exec_lo, exec_lo, s5
	s_cbranch_execnz .LBB186_30
; %bb.31:
	s_or_b32 exec_lo, exec_lo, s5
.LBB186_32:
	s_or_b32 exec_lo, exec_lo, s4
	v_add_nc_u32_e32 v1, v23, v1
	v_lshl_add_u32 v6, v4, 3, v0
	v_add_nc_u32_e32 v11, v4, v27
	v_sub_nc_u32_e32 v10, v1, v4
                                        ; implicit-def: $vgpr4_vgpr5
	v_cmp_le_i32_e64 s4, v23, v11
	v_lshl_add_u32 v12, v10, 3, v20
	v_cmp_gt_i32_e64 s5, v25, v10
	ds_read_b64 v[0:1], v6
	ds_read_b64 v[2:3], v12
	s_waitcnt lgkmcnt(0)
	v_cmp_lt_i64_e64 s3, v[2:3], v[0:1]
	s_or_b32 s3, s4, s3
	s_and_b32 s3, s5, s3
	s_xor_b32 s4, s3, -1
	s_and_saveexec_b32 s5, s4
	s_xor_b32 s4, exec_lo, s5
; %bb.33:
	ds_read_b64 v[4:5], v6 offset:8
                                        ; implicit-def: $vgpr12
; %bb.34:
	s_or_saveexec_b32 s4, s4
	v_mov_b32_e32 v7, v3
	v_mov_b32_e32 v6, v2
	s_xor_b32 exec_lo, exec_lo, s4
	s_cbranch_execz .LBB186_36
; %bb.35:
	ds_read_b64 v[6:7], v12 offset:8
	s_waitcnt lgkmcnt(1)
	v_mov_b32_e32 v5, v1
	v_mov_b32_e32 v4, v0
.LBB186_36:
	s_or_b32 exec_lo, exec_lo, s4
	v_add_nc_u32_e32 v12, 1, v11
	v_add_nc_u32_e32 v13, 1, v10
	s_waitcnt lgkmcnt(0)
	v_cmp_lt_i64_e64 s4, v[6:7], v[4:5]
	v_cndmask_b32_e64 v15, v12, v11, s3
	v_cndmask_b32_e64 v14, v10, v13, s3
                                        ; implicit-def: $vgpr10_vgpr11
	v_cmp_ge_i32_e64 s5, v15, v23
	v_cmp_lt_i32_e64 s6, v14, v25
	s_or_b32 s4, s5, s4
	s_and_b32 s4, s6, s4
	s_xor_b32 s5, s4, -1
	s_and_saveexec_b32 s6, s5
	s_xor_b32 s5, exec_lo, s6
; %bb.37:
	v_lshl_add_u32 v10, v15, 3, v20
	ds_read_b64 v[10:11], v10 offset:8
; %bb.38:
	s_or_saveexec_b32 s5, s5
	v_mov_b32_e32 v13, v7
	v_mov_b32_e32 v12, v6
	s_xor_b32 exec_lo, exec_lo, s5
	s_cbranch_execz .LBB186_40
; %bb.39:
	s_waitcnt lgkmcnt(0)
	v_lshl_add_u32 v10, v14, 3, v20
	ds_read_b64 v[12:13], v10 offset:8
	v_mov_b32_e32 v11, v5
	v_mov_b32_e32 v10, v4
.LBB186_40:
	s_or_b32 exec_lo, exec_lo, s5
	v_add_nc_u32_e32 v16, 1, v15
	v_add_nc_u32_e32 v17, 1, v14
	s_waitcnt lgkmcnt(0)
	v_cmp_lt_i64_e64 s5, v[12:13], v[10:11]
	v_cndmask_b32_e64 v26, v16, v15, s4
	v_cndmask_b32_e64 v28, v14, v17, s4
                                        ; implicit-def: $vgpr14_vgpr15
	v_cmp_ge_i32_e64 s6, v26, v23
	v_cmp_lt_i32_e64 s7, v28, v25
	s_or_b32 s5, s6, s5
	s_and_b32 s5, s7, s5
	s_xor_b32 s6, s5, -1
	s_and_saveexec_b32 s7, s6
	s_xor_b32 s6, exec_lo, s7
; %bb.41:
	v_lshl_add_u32 v14, v26, 3, v20
	ds_read_b64 v[14:15], v14 offset:8
; %bb.42:
	s_or_saveexec_b32 s6, s6
	v_mov_b32_e32 v17, v13
	v_mov_b32_e32 v16, v12
	s_xor_b32 exec_lo, exec_lo, s6
	s_cbranch_execz .LBB186_44
; %bb.43:
	s_waitcnt lgkmcnt(0)
	v_lshl_add_u32 v14, v28, 3, v20
	ds_read_b64 v[16:17], v14 offset:8
	v_mov_b32_e32 v15, v11
	v_mov_b32_e32 v14, v10
.LBB186_44:
	s_or_b32 exec_lo, exec_lo, s6
	v_and_b32_e32 v24, 0x60, v21
	v_add_nc_u32_e32 v29, 1, v26
	v_cndmask_b32_e64 v10, v10, v12, s5
	v_add_nc_u32_e32 v12, 1, v28
	v_cndmask_b32_e64 v7, v5, v7, s4
	v_min_i32_e32 v27, v18, v24
	v_cndmask_b32_e64 v11, v11, v13, s5
	v_cndmask_b32_e64 v13, v1, v3, s3
	;; [unrolled: 1-line block ×4, first 2 shown]
	v_add_nc_u32_e32 v24, 16, v27
	v_cndmask_b32_e64 v4, v28, v12, s5
	v_and_b32_e32 v3, 28, v21
	s_waitcnt lgkmcnt(0)
	v_cmp_lt_i64_e64 s4, v[16:17], v[14:15]
	v_cmp_ge_i32_e64 s5, v1, v23
	v_min_i32_e32 v24, v18, v24
	v_cmp_lt_i32_e64 s6, v4, v25
	v_min_i32_e32 v1, v18, v3
	v_cndmask_b32_e64 v12, v0, v2, s3
	s_or_b32 s3, s5, s4
	v_add_nc_u32_e32 v5, 16, v24
	s_and_b32 s3, s6, s3
	v_sub_nc_u32_e32 v0, v24, v27
	v_cndmask_b32_e64 v15, v15, v17, s3
	v_cndmask_b32_e64 v14, v14, v16, s3
	v_min_i32_e32 v26, v18, v5
	s_mov_b32 s5, 0
	s_mov_b32 s4, exec_lo
	; wave barrier
	v_sub_nc_u32_e32 v3, v26, v24
	ds_write2_b64 v22, v[12:13], v[6:7] offset1:1
	ds_write2_b64 v22, v[10:11], v[14:15] offset0:2 offset1:3
	; wave barrier
	v_sub_nc_u32_e32 v2, v1, v3
	v_cmp_ge_i32_e64 s3, v1, v3
	v_cndmask_b32_e64 v4, 0, v2, s3
	v_min_i32_e32 v2, v1, v0
	v_lshl_add_u32 v0, v27, 3, v20
	v_cmpx_lt_i32_e64 v4, v2
	s_cbranch_execz .LBB186_48
; %bb.45:
	v_lshlrev_b32_e32 v3, 3, v24
	v_lshlrev_b32_e32 v5, 3, v1
	v_add3_u32 v3, v20, v3, v5
	.p2align	6
.LBB186_46:                             ; =>This Inner Loop Header: Depth=1
	v_sub_nc_u32_e32 v5, v2, v4
	v_lshrrev_b32_e32 v5, 1, v5
	v_add_nc_u32_e32 v7, v5, v4
	v_not_b32_e32 v5, v7
	v_lshl_add_u32 v6, v7, 3, v0
	v_lshl_add_u32 v10, v5, 3, v3
	ds_read_b64 v[5:6], v6
	ds_read_b64 v[10:11], v10
	s_waitcnt lgkmcnt(0)
	v_cmp_lt_i64_e64 s3, v[10:11], v[5:6]
	v_add_nc_u32_e32 v5, 1, v7
	v_cndmask_b32_e64 v2, v2, v7, s3
	v_cndmask_b32_e64 v4, v5, v4, s3
	v_cmp_ge_i32_e64 s3, v4, v2
	s_or_b32 s5, s3, s5
	s_andn2_b32 exec_lo, exec_lo, s5
	s_cbranch_execnz .LBB186_46
; %bb.47:
	s_or_b32 exec_lo, exec_lo, s5
.LBB186_48:
	s_or_b32 exec_lo, exec_lo, s4
	v_add_nc_u32_e32 v1, v24, v1
	v_lshl_add_u32 v6, v4, 3, v0
	v_add_nc_u32_e32 v11, v4, v27
	v_sub_nc_u32_e32 v10, v1, v4
                                        ; implicit-def: $vgpr4_vgpr5
	v_cmp_le_i32_e64 s4, v24, v11
	v_lshl_add_u32 v12, v10, 3, v20
	v_cmp_gt_i32_e64 s5, v26, v10
	ds_read_b64 v[0:1], v6
	ds_read_b64 v[2:3], v12
	s_waitcnt lgkmcnt(0)
	v_cmp_lt_i64_e64 s3, v[2:3], v[0:1]
	s_or_b32 s3, s4, s3
	s_and_b32 s3, s5, s3
	s_xor_b32 s4, s3, -1
	s_and_saveexec_b32 s5, s4
	s_xor_b32 s4, exec_lo, s5
; %bb.49:
	ds_read_b64 v[4:5], v6 offset:8
                                        ; implicit-def: $vgpr12
; %bb.50:
	s_or_saveexec_b32 s4, s4
	v_mov_b32_e32 v7, v3
	v_mov_b32_e32 v6, v2
	s_xor_b32 exec_lo, exec_lo, s4
	s_cbranch_execz .LBB186_52
; %bb.51:
	ds_read_b64 v[6:7], v12 offset:8
	s_waitcnt lgkmcnt(1)
	v_mov_b32_e32 v5, v1
	v_mov_b32_e32 v4, v0
.LBB186_52:
	s_or_b32 exec_lo, exec_lo, s4
	v_add_nc_u32_e32 v12, 1, v11
	v_add_nc_u32_e32 v13, 1, v10
	s_waitcnt lgkmcnt(0)
	v_cmp_lt_i64_e64 s4, v[6:7], v[4:5]
	v_cndmask_b32_e64 v15, v12, v11, s3
	v_cndmask_b32_e64 v14, v10, v13, s3
                                        ; implicit-def: $vgpr10_vgpr11
	v_cmp_ge_i32_e64 s5, v15, v24
	v_cmp_lt_i32_e64 s6, v14, v26
	s_or_b32 s4, s5, s4
	s_and_b32 s4, s6, s4
	s_xor_b32 s5, s4, -1
	s_and_saveexec_b32 s6, s5
	s_xor_b32 s5, exec_lo, s6
; %bb.53:
	v_lshl_add_u32 v10, v15, 3, v20
	ds_read_b64 v[10:11], v10 offset:8
; %bb.54:
	s_or_saveexec_b32 s5, s5
	v_mov_b32_e32 v13, v7
	v_mov_b32_e32 v12, v6
	s_xor_b32 exec_lo, exec_lo, s5
	s_cbranch_execz .LBB186_56
; %bb.55:
	s_waitcnt lgkmcnt(0)
	v_lshl_add_u32 v10, v14, 3, v20
	ds_read_b64 v[12:13], v10 offset:8
	v_mov_b32_e32 v11, v5
	v_mov_b32_e32 v10, v4
.LBB186_56:
	s_or_b32 exec_lo, exec_lo, s5
	v_add_nc_u32_e32 v16, 1, v15
	v_add_nc_u32_e32 v17, 1, v14
	s_waitcnt lgkmcnt(0)
	v_cmp_lt_i64_e64 s5, v[12:13], v[10:11]
	v_cndmask_b32_e64 v27, v16, v15, s4
	v_cndmask_b32_e64 v28, v14, v17, s4
                                        ; implicit-def: $vgpr14_vgpr15
	v_cmp_ge_i32_e64 s6, v27, v24
	v_cmp_lt_i32_e64 s7, v28, v26
	s_or_b32 s5, s6, s5
	s_and_b32 s5, s7, s5
	s_xor_b32 s6, s5, -1
	s_and_saveexec_b32 s7, s6
	s_xor_b32 s6, exec_lo, s7
; %bb.57:
	v_lshl_add_u32 v14, v27, 3, v20
	ds_read_b64 v[14:15], v14 offset:8
; %bb.58:
	s_or_saveexec_b32 s6, s6
	v_mov_b32_e32 v17, v13
	v_mov_b32_e32 v16, v12
	s_xor_b32 exec_lo, exec_lo, s6
	s_cbranch_execz .LBB186_60
; %bb.59:
	s_waitcnt lgkmcnt(0)
	v_lshl_add_u32 v14, v28, 3, v20
	ds_read_b64 v[16:17], v14 offset:8
	v_mov_b32_e32 v15, v11
	v_mov_b32_e32 v14, v10
.LBB186_60:
	s_or_b32 exec_lo, exec_lo, s6
	v_and_b32_e32 v23, 64, v21
	v_add_nc_u32_e32 v29, 1, v27
	v_cndmask_b32_e64 v10, v10, v12, s5
	v_add_nc_u32_e32 v12, 1, v28
	v_cndmask_b32_e64 v7, v5, v7, s4
	v_min_i32_e32 v23, v18, v23
	v_cndmask_b32_e64 v11, v11, v13, s5
	v_cndmask_b32_e64 v13, v1, v3, s3
	;; [unrolled: 1-line block ×4, first 2 shown]
	v_add_nc_u32_e32 v25, 32, v23
	v_cndmask_b32_e64 v4, v28, v12, s5
	v_and_b32_e32 v3, 60, v21
	s_waitcnt lgkmcnt(0)
	v_cmp_lt_i64_e64 s4, v[16:17], v[14:15]
	v_cmp_ge_i32_e64 s5, v1, v24
	v_min_i32_e32 v25, v18, v25
	v_cmp_lt_i32_e64 s6, v4, v26
	v_min_i32_e32 v1, v18, v3
	v_cndmask_b32_e64 v12, v0, v2, s3
	s_or_b32 s3, s5, s4
	v_add_nc_u32_e32 v5, 32, v25
	s_and_b32 s3, s6, s3
	v_sub_nc_u32_e32 v0, v25, v23
	v_cndmask_b32_e64 v15, v15, v17, s3
	v_cndmask_b32_e64 v14, v14, v16, s3
	v_min_i32_e32 v27, v18, v5
	s_mov_b32 s5, 0
	s_mov_b32 s4, exec_lo
	; wave barrier
	v_sub_nc_u32_e32 v3, v27, v25
	ds_write2_b64 v22, v[12:13], v[6:7] offset1:1
	ds_write2_b64 v22, v[10:11], v[14:15] offset0:2 offset1:3
	; wave barrier
	v_sub_nc_u32_e32 v2, v1, v3
	v_cmp_ge_i32_e64 s3, v1, v3
	v_cndmask_b32_e64 v4, 0, v2, s3
	v_min_i32_e32 v2, v1, v0
	v_lshl_add_u32 v0, v23, 3, v20
	v_cmpx_lt_i32_e64 v4, v2
	s_cbranch_execz .LBB186_64
; %bb.61:
	v_lshlrev_b32_e32 v3, 3, v25
	v_lshlrev_b32_e32 v5, 3, v1
	v_add3_u32 v3, v20, v3, v5
	.p2align	6
.LBB186_62:                             ; =>This Inner Loop Header: Depth=1
	v_sub_nc_u32_e32 v5, v2, v4
	v_lshrrev_b32_e32 v5, 1, v5
	v_add_nc_u32_e32 v7, v5, v4
	v_not_b32_e32 v5, v7
	v_lshl_add_u32 v6, v7, 3, v0
	v_lshl_add_u32 v10, v5, 3, v3
	ds_read_b64 v[5:6], v6
	ds_read_b64 v[10:11], v10
	s_waitcnt lgkmcnt(0)
	v_cmp_lt_i64_e64 s3, v[10:11], v[5:6]
	v_add_nc_u32_e32 v5, 1, v7
	v_cndmask_b32_e64 v2, v2, v7, s3
	v_cndmask_b32_e64 v4, v5, v4, s3
	v_cmp_ge_i32_e64 s3, v4, v2
	s_or_b32 s5, s3, s5
	s_andn2_b32 exec_lo, exec_lo, s5
	s_cbranch_execnz .LBB186_62
; %bb.63:
	s_or_b32 exec_lo, exec_lo, s5
.LBB186_64:
	s_or_b32 exec_lo, exec_lo, s4
	v_add_nc_u32_e32 v1, v25, v1
	v_lshl_add_u32 v6, v4, 3, v0
	v_add_nc_u32_e32 v11, v4, v23
	v_sub_nc_u32_e32 v10, v1, v4
                                        ; implicit-def: $vgpr4_vgpr5
	v_cmp_le_i32_e64 s4, v25, v11
	v_lshl_add_u32 v12, v10, 3, v20
	v_cmp_gt_i32_e64 s5, v27, v10
	ds_read_b64 v[0:1], v6
	ds_read_b64 v[2:3], v12
	s_waitcnt lgkmcnt(0)
	v_cmp_lt_i64_e64 s3, v[2:3], v[0:1]
	s_or_b32 s3, s4, s3
	s_and_b32 s3, s5, s3
	s_xor_b32 s4, s3, -1
	s_and_saveexec_b32 s5, s4
	s_xor_b32 s4, exec_lo, s5
; %bb.65:
	ds_read_b64 v[4:5], v6 offset:8
                                        ; implicit-def: $vgpr12
; %bb.66:
	s_or_saveexec_b32 s4, s4
	v_mov_b32_e32 v7, v3
	v_mov_b32_e32 v6, v2
	s_xor_b32 exec_lo, exec_lo, s4
	s_cbranch_execz .LBB186_68
; %bb.67:
	ds_read_b64 v[6:7], v12 offset:8
	s_waitcnt lgkmcnt(1)
	v_mov_b32_e32 v5, v1
	v_mov_b32_e32 v4, v0
.LBB186_68:
	s_or_b32 exec_lo, exec_lo, s4
	v_add_nc_u32_e32 v12, 1, v11
	v_add_nc_u32_e32 v13, 1, v10
	s_waitcnt lgkmcnt(0)
	v_cmp_lt_i64_e64 s4, v[6:7], v[4:5]
	v_cndmask_b32_e64 v15, v12, v11, s3
	v_cndmask_b32_e64 v14, v10, v13, s3
                                        ; implicit-def: $vgpr10_vgpr11
	v_cmp_ge_i32_e64 s5, v15, v25
	v_cmp_lt_i32_e64 s6, v14, v27
	s_or_b32 s4, s5, s4
	s_and_b32 s4, s6, s4
	s_xor_b32 s5, s4, -1
	s_and_saveexec_b32 s6, s5
	s_xor_b32 s5, exec_lo, s6
; %bb.69:
	v_lshl_add_u32 v10, v15, 3, v20
	ds_read_b64 v[10:11], v10 offset:8
; %bb.70:
	s_or_saveexec_b32 s5, s5
	v_mov_b32_e32 v13, v7
	v_mov_b32_e32 v12, v6
	s_xor_b32 exec_lo, exec_lo, s5
	s_cbranch_execz .LBB186_72
; %bb.71:
	s_waitcnt lgkmcnt(0)
	v_lshl_add_u32 v10, v14, 3, v20
	ds_read_b64 v[12:13], v10 offset:8
	v_mov_b32_e32 v11, v5
	v_mov_b32_e32 v10, v4
.LBB186_72:
	s_or_b32 exec_lo, exec_lo, s5
	v_add_nc_u32_e32 v16, 1, v15
	v_add_nc_u32_e32 v17, 1, v14
	s_waitcnt lgkmcnt(0)
	v_cmp_lt_i64_e64 s5, v[12:13], v[10:11]
	v_cndmask_b32_e64 v28, v16, v15, s4
	v_cndmask_b32_e64 v24, v14, v17, s4
                                        ; implicit-def: $vgpr14_vgpr15
	v_cmp_ge_i32_e64 s6, v28, v25
	v_cmp_lt_i32_e64 s7, v24, v27
	s_or_b32 s5, s6, s5
	s_and_b32 s5, s7, s5
	s_xor_b32 s6, s5, -1
	s_and_saveexec_b32 s7, s6
	s_xor_b32 s6, exec_lo, s7
; %bb.73:
	v_lshl_add_u32 v14, v28, 3, v20
	ds_read_b64 v[14:15], v14 offset:8
; %bb.74:
	s_or_saveexec_b32 s6, s6
	v_mov_b32_e32 v17, v13
	v_mov_b32_e32 v16, v12
	s_xor_b32 exec_lo, exec_lo, s6
	s_cbranch_execz .LBB186_76
; %bb.75:
	s_waitcnt lgkmcnt(0)
	v_lshl_add_u32 v14, v24, 3, v20
	ds_read_b64 v[16:17], v14 offset:8
	v_mov_b32_e32 v15, v11
	v_mov_b32_e32 v14, v10
.LBB186_76:
	s_or_b32 exec_lo, exec_lo, s6
	v_min_i32_e32 v23, 0, v18
	v_cndmask_b32_e64 v11, v11, v13, s5
	v_add_nc_u32_e32 v13, 1, v28
	v_cndmask_b32_e64 v10, v10, v12, s5
	v_add_nc_u32_e32 v12, 1, v24
	v_add_nc_u32_e32 v26, 64, v23
	v_cndmask_b32_e64 v7, v5, v7, s4
	v_cndmask_b32_e64 v3, v1, v3, s3
	;; [unrolled: 1-line block ×4, first 2 shown]
	v_min_i32_e32 v26, v18, v26
	v_and_b32_e32 v4, 0x7c, v21
	s_waitcnt lgkmcnt(0)
	v_cmp_lt_i64_e64 s4, v[16:17], v[14:15]
	v_cndmask_b32_e64 v2, v0, v2, s3
	v_add_nc_u32_e32 v5, 64, v26
	v_min_i32_e32 v21, v18, v4
	v_sub_nc_u32_e32 v0, v26, v23
	; wave barrier
	ds_write2_b64 v22, v[2:3], v[6:7] offset1:1
	v_min_i32_e32 v28, v18, v5
	v_cndmask_b32_e64 v5, v24, v12, s5
	v_cmp_ge_i32_e64 s5, v1, v25
	v_min_i32_e32 v0, v21, v0
	v_lshl_add_u32 v24, v23, 3, v20
	v_sub_nc_u32_e32 v1, v28, v26
	v_cmp_lt_i32_e64 s6, v5, v27
	s_or_b32 s3, s5, s4
	s_mov_b32 s5, 0
	s_mov_b32 s4, exec_lo
	v_sub_nc_u32_e32 v4, v21, v1
	s_and_b32 s3, s6, s3
	v_cndmask_b32_e64 v13, v15, v17, s3
	v_cndmask_b32_e64 v12, v14, v16, s3
	v_cmp_ge_i32_e64 s3, v21, v1
	ds_write2_b64 v22, v[10:11], v[12:13] offset0:2 offset1:3
	v_cndmask_b32_e64 v4, 0, v4, s3
	; wave barrier
	v_cmpx_lt_i32_e64 v4, v0
	s_cbranch_execz .LBB186_80
; %bb.77:
	v_lshlrev_b32_e32 v1, 3, v26
	v_lshlrev_b32_e32 v2, 3, v21
	v_add3_u32 v1, v20, v1, v2
	.p2align	6
.LBB186_78:                             ; =>This Inner Loop Header: Depth=1
	v_sub_nc_u32_e32 v2, v0, v4
	v_lshrrev_b32_e32 v2, 1, v2
	v_add_nc_u32_e32 v7, v2, v4
	v_not_b32_e32 v2, v7
	v_lshl_add_u32 v3, v7, 3, v24
	v_lshl_add_u32 v5, v2, 3, v1
	ds_read_b64 v[2:3], v3
	ds_read_b64 v[5:6], v5
	s_waitcnt lgkmcnt(0)
	v_cmp_lt_i64_e64 s3, v[5:6], v[2:3]
	v_add_nc_u32_e32 v2, 1, v7
	v_cndmask_b32_e64 v0, v0, v7, s3
	v_cndmask_b32_e64 v4, v2, v4, s3
	v_cmp_ge_i32_e64 s3, v4, v0
	s_or_b32 s5, s3, s5
	s_andn2_b32 exec_lo, exec_lo, s5
	s_cbranch_execnz .LBB186_78
; %bb.79:
	s_or_b32 exec_lo, exec_lo, s5
.LBB186_80:
	s_or_b32 exec_lo, exec_lo, s4
	v_add_nc_u32_e32 v0, v26, v21
	v_lshl_add_u32 v6, v4, 3, v24
	v_add_nc_u32_e32 v11, v4, v23
	v_sub_nc_u32_e32 v10, v0, v4
                                        ; implicit-def: $vgpr4_vgpr5
	v_cmp_le_i32_e64 s4, v26, v11
	v_lshl_add_u32 v12, v10, 3, v20
	v_cmp_gt_i32_e64 s5, v28, v10
	ds_read_b64 v[0:1], v6
	ds_read_b64 v[2:3], v12
	s_waitcnt lgkmcnt(0)
	v_cmp_lt_i64_e64 s3, v[2:3], v[0:1]
	s_or_b32 s3, s4, s3
	s_and_b32 s3, s5, s3
	s_xor_b32 s4, s3, -1
	s_and_saveexec_b32 s5, s4
	s_xor_b32 s4, exec_lo, s5
; %bb.81:
	ds_read_b64 v[4:5], v6 offset:8
                                        ; implicit-def: $vgpr12
; %bb.82:
	s_or_saveexec_b32 s4, s4
	v_mov_b32_e32 v7, v3
	v_mov_b32_e32 v6, v2
	s_xor_b32 exec_lo, exec_lo, s4
	s_cbranch_execz .LBB186_84
; %bb.83:
	ds_read_b64 v[6:7], v12 offset:8
	s_waitcnt lgkmcnt(1)
	v_mov_b32_e32 v5, v1
	v_mov_b32_e32 v4, v0
.LBB186_84:
	s_or_b32 exec_lo, exec_lo, s4
	v_add_nc_u32_e32 v12, 1, v11
	v_add_nc_u32_e32 v13, 1, v10
	s_waitcnt lgkmcnt(0)
	v_cmp_lt_i64_e64 s4, v[6:7], v[4:5]
	v_cndmask_b32_e64 v15, v12, v11, s3
	v_cndmask_b32_e64 v14, v10, v13, s3
                                        ; implicit-def: $vgpr10_vgpr11
	v_cmp_ge_i32_e64 s5, v15, v26
	v_cmp_lt_i32_e64 s6, v14, v28
	s_or_b32 s4, s5, s4
	s_and_b32 s4, s6, s4
	s_xor_b32 s5, s4, -1
	s_and_saveexec_b32 s6, s5
	s_xor_b32 s5, exec_lo, s6
; %bb.85:
	v_lshl_add_u32 v10, v15, 3, v20
	ds_read_b64 v[10:11], v10 offset:8
; %bb.86:
	s_or_saveexec_b32 s5, s5
	v_mov_b32_e32 v13, v7
	v_mov_b32_e32 v12, v6
	s_xor_b32 exec_lo, exec_lo, s5
	s_cbranch_execz .LBB186_88
; %bb.87:
	s_waitcnt lgkmcnt(0)
	v_lshl_add_u32 v10, v14, 3, v20
	ds_read_b64 v[12:13], v10 offset:8
	v_mov_b32_e32 v11, v5
	v_mov_b32_e32 v10, v4
.LBB186_88:
	s_or_b32 exec_lo, exec_lo, s5
	v_add_nc_u32_e32 v16, 1, v15
	v_add_nc_u32_e32 v17, 1, v14
	s_waitcnt lgkmcnt(0)
	v_cmp_lt_i64_e64 s5, v[12:13], v[10:11]
	v_cndmask_b32_e64 v29, v16, v15, s4
	v_cndmask_b32_e64 v27, v14, v17, s4
                                        ; implicit-def: $vgpr14_vgpr15
	v_cmp_ge_i32_e64 s6, v29, v26
	v_cmp_lt_i32_e64 s7, v27, v28
	s_or_b32 s5, s6, s5
	s_and_b32 s5, s7, s5
	s_xor_b32 s6, s5, -1
	s_and_saveexec_b32 s7, s6
	s_xor_b32 s6, exec_lo, s7
; %bb.89:
	v_lshl_add_u32 v14, v29, 3, v20
	ds_read_b64 v[14:15], v14 offset:8
; %bb.90:
	s_or_saveexec_b32 s6, s6
	v_mov_b32_e32 v17, v13
	v_mov_b32_e32 v16, v12
	s_xor_b32 exec_lo, exec_lo, s6
	s_cbranch_execz .LBB186_92
; %bb.91:
	s_waitcnt lgkmcnt(0)
	v_lshl_add_u32 v14, v27, 3, v20
	ds_read_b64 v[16:17], v14 offset:8
	v_mov_b32_e32 v15, v11
	v_mov_b32_e32 v14, v10
.LBB186_92:
	s_or_b32 exec_lo, exec_lo, s6
	v_add_nc_u32_e32 v25, 0x80, v23
	v_cndmask_b32_e64 v11, v11, v13, s5
	v_add_nc_u32_e32 v13, 1, v29
	v_cndmask_b32_e64 v10, v10, v12, s5
	v_add_nc_u32_e32 v12, 1, v27
	v_min_i32_e32 v25, v18, v25
	v_cndmask_b32_e64 v7, v5, v7, s4
	v_cndmask_b32_e64 v5, v13, v29, s5
	;; [unrolled: 1-line block ×4, first 2 shown]
	v_add_nc_u32_e32 v30, 0x80, v25
	s_waitcnt lgkmcnt(0)
	v_cmp_lt_i64_e64 s4, v[16:17], v[14:15]
	v_cmp_ge_i32_e64 s5, v5, v26
	v_cndmask_b32_e64 v3, v1, v3, s3
	v_cmp_lt_i32_e64 s6, v4, v28
	v_min_i32_e32 v18, v18, v30
	v_cndmask_b32_e64 v2, v0, v2, s3
	s_or_b32 s3, s5, s4
	v_sub_nc_u32_e32 v1, v25, v23
	s_and_b32 s3, s6, s3
	v_sub_nc_u32_e32 v5, v18, v25
	v_cndmask_b32_e64 v13, v15, v17, s3
	v_cndmask_b32_e64 v12, v14, v16, s3
	s_mov_b32 s5, 0
	v_sub_nc_u32_e32 v0, v21, v5
	v_cmp_ge_i32_e64 s4, v21, v5
	; wave barrier
	ds_write2_b64 v22, v[2:3], v[6:7] offset1:1
	ds_write2_b64 v22, v[10:11], v[12:13] offset0:2 offset1:3
	; wave barrier
	v_cndmask_b32_e64 v4, 0, v0, s4
	v_min_i32_e32 v0, v21, v1
	s_mov_b32 s4, exec_lo
	v_cmpx_lt_i32_e64 v4, v0
	s_cbranch_execz .LBB186_96
; %bb.93:
	v_lshlrev_b32_e32 v1, 3, v25
	v_lshlrev_b32_e32 v2, 3, v21
	v_add3_u32 v1, v20, v1, v2
	.p2align	6
.LBB186_94:                             ; =>This Inner Loop Header: Depth=1
	v_sub_nc_u32_e32 v2, v0, v4
	v_lshrrev_b32_e32 v2, 1, v2
	v_add_nc_u32_e32 v7, v2, v4
	v_not_b32_e32 v2, v7
	v_lshl_add_u32 v3, v7, 3, v24
	v_lshl_add_u32 v5, v2, 3, v1
	ds_read_b64 v[2:3], v3
	ds_read_b64 v[5:6], v5
	s_waitcnt lgkmcnt(0)
	v_cmp_lt_i64_e64 s3, v[5:6], v[2:3]
	v_add_nc_u32_e32 v2, 1, v7
	v_cndmask_b32_e64 v0, v0, v7, s3
	v_cndmask_b32_e64 v4, v2, v4, s3
	v_cmp_ge_i32_e64 s3, v4, v0
	s_or_b32 s5, s3, s5
	s_andn2_b32 exec_lo, exec_lo, s5
	s_cbranch_execnz .LBB186_94
; %bb.95:
	s_or_b32 exec_lo, exec_lo, s5
.LBB186_96:
	s_or_b32 exec_lo, exec_lo, s4
	v_add_nc_u32_e32 v0, v25, v21
	v_lshl_add_u32 v6, v4, 3, v24
	v_add_nc_u32_e32 v11, v4, v23
	v_sub_nc_u32_e32 v10, v0, v4
                                        ; implicit-def: $vgpr4_vgpr5
	v_cmp_le_i32_e64 s4, v25, v11
	v_lshl_add_u32 v12, v10, 3, v20
	v_cmp_gt_i32_e64 s5, v18, v10
	ds_read_b64 v[0:1], v6
	ds_read_b64 v[2:3], v12
	s_waitcnt lgkmcnt(0)
	v_cmp_lt_i64_e64 s3, v[2:3], v[0:1]
	s_or_b32 s3, s4, s3
	s_and_b32 s3, s5, s3
	s_xor_b32 s4, s3, -1
	s_and_saveexec_b32 s5, s4
	s_xor_b32 s4, exec_lo, s5
; %bb.97:
	ds_read_b64 v[4:5], v6 offset:8
                                        ; implicit-def: $vgpr12
; %bb.98:
	s_or_saveexec_b32 s4, s4
	v_mov_b32_e32 v7, v3
	v_mov_b32_e32 v6, v2
	s_xor_b32 exec_lo, exec_lo, s4
	s_cbranch_execz .LBB186_100
; %bb.99:
	ds_read_b64 v[6:7], v12 offset:8
	s_waitcnt lgkmcnt(1)
	v_mov_b32_e32 v5, v1
	v_mov_b32_e32 v4, v0
.LBB186_100:
	s_or_b32 exec_lo, exec_lo, s4
	v_add_nc_u32_e32 v12, 1, v11
	v_add_nc_u32_e32 v13, 1, v10
	s_waitcnt lgkmcnt(0)
	v_cmp_lt_i64_e64 s4, v[6:7], v[4:5]
	v_cndmask_b32_e64 v15, v12, v11, s3
	v_cndmask_b32_e64 v14, v10, v13, s3
                                        ; implicit-def: $vgpr10_vgpr11
	v_cmp_ge_i32_e64 s5, v15, v25
	v_cmp_lt_i32_e64 s6, v14, v18
	s_or_b32 s4, s5, s4
	s_and_b32 s4, s6, s4
	s_xor_b32 s5, s4, -1
	s_and_saveexec_b32 s6, s5
	s_xor_b32 s5, exec_lo, s6
; %bb.101:
	v_lshl_add_u32 v10, v15, 3, v20
	ds_read_b64 v[10:11], v10 offset:8
; %bb.102:
	s_or_saveexec_b32 s5, s5
	v_mov_b32_e32 v13, v7
	v_mov_b32_e32 v12, v6
	s_xor_b32 exec_lo, exec_lo, s5
	s_cbranch_execz .LBB186_104
; %bb.103:
	s_waitcnt lgkmcnt(0)
	v_lshl_add_u32 v10, v14, 3, v20
	ds_read_b64 v[12:13], v10 offset:8
	v_mov_b32_e32 v11, v5
	v_mov_b32_e32 v10, v4
.LBB186_104:
	s_or_b32 exec_lo, exec_lo, s5
	v_add_nc_u32_e32 v16, 1, v15
	v_add_nc_u32_e32 v17, 1, v14
	s_waitcnt lgkmcnt(0)
	v_cmp_lt_i64_e64 s5, v[12:13], v[10:11]
                                        ; implicit-def: $vgpr22
	v_cndmask_b32_e64 v23, v16, v15, s4
	v_cndmask_b32_e64 v21, v14, v17, s4
                                        ; implicit-def: $vgpr14_vgpr15
	v_cmp_ge_i32_e64 s6, v23, v25
	v_cmp_lt_i32_e64 s7, v21, v18
	s_or_b32 s5, s6, s5
	s_and_b32 s5, s7, s5
	s_xor_b32 s6, s5, -1
	s_and_saveexec_b32 s7, s6
	s_xor_b32 s6, exec_lo, s7
; %bb.105:
	v_lshl_add_u32 v14, v23, 3, v20
	v_add_nc_u32_e32 v22, 1, v23
                                        ; implicit-def: $vgpr20
                                        ; implicit-def: $vgpr23
	ds_read_b64 v[14:15], v14 offset:8
; %bb.106:
	s_or_saveexec_b32 s6, s6
	v_mov_b32_e32 v17, v13
	v_mov_b32_e32 v16, v12
	s_xor_b32 exec_lo, exec_lo, s6
	s_cbranch_execz .LBB186_108
; %bb.107:
	s_waitcnt lgkmcnt(0)
	v_lshl_add_u32 v14, v21, 3, v20
	v_add_nc_u32_e32 v21, 1, v21
	v_mov_b32_e32 v22, v23
	ds_read_b64 v[16:17], v14 offset:8
	v_mov_b32_e32 v15, v11
	v_mov_b32_e32 v14, v10
.LBB186_108:
	s_or_b32 exec_lo, exec_lo, s6
	v_add_co_u32 v8, s6, s10, v8
	v_add_co_ci_u32_e64 v9, null, s11, v9, s6
	v_add_co_u32 v8, s6, v8, v19
	v_add_co_ci_u32_e64 v9, null, 0, v9, s6
	s_and_saveexec_b32 s6, vcc_lo
	s_cbranch_execnz .LBB186_113
; %bb.109:
	s_or_b32 exec_lo, exec_lo, s6
	s_and_saveexec_b32 s3, s0
	s_cbranch_execnz .LBB186_114
.LBB186_110:
	s_or_b32 exec_lo, exec_lo, s3
	s_and_saveexec_b32 s0, s1
	s_cbranch_execnz .LBB186_115
.LBB186_111:
	s_or_b32 exec_lo, exec_lo, s0
	s_and_saveexec_b32 s0, s2
	s_cbranch_execnz .LBB186_116
.LBB186_112:
	s_endpgm
.LBB186_113:
	v_cndmask_b32_e64 v1, v1, v3, s3
	v_cndmask_b32_e64 v0, v0, v2, s3
	global_store_dwordx2 v[8:9], v[0:1], off
	s_or_b32 exec_lo, exec_lo, s6
	s_and_saveexec_b32 s3, s0
	s_cbranch_execz .LBB186_110
.LBB186_114:
	v_cndmask_b32_e64 v1, v5, v7, s4
	v_cndmask_b32_e64 v0, v4, v6, s4
	global_store_dwordx2 v[8:9], v[0:1], off offset:8
	s_or_b32 exec_lo, exec_lo, s3
	s_and_saveexec_b32 s0, s1
	s_cbranch_execz .LBB186_111
.LBB186_115:
	v_cndmask_b32_e64 v1, v11, v13, s5
	v_cndmask_b32_e64 v0, v10, v12, s5
	global_store_dwordx2 v[8:9], v[0:1], off offset:16
	s_or_b32 exec_lo, exec_lo, s0
	s_and_saveexec_b32 s0, s2
	s_cbranch_execz .LBB186_112
.LBB186_116:
	s_waitcnt lgkmcnt(0)
	v_cmp_lt_i64_e32 vcc_lo, v[16:17], v[14:15]
	v_cmp_ge_i32_e64 s0, v22, v25
	v_cmp_lt_i32_e64 s1, v21, v18
	s_or_b32 s0, s0, vcc_lo
	s_and_b32 vcc_lo, s1, s0
	v_cndmask_b32_e32 v1, v15, v17, vcc_lo
	v_cndmask_b32_e32 v0, v14, v16, vcc_lo
	global_store_dwordx2 v[8:9], v[0:1], off offset:24
	s_endpgm
	.section	.rodata,"a",@progbits
	.p2align	6, 0x0
	.amdhsa_kernel _Z19sort_keys_segmentedILj256ELj64ELj4ExN10test_utils4lessEEvPKT2_PS2_PKjT3_
		.amdhsa_group_segment_fixed_size 8224
		.amdhsa_private_segment_fixed_size 0
		.amdhsa_kernarg_size 28
		.amdhsa_user_sgpr_count 6
		.amdhsa_user_sgpr_private_segment_buffer 1
		.amdhsa_user_sgpr_dispatch_ptr 0
		.amdhsa_user_sgpr_queue_ptr 0
		.amdhsa_user_sgpr_kernarg_segment_ptr 1
		.amdhsa_user_sgpr_dispatch_id 0
		.amdhsa_user_sgpr_flat_scratch_init 0
		.amdhsa_user_sgpr_private_segment_size 0
		.amdhsa_wavefront_size32 1
		.amdhsa_uses_dynamic_stack 0
		.amdhsa_system_sgpr_private_segment_wavefront_offset 0
		.amdhsa_system_sgpr_workgroup_id_x 1
		.amdhsa_system_sgpr_workgroup_id_y 0
		.amdhsa_system_sgpr_workgroup_id_z 0
		.amdhsa_system_sgpr_workgroup_info 0
		.amdhsa_system_vgpr_workitem_id 0
		.amdhsa_next_free_vgpr 31
		.amdhsa_next_free_sgpr 12
		.amdhsa_reserve_vcc 1
		.amdhsa_reserve_flat_scratch 0
		.amdhsa_float_round_mode_32 0
		.amdhsa_float_round_mode_16_64 0
		.amdhsa_float_denorm_mode_32 3
		.amdhsa_float_denorm_mode_16_64 3
		.amdhsa_dx10_clamp 1
		.amdhsa_ieee_mode 1
		.amdhsa_fp16_overflow 0
		.amdhsa_workgroup_processor_mode 1
		.amdhsa_memory_ordered 1
		.amdhsa_forward_progress 1
		.amdhsa_shared_vgpr_count 0
		.amdhsa_exception_fp_ieee_invalid_op 0
		.amdhsa_exception_fp_denorm_src 0
		.amdhsa_exception_fp_ieee_div_zero 0
		.amdhsa_exception_fp_ieee_overflow 0
		.amdhsa_exception_fp_ieee_underflow 0
		.amdhsa_exception_fp_ieee_inexact 0
		.amdhsa_exception_int_div_zero 0
	.end_amdhsa_kernel
	.section	.text._Z19sort_keys_segmentedILj256ELj64ELj4ExN10test_utils4lessEEvPKT2_PS2_PKjT3_,"axG",@progbits,_Z19sort_keys_segmentedILj256ELj64ELj4ExN10test_utils4lessEEvPKT2_PS2_PKjT3_,comdat
.Lfunc_end186:
	.size	_Z19sort_keys_segmentedILj256ELj64ELj4ExN10test_utils4lessEEvPKT2_PS2_PKjT3_, .Lfunc_end186-_Z19sort_keys_segmentedILj256ELj64ELj4ExN10test_utils4lessEEvPKT2_PS2_PKjT3_
                                        ; -- End function
	.set _Z19sort_keys_segmentedILj256ELj64ELj4ExN10test_utils4lessEEvPKT2_PS2_PKjT3_.num_vgpr, 31
	.set _Z19sort_keys_segmentedILj256ELj64ELj4ExN10test_utils4lessEEvPKT2_PS2_PKjT3_.num_agpr, 0
	.set _Z19sort_keys_segmentedILj256ELj64ELj4ExN10test_utils4lessEEvPKT2_PS2_PKjT3_.numbered_sgpr, 12
	.set _Z19sort_keys_segmentedILj256ELj64ELj4ExN10test_utils4lessEEvPKT2_PS2_PKjT3_.num_named_barrier, 0
	.set _Z19sort_keys_segmentedILj256ELj64ELj4ExN10test_utils4lessEEvPKT2_PS2_PKjT3_.private_seg_size, 0
	.set _Z19sort_keys_segmentedILj256ELj64ELj4ExN10test_utils4lessEEvPKT2_PS2_PKjT3_.uses_vcc, 1
	.set _Z19sort_keys_segmentedILj256ELj64ELj4ExN10test_utils4lessEEvPKT2_PS2_PKjT3_.uses_flat_scratch, 0
	.set _Z19sort_keys_segmentedILj256ELj64ELj4ExN10test_utils4lessEEvPKT2_PS2_PKjT3_.has_dyn_sized_stack, 0
	.set _Z19sort_keys_segmentedILj256ELj64ELj4ExN10test_utils4lessEEvPKT2_PS2_PKjT3_.has_recursion, 0
	.set _Z19sort_keys_segmentedILj256ELj64ELj4ExN10test_utils4lessEEvPKT2_PS2_PKjT3_.has_indirect_call, 0
	.section	.AMDGPU.csdata,"",@progbits
; Kernel info:
; codeLenInByte = 5904
; TotalNumSgprs: 14
; NumVgprs: 31
; ScratchSize: 0
; MemoryBound: 1
; FloatMode: 240
; IeeeMode: 1
; LDSByteSize: 8224 bytes/workgroup (compile time only)
; SGPRBlocks: 0
; VGPRBlocks: 3
; NumSGPRsForWavesPerEU: 14
; NumVGPRsForWavesPerEU: 31
; Occupancy: 16
; WaveLimiterHint : 0
; COMPUTE_PGM_RSRC2:SCRATCH_EN: 0
; COMPUTE_PGM_RSRC2:USER_SGPR: 6
; COMPUTE_PGM_RSRC2:TRAP_HANDLER: 0
; COMPUTE_PGM_RSRC2:TGID_X_EN: 1
; COMPUTE_PGM_RSRC2:TGID_Y_EN: 0
; COMPUTE_PGM_RSRC2:TGID_Z_EN: 0
; COMPUTE_PGM_RSRC2:TIDIG_COMP_CNT: 0
	.section	.text._Z20sort_pairs_segmentedILj256ELj64ELj4ExN10test_utils4lessEEvPKT2_PS2_PKjT3_,"axG",@progbits,_Z20sort_pairs_segmentedILj256ELj64ELj4ExN10test_utils4lessEEvPKT2_PS2_PKjT3_,comdat
	.protected	_Z20sort_pairs_segmentedILj256ELj64ELj4ExN10test_utils4lessEEvPKT2_PS2_PKjT3_ ; -- Begin function _Z20sort_pairs_segmentedILj256ELj64ELj4ExN10test_utils4lessEEvPKT2_PS2_PKjT3_
	.globl	_Z20sort_pairs_segmentedILj256ELj64ELj4ExN10test_utils4lessEEvPKT2_PS2_PKjT3_
	.p2align	8
	.type	_Z20sort_pairs_segmentedILj256ELj64ELj4ExN10test_utils4lessEEvPKT2_PS2_PKjT3_,@function
_Z20sort_pairs_segmentedILj256ELj64ELj4ExN10test_utils4lessEEvPKT2_PS2_PKjT3_: ; @_Z20sort_pairs_segmentedILj256ELj64ELj4ExN10test_utils4lessEEvPKT2_PS2_PKjT3_
; %bb.0:
	s_clause 0x1
	s_load_dwordx2 s[0:1], s[4:5], 0x10
	s_load_dwordx4 s[8:11], s[4:5], 0x0
	v_lshrrev_b32_e32 v35, 6, v0
	v_mov_b32_e32 v1, 0
	v_lshl_or_b32 v0, s6, 2, v35
	v_mov_b32_e32 v4, v1
	v_mov_b32_e32 v5, v1
	;; [unrolled: 1-line block ×3, first 2 shown]
	v_lshlrev_b64 v[2:3], 2, v[0:1]
	v_lshlrev_b32_e32 v0, 8, v0
	v_lshlrev_b64 v[18:19], 3, v[0:1]
	v_mov_b32_e32 v0, v1
	s_waitcnt lgkmcnt(0)
	v_add_co_u32 v2, vcc_lo, s0, v2
	v_add_co_ci_u32_e64 v3, null, s1, v3, vcc_lo
	v_add_co_u32 v8, vcc_lo, s8, v18
	v_add_co_ci_u32_e64 v9, null, s9, v19, vcc_lo
	global_load_dword v32, v[2:3], off
	v_mbcnt_lo_u32_b32 v2, -1, 0
	v_mov_b32_e32 v3, v1
	v_lshlrev_b32_e32 v7, 5, v2
	v_lshlrev_b32_e32 v34, 2, v2
	v_mov_b32_e32 v2, v1
	v_add_co_u32 v8, vcc_lo, v8, v7
	v_add_co_ci_u32_e64 v9, null, 0, v9, vcc_lo
	v_mov_b32_e32 v7, v1
	s_waitcnt vmcnt(0)
	v_cmp_lt_u32_e32 vcc_lo, v34, v32
	s_and_saveexec_b32 s0, vcc_lo
	s_cbranch_execz .LBB187_2
; %bb.1:
	global_load_dwordx2 v[10:11], v[8:9], off
	v_mov_b32_e32 v12, v1
	v_mov_b32_e32 v13, v1
	;; [unrolled: 1-line block ×6, first 2 shown]
	s_waitcnt vmcnt(0)
	v_mov_b32_e32 v0, v10
	v_mov_b32_e32 v1, v11
	;; [unrolled: 1-line block ×8, first 2 shown]
.LBB187_2:
	s_or_b32 exec_lo, exec_lo, s0
	v_or_b32_e32 v12, 1, v34
	v_cmp_lt_u32_e64 s0, v12, v32
	s_and_saveexec_b32 s1, s0
	s_cbranch_execz .LBB187_4
; %bb.3:
	global_load_dwordx2 v[2:3], v[8:9], off offset:8
.LBB187_4:
	s_or_b32 exec_lo, exec_lo, s1
	v_or_b32_e32 v10, 2, v34
	v_cmp_lt_u32_e64 s1, v10, v32
	s_and_saveexec_b32 s2, s1
	s_cbranch_execz .LBB187_6
; %bb.5:
	global_load_dwordx2 v[4:5], v[8:9], off offset:16
.LBB187_6:
	;; [unrolled: 8-line block ×3, first 2 shown]
	s_or_b32 exec_lo, exec_lo, s3
	v_add_co_u32 v20, s3, v0, 1
	v_add_co_ci_u32_e64 v21, null, 0, v1, s3
	s_waitcnt vmcnt(0)
	v_add_co_u32 v22, s3, v2, 1
	v_add_co_ci_u32_e64 v23, null, 0, v3, s3
	v_add_co_u32 v24, s3, v4, 1
	v_add_co_ci_u32_e64 v25, null, 0, v5, s3
	v_cmp_lt_i32_e64 s3, v10, v32
	v_cmp_lt_i32_e64 s4, v11, v32
	v_add_co_u32 v10, s5, v6, 1
	v_add_co_ci_u32_e64 v11, null, 0, v7, s5
	v_cmp_lt_i32_e64 s5, v12, v32
	s_or_b32 s3, s4, s3
	v_cndmask_b32_e64 v9, 0x7fffffff, v7, s4
	v_cndmask_b32_e64 v27, 0x7fffffff, v5, s3
	v_cndmask_b32_e64 v26, -1, v4, s3
	s_or_b32 s3, s3, s5
	v_cndmask_b32_e64 v8, -1, v6, s4
	v_cndmask_b32_e64 v3, 0x7fffffff, v3, s3
	v_cndmask_b32_e64 v2, -1, v2, s3
	s_mov_b32 s6, exec_lo
	v_cmpx_lt_i32_e64 v34, v32
	s_cbranch_execz .LBB187_18
; %bb.9:
	v_cmp_lt_i64_e64 s3, v[2:3], v[0:1]
	v_mov_b32_e32 v29, v11
	v_mov_b32_e32 v6, v26
	;; [unrolled: 1-line block ×4, first 2 shown]
	s_mov_b32 s5, exec_lo
	v_cndmask_b32_e64 v5, v3, v1, s3
	v_cndmask_b32_e64 v4, v2, v0, s3
	;; [unrolled: 1-line block ×4, first 2 shown]
	v_cmpx_lt_i64_e64 v[8:9], v[26:27]
	s_cbranch_execz .LBB187_11
; %bb.10:
	v_mov_b32_e32 v0, v26
	v_mov_b32_e32 v1, v27
	;; [unrolled: 1-line block ×12, first 2 shown]
.LBB187_11:
	s_or_b32 exec_lo, exec_lo, s5
	v_mov_b32_e32 v17, v9
	v_cmp_lt_i64_e64 s4, v[26:27], v[4:5]
	v_mov_b32_e32 v16, v8
	v_mov_b32_e32 v15, v7
	;; [unrolled: 1-line block ×8, first 2 shown]
	v_cndmask_b32_e64 v31, v23, v21, s3
	v_cndmask_b32_e64 v30, v22, v20, s3
	v_mov_b32_e32 v7, v25
	s_and_saveexec_b32 s5, s4
	s_xor_b32 s4, exec_lo, s5
	s_cbranch_execz .LBB187_13
; %bb.12:
	v_mov_b32_e32 v17, v9
	v_mov_b32_e32 v16, v8
	;; [unrolled: 1-line block ×20, first 2 shown]
.LBB187_13:
	s_or_b32 exec_lo, exec_lo, s4
	v_cmp_lt_i64_e64 s4, v[4:5], v[2:3]
	v_mov_b32_e32 v27, v15
	v_mov_b32_e32 v8, v16
	;; [unrolled: 1-line block ×4, first 2 shown]
	s_mov_b32 s7, exec_lo
	v_cndmask_b32_e64 v3, v13, v11, s4
	v_cndmask_b32_e64 v2, v12, v10, s4
	;; [unrolled: 1-line block ×4, first 2 shown]
	v_mov_b32_e32 v10, v28
	v_mov_b32_e32 v11, v29
	v_cmpx_lt_i64_e64 v[8:9], v[14:15]
	s_cbranch_execz .LBB187_15
; %bb.14:
	v_mov_b32_e32 v4, v14
	v_mov_b32_e32 v5, v15
	;; [unrolled: 1-line block ×12, first 2 shown]
.LBB187_15:
	s_or_b32 exec_lo, exec_lo, s7
	v_cndmask_b32_e64 v12, v21, v23, s3
	v_cndmask_b32_e64 v13, v20, v22, s3
	;; [unrolled: 1-line block ×6, first 2 shown]
	s_mov_b32 s4, exec_lo
	v_mov_b32_e32 v23, v5
	v_mov_b32_e32 v22, v4
	v_cmpx_lt_i64_e64 v[14:15], v[2:3]
	s_cbranch_execz .LBB187_17
; %bb.16:
	v_mov_b32_e32 v27, v3
	v_mov_b32_e32 v23, v7
	;; [unrolled: 1-line block ×8, first 2 shown]
.LBB187_17:
	s_or_b32 exec_lo, exec_lo, s4
	v_mov_b32_e32 v25, v7
	v_mov_b32_e32 v24, v6
.LBB187_18:
	s_or_b32 exec_lo, exec_lo, s6
	v_and_b32_e32 v4, 0x78, v34
	v_and_b32_e32 v6, 4, v34
	v_lshlrev_b32_e32 v30, 3, v34
	v_mov_b32_e32 v12, v8
	v_mul_u32_u24_e32 v31, 0x808, v35
	v_min_i32_e32 v7, v32, v4
	v_min_i32_e32 v6, v32, v6
	v_mad_u32_u24 v33, 0x808, v35, v30
	; wave barrier
	v_add_nc_u32_e32 v4, 4, v7
	v_lshlrev_b32_e32 v16, 3, v7
	ds_write2_b64 v33, v[0:1], v[2:3] offset1:1
	s_mov_b32 s5, 0
	s_mov_b32 s4, exec_lo
	v_min_i32_e32 v4, v32, v4
	v_mad_u32_u24 v0, 0x808, v35, v16
	v_add_nc_u32_e32 v5, 4, v4
	v_sub_nc_u32_e32 v15, v4, v7
	v_min_i32_e32 v5, v32, v5
	v_sub_nc_u32_e32 v13, v5, v4
	v_sub_nc_u32_e32 v8, v6, v13
	v_cmp_ge_i32_e64 s3, v6, v13
	v_mov_b32_e32 v13, v9
	v_cndmask_b32_e64 v14, 0, v8, s3
	v_min_i32_e32 v8, v6, v15
	ds_write2_b64 v33, v[26:27], v[12:13] offset0:2 offset1:3
	; wave barrier
	v_cmpx_lt_i32_e64 v14, v8
	s_cbranch_execz .LBB187_22
; %bb.19:
	v_lshlrev_b32_e32 v1, 3, v4
	v_lshlrev_b32_e32 v2, 3, v6
	v_add3_u32 v1, v31, v1, v2
	.p2align	6
.LBB187_20:                             ; =>This Inner Loop Header: Depth=1
	v_sub_nc_u32_e32 v2, v8, v14
	v_lshrrev_b32_e32 v2, 1, v2
	v_add_nc_u32_e32 v9, v2, v14
	v_not_b32_e32 v2, v9
	v_lshl_add_u32 v3, v9, 3, v0
	v_lshl_add_u32 v12, v2, 3, v1
	ds_read_b64 v[2:3], v3
	ds_read_b64 v[12:13], v12
	s_waitcnt lgkmcnt(0)
	v_cmp_lt_i64_e64 s3, v[12:13], v[2:3]
	v_add_nc_u32_e32 v2, 1, v9
	v_cndmask_b32_e64 v8, v8, v9, s3
	v_cndmask_b32_e64 v14, v2, v14, s3
	v_cmp_ge_i32_e64 s3, v14, v8
	s_or_b32 s5, s3, s5
	s_andn2_b32 exec_lo, exec_lo, s5
	s_cbranch_execnz .LBB187_20
; %bb.21:
	s_or_b32 exec_lo, exec_lo, s5
.LBB187_22:
	s_or_b32 exec_lo, exec_lo, s4
	v_add_nc_u32_e32 v1, v4, v6
	v_add_nc_u32_e32 v7, v14, v7
	v_sub_nc_u32_e32 v6, v1, v14
	v_lshl_add_u32 v1, v14, 3, v0
	v_cmp_le_i32_e64 s4, v4, v7
                                        ; implicit-def: $vgpr14_vgpr15
	v_lshl_add_u32 v0, v6, 3, v31
	v_cmp_gt_i32_e64 s5, v5, v6
	ds_read_b64 v[8:9], v1
	ds_read_b64 v[12:13], v0
	s_waitcnt lgkmcnt(0)
	v_cmp_lt_i64_e64 s3, v[12:13], v[8:9]
	s_or_b32 s3, s4, s3
	s_and_b32 s3, s5, s3
	s_xor_b32 s4, s3, -1
	s_and_saveexec_b32 s5, s4
	s_xor_b32 s4, exec_lo, s5
; %bb.23:
	ds_read_b64 v[14:15], v1 offset:8
                                        ; implicit-def: $vgpr0
; %bb.24:
	s_or_saveexec_b32 s4, s4
	v_mov_b32_e32 v17, v13
	v_mov_b32_e32 v16, v12
	s_xor_b32 exec_lo, exec_lo, s4
	s_cbranch_execz .LBB187_26
; %bb.25:
	ds_read_b64 v[16:17], v0 offset:8
	s_waitcnt lgkmcnt(1)
	v_mov_b32_e32 v15, v9
	v_mov_b32_e32 v14, v8
.LBB187_26:
	s_or_b32 exec_lo, exec_lo, s4
	v_add_nc_u32_e32 v0, 1, v7
	v_add_nc_u32_e32 v1, 1, v6
	s_waitcnt lgkmcnt(0)
	v_cmp_lt_i64_e64 s4, v[16:17], v[14:15]
	v_cndmask_b32_e64 v35, v0, v7, s3
	v_cndmask_b32_e64 v36, v6, v1, s3
                                        ; implicit-def: $vgpr0_vgpr1
	v_cmp_ge_i32_e64 s5, v35, v4
	v_cmp_lt_i32_e64 s6, v36, v5
	s_or_b32 s4, s5, s4
	s_and_b32 s4, s6, s4
	s_xor_b32 s5, s4, -1
	s_and_saveexec_b32 s6, s5
	s_xor_b32 s5, exec_lo, s6
; %bb.27:
	v_lshl_add_u32 v0, v35, 3, v31
	ds_read_b64 v[0:1], v0 offset:8
; %bb.28:
	s_or_saveexec_b32 s5, s5
	v_mov_b32_e32 v2, v16
	v_mov_b32_e32 v3, v17
	s_xor_b32 exec_lo, exec_lo, s5
	s_cbranch_execz .LBB187_30
; %bb.29:
	s_waitcnt lgkmcnt(0)
	v_lshl_add_u32 v0, v36, 3, v31
	ds_read_b64 v[2:3], v0 offset:8
	v_mov_b32_e32 v0, v14
	v_mov_b32_e32 v1, v15
.LBB187_30:
	s_or_b32 exec_lo, exec_lo, s5
	v_add_nc_u32_e32 v26, 1, v35
	v_add_nc_u32_e32 v27, 1, v36
	s_waitcnt lgkmcnt(0)
	v_cmp_lt_i64_e64 s5, v[2:3], v[0:1]
	v_cndmask_b32_e64 v38, v26, v35, s4
	v_cndmask_b32_e64 v39, v36, v27, s4
                                        ; implicit-def: $vgpr26_vgpr27
	v_cmp_ge_i32_e64 s6, v38, v4
	v_cmp_lt_i32_e64 s7, v39, v5
	s_or_b32 s5, s6, s5
	s_and_b32 s5, s7, s5
	s_xor_b32 s6, s5, -1
	s_and_saveexec_b32 s7, s6
	s_xor_b32 s6, exec_lo, s7
; %bb.31:
	v_lshl_add_u32 v26, v38, 3, v31
	ds_read_b64 v[26:27], v26 offset:8
; %bb.32:
	s_or_saveexec_b32 s6, s6
	v_mov_b32_e32 v29, v3
	v_mov_b32_e32 v28, v2
	s_xor_b32 exec_lo, exec_lo, s6
	s_cbranch_execz .LBB187_34
; %bb.33:
	s_waitcnt lgkmcnt(0)
	v_lshl_add_u32 v26, v39, 3, v31
	ds_read_b64 v[28:29], v26 offset:8
	v_mov_b32_e32 v27, v1
	v_mov_b32_e32 v26, v0
.LBB187_34:
	s_or_b32 exec_lo, exec_lo, s6
	v_add_nc_u32_e32 v37, 1, v38
	v_and_b32_e32 v42, 0x70, v34
	v_add_nc_u32_e32 v43, 1, v39
	v_cndmask_b32_e64 v40, v0, v2, s5
	v_cndmask_b32_e64 v41, v1, v3, s5
	;; [unrolled: 1-line block ×3, first 2 shown]
	v_min_i32_e32 v37, v32, v42
	v_cndmask_b32_e64 v1, v39, v43, s5
	v_cndmask_b32_e64 v2, v38, v39, s5
	s_waitcnt lgkmcnt(0)
	v_cmp_lt_i64_e64 s5, v[28:29], v[26:27]
	v_cmp_ge_i32_e64 s6, v0, v4
	v_add_nc_u32_e32 v3, 8, v37
	v_cmp_lt_i32_e64 s7, v1, v5
	v_cndmask_b32_e64 v4, v35, v36, s4
	v_cndmask_b32_e64 v5, v7, v6, s3
	s_or_b32 s5, s6, s5
	v_min_i32_e32 v35, v32, v3
	s_and_b32 s5, s7, s5
	v_lshl_add_u32 v4, v4, 3, v31
	v_cndmask_b32_e64 v0, v0, v1, s5
	v_lshl_add_u32 v3, v5, 3, v31
	v_add_nc_u32_e32 v1, 8, v35
	v_and_b32_e32 v5, 12, v34
	v_lshl_add_u32 v2, v2, 3, v31
	v_lshl_add_u32 v6, v0, 3, v31
	v_cndmask_b32_e64 v29, v27, v29, s5
	; wave barrier
	ds_write2_b64 v33, v[20:21], v[22:23] offset1:1
	ds_write2_b64 v33, v[24:25], v[10:11] offset0:2 offset1:3
	; wave barrier
	v_min_i32_e32 v27, v32, v1
	v_min_i32_e32 v10, v32, v5
	ds_read_b64 v[0:1], v3
	ds_read_b64 v[4:5], v4
	ds_read_b64 v[2:3], v2
	ds_read_b64 v[6:7], v6
	v_cndmask_b32_e64 v15, v15, v17, s4
	v_cndmask_b32_e64 v14, v14, v16, s4
	v_sub_nc_u32_e32 v11, v27, v35
	v_cndmask_b32_e64 v17, v9, v13, s3
	v_sub_nc_u32_e32 v13, v35, v37
	v_cndmask_b32_e64 v16, v8, v12, s3
	v_cndmask_b32_e64 v28, v26, v28, s5
	v_sub_nc_u32_e32 v9, v10, v11
	v_cmp_ge_i32_e64 s3, v10, v11
	v_lshl_add_u32 v8, v37, 3, v31
	s_mov_b32 s5, 0
	s_mov_b32 s4, exec_lo
	v_cndmask_b32_e64 v12, 0, v9, s3
	v_min_i32_e32 v9, v10, v13
	; wave barrier
	ds_write2_b64 v33, v[16:17], v[14:15] offset1:1
	ds_write2_b64 v33, v[40:41], v[28:29] offset0:2 offset1:3
	; wave barrier
	v_cmpx_lt_i32_e64 v12, v9
	s_cbranch_execz .LBB187_38
; %bb.35:
	v_lshlrev_b32_e32 v11, 3, v35
	v_lshlrev_b32_e32 v13, 3, v10
	v_add3_u32 v11, v31, v11, v13
	.p2align	6
.LBB187_36:                             ; =>This Inner Loop Header: Depth=1
	v_sub_nc_u32_e32 v13, v9, v12
	v_lshrrev_b32_e32 v13, 1, v13
	v_add_nc_u32_e32 v17, v13, v12
	v_not_b32_e32 v13, v17
	v_lshl_add_u32 v14, v17, 3, v8
	v_lshl_add_u32 v15, v13, 3, v11
	ds_read_b64 v[13:14], v14
	ds_read_b64 v[15:16], v15
	s_waitcnt lgkmcnt(0)
	v_cmp_lt_i64_e64 s3, v[15:16], v[13:14]
	v_add_nc_u32_e32 v13, 1, v17
	v_cndmask_b32_e64 v9, v9, v17, s3
	v_cndmask_b32_e64 v12, v13, v12, s3
	v_cmp_ge_i32_e64 s3, v12, v9
	s_or_b32 s5, s3, s5
	s_andn2_b32 exec_lo, exec_lo, s5
	s_cbranch_execnz .LBB187_36
; %bb.37:
	s_or_b32 exec_lo, exec_lo, s5
.LBB187_38:
	s_or_b32 exec_lo, exec_lo, s4
	v_add_nc_u32_e32 v9, v35, v10
	v_lshl_add_u32 v14, v12, 3, v8
	v_add_nc_u32_e32 v28, v12, v37
	v_sub_nc_u32_e32 v26, v9, v12
                                        ; implicit-def: $vgpr12_vgpr13
	v_cmp_le_i32_e64 s4, v35, v28
	v_lshl_add_u32 v16, v26, 3, v31
	v_cmp_gt_i32_e64 s5, v27, v26
	ds_read_b64 v[8:9], v14
	ds_read_b64 v[10:11], v16
	s_waitcnt lgkmcnt(0)
	v_cmp_lt_i64_e64 s3, v[10:11], v[8:9]
	s_or_b32 s3, s4, s3
	s_and_b32 s3, s5, s3
	s_xor_b32 s4, s3, -1
	s_and_saveexec_b32 s5, s4
	s_xor_b32 s4, exec_lo, s5
; %bb.39:
	ds_read_b64 v[12:13], v14 offset:8
                                        ; implicit-def: $vgpr16
; %bb.40:
	s_or_saveexec_b32 s4, s4
	v_mov_b32_e32 v15, v11
	v_mov_b32_e32 v14, v10
	s_xor_b32 exec_lo, exec_lo, s4
	s_cbranch_execz .LBB187_42
; %bb.41:
	ds_read_b64 v[14:15], v16 offset:8
	s_waitcnt lgkmcnt(1)
	v_mov_b32_e32 v13, v9
	v_mov_b32_e32 v12, v8
.LBB187_42:
	s_or_b32 exec_lo, exec_lo, s4
	v_add_nc_u32_e32 v16, 1, v28
	v_add_nc_u32_e32 v17, 1, v26
	s_waitcnt lgkmcnt(0)
	v_cmp_lt_i64_e64 s4, v[14:15], v[12:13]
                                        ; implicit-def: $vgpr20_vgpr21
	v_cndmask_b32_e64 v29, v16, v28, s3
	v_cndmask_b32_e64 v36, v26, v17, s3
	v_cmp_ge_i32_e64 s5, v29, v35
	v_cmp_lt_i32_e64 s6, v36, v27
	s_or_b32 s4, s5, s4
	s_and_b32 s4, s6, s4
	s_xor_b32 s5, s4, -1
	s_and_saveexec_b32 s6, s5
	s_xor_b32 s5, exec_lo, s6
; %bb.43:
	v_lshl_add_u32 v16, v29, 3, v31
	ds_read_b64 v[20:21], v16 offset:8
; %bb.44:
	s_or_saveexec_b32 s5, s5
	v_mov_b32_e32 v25, v15
	v_mov_b32_e32 v24, v14
	s_xor_b32 exec_lo, exec_lo, s5
	s_cbranch_execz .LBB187_46
; %bb.45:
	v_lshl_add_u32 v16, v36, 3, v31
	s_waitcnt lgkmcnt(0)
	v_mov_b32_e32 v21, v13
	v_mov_b32_e32 v20, v12
	ds_read_b64 v[24:25], v16 offset:8
.LBB187_46:
	s_or_b32 exec_lo, exec_lo, s5
	v_add_nc_u32_e32 v16, 1, v29
	v_add_nc_u32_e32 v17, 1, v36
	s_waitcnt lgkmcnt(0)
	v_cmp_lt_i64_e64 s5, v[24:25], v[20:21]
	v_cndmask_b32_e64 v37, v16, v29, s4
	v_cndmask_b32_e64 v38, v36, v17, s4
                                        ; implicit-def: $vgpr16_vgpr17
	v_cmp_ge_i32_e64 s6, v37, v35
	v_cmp_lt_i32_e64 s7, v38, v27
	s_or_b32 s5, s6, s5
	s_and_b32 s5, s7, s5
	s_xor_b32 s6, s5, -1
	s_and_saveexec_b32 s7, s6
	s_xor_b32 s6, exec_lo, s7
; %bb.47:
	v_lshl_add_u32 v16, v37, 3, v31
	ds_read_b64 v[16:17], v16 offset:8
; %bb.48:
	s_or_saveexec_b32 s6, s6
	v_mov_b32_e32 v22, v24
	v_mov_b32_e32 v23, v25
	s_xor_b32 exec_lo, exec_lo, s6
	s_cbranch_execz .LBB187_50
; %bb.49:
	s_waitcnt lgkmcnt(0)
	v_lshl_add_u32 v16, v38, 3, v31
	ds_read_b64 v[22:23], v16 offset:8
	v_mov_b32_e32 v16, v20
	v_mov_b32_e32 v17, v21
.LBB187_50:
	s_or_b32 exec_lo, exec_lo, s6
	v_add_nc_u32_e32 v39, 1, v37
	v_and_b32_e32 v40, 0x60, v34
	v_add_nc_u32_e32 v41, 1, v38
	v_cndmask_b32_e64 v25, v21, v25, s5
	v_cndmask_b32_e64 v24, v20, v24, s5
	;; [unrolled: 1-line block ×3, first 2 shown]
	v_min_i32_e32 v20, v32, v40
	v_cndmask_b32_e64 v39, v38, v41, s5
	v_cndmask_b32_e64 v37, v37, v38, s5
	s_waitcnt lgkmcnt(0)
	v_cmp_lt_i64_e64 s5, v[22:23], v[16:17]
	v_cmp_ge_i32_e64 s6, v21, v35
	v_add_nc_u32_e32 v35, 16, v20
	v_cmp_lt_i32_e64 s7, v39, v27
	v_cndmask_b32_e64 v27, v28, v26, s3
	v_cndmask_b32_e64 v29, v29, v36, s4
	s_or_b32 s5, s6, s5
	v_min_i32_e32 v26, v32, v35
	s_and_b32 s5, s7, s5
	v_cndmask_b32_e64 v23, v17, v23, s5
	v_cndmask_b32_e64 v17, v21, v39, s5
	; wave barrier
	ds_write2_b64 v33, v[0:1], v[4:5] offset1:1
	ds_write2_b64 v33, v[2:3], v[6:7] offset0:2 offset1:3
	v_add_nc_u32_e32 v0, 16, v26
	v_lshl_add_u32 v1, v27, 3, v31
	v_and_b32_e32 v2, 28, v34
	v_lshl_add_u32 v3, v29, 3, v31
	v_lshl_add_u32 v6, v37, 3, v31
	;; [unrolled: 1-line block ×3, first 2 shown]
	; wave barrier
	v_min_i32_e32 v27, v32, v0
	v_min_i32_e32 v17, v32, v2
	ds_read_b64 v[0:1], v1
	ds_read_b64 v[4:5], v3
	;; [unrolled: 1-line block ×4, first 2 shown]
	v_cndmask_b32_e64 v15, v13, v15, s4
	v_cndmask_b32_e64 v11, v9, v11, s3
	v_sub_nc_u32_e32 v21, v27, v26
	v_sub_nc_u32_e32 v13, v26, v20
	v_cndmask_b32_e64 v10, v8, v10, s3
	v_cndmask_b32_e64 v14, v12, v14, s4
	;; [unrolled: 1-line block ×3, first 2 shown]
	v_sub_nc_u32_e32 v9, v17, v21
	v_cmp_ge_i32_e64 s3, v17, v21
	v_lshl_add_u32 v8, v20, 3, v31
	s_mov_b32 s5, 0
	s_mov_b32 s4, exec_lo
	v_cndmask_b32_e64 v12, 0, v9, s3
	v_min_i32_e32 v9, v17, v13
	; wave barrier
	ds_write2_b64 v33, v[10:11], v[14:15] offset1:1
	ds_write2_b64 v33, v[24:25], v[22:23] offset0:2 offset1:3
	; wave barrier
	v_cmpx_lt_i32_e64 v12, v9
	s_cbranch_execz .LBB187_54
; %bb.51:
	v_lshlrev_b32_e32 v10, 3, v26
	v_lshlrev_b32_e32 v11, 3, v17
	v_add3_u32 v10, v31, v10, v11
	.p2align	6
.LBB187_52:                             ; =>This Inner Loop Header: Depth=1
	v_sub_nc_u32_e32 v11, v9, v12
	v_lshrrev_b32_e32 v11, 1, v11
	v_add_nc_u32_e32 v11, v11, v12
	v_not_b32_e32 v13, v11
	v_lshl_add_u32 v14, v11, 3, v8
	v_lshl_add_u32 v15, v13, 3, v10
	ds_read_b64 v[13:14], v14
	ds_read_b64 v[15:16], v15
	s_waitcnt lgkmcnt(0)
	v_cmp_lt_i64_e64 s3, v[15:16], v[13:14]
	v_add_nc_u32_e32 v13, 1, v11
	v_cndmask_b32_e64 v9, v9, v11, s3
	v_cndmask_b32_e64 v12, v13, v12, s3
	v_cmp_ge_i32_e64 s3, v12, v9
	s_or_b32 s5, s3, s5
	s_andn2_b32 exec_lo, exec_lo, s5
	s_cbranch_execnz .LBB187_52
; %bb.53:
	s_or_b32 exec_lo, exec_lo, s5
.LBB187_54:
	s_or_b32 exec_lo, exec_lo, s4
	v_add_nc_u32_e32 v9, v26, v17
	v_lshl_add_u32 v14, v12, 3, v8
	v_add_nc_u32_e32 v29, v12, v20
	v_sub_nc_u32_e32 v28, v9, v12
                                        ; implicit-def: $vgpr12_vgpr13
	v_cmp_le_i32_e64 s4, v26, v29
	v_lshl_add_u32 v16, v28, 3, v31
	v_cmp_gt_i32_e64 s5, v27, v28
	ds_read_b64 v[8:9], v14
	ds_read_b64 v[10:11], v16
	s_waitcnt lgkmcnt(0)
	v_cmp_lt_i64_e64 s3, v[10:11], v[8:9]
	s_or_b32 s3, s4, s3
	s_and_b32 s3, s5, s3
	s_xor_b32 s4, s3, -1
	s_and_saveexec_b32 s5, s4
	s_xor_b32 s4, exec_lo, s5
; %bb.55:
	ds_read_b64 v[12:13], v14 offset:8
                                        ; implicit-def: $vgpr16
; %bb.56:
	s_or_saveexec_b32 s4, s4
	v_mov_b32_e32 v15, v11
	v_mov_b32_e32 v14, v10
	s_xor_b32 exec_lo, exec_lo, s4
	s_cbranch_execz .LBB187_58
; %bb.57:
	ds_read_b64 v[14:15], v16 offset:8
	s_waitcnt lgkmcnt(1)
	v_mov_b32_e32 v13, v9
	v_mov_b32_e32 v12, v8
.LBB187_58:
	s_or_b32 exec_lo, exec_lo, s4
	v_add_nc_u32_e32 v16, 1, v29
	v_add_nc_u32_e32 v17, 1, v28
	s_waitcnt lgkmcnt(0)
	v_cmp_lt_i64_e64 s4, v[14:15], v[12:13]
                                        ; implicit-def: $vgpr20_vgpr21
	v_cndmask_b32_e64 v35, v16, v29, s3
	v_cndmask_b32_e64 v36, v28, v17, s3
	v_cmp_ge_i32_e64 s5, v35, v26
	v_cmp_lt_i32_e64 s6, v36, v27
	s_or_b32 s4, s5, s4
	s_and_b32 s4, s6, s4
	s_xor_b32 s5, s4, -1
	s_and_saveexec_b32 s6, s5
	s_xor_b32 s5, exec_lo, s6
; %bb.59:
	v_lshl_add_u32 v16, v35, 3, v31
	ds_read_b64 v[20:21], v16 offset:8
; %bb.60:
	s_or_saveexec_b32 s5, s5
	v_mov_b32_e32 v25, v15
	v_mov_b32_e32 v24, v14
	s_xor_b32 exec_lo, exec_lo, s5
	s_cbranch_execz .LBB187_62
; %bb.61:
	v_lshl_add_u32 v16, v36, 3, v31
	s_waitcnt lgkmcnt(0)
	v_mov_b32_e32 v21, v13
	v_mov_b32_e32 v20, v12
	ds_read_b64 v[24:25], v16 offset:8
.LBB187_62:
	s_or_b32 exec_lo, exec_lo, s5
	v_add_nc_u32_e32 v16, 1, v35
	v_add_nc_u32_e32 v17, 1, v36
	s_waitcnt lgkmcnt(0)
	v_cmp_lt_i64_e64 s5, v[24:25], v[20:21]
	v_cndmask_b32_e64 v37, v16, v35, s4
	v_cndmask_b32_e64 v38, v36, v17, s4
                                        ; implicit-def: $vgpr16_vgpr17
	v_cmp_ge_i32_e64 s6, v37, v26
	v_cmp_lt_i32_e64 s7, v38, v27
	s_or_b32 s5, s6, s5
	s_and_b32 s5, s7, s5
	s_xor_b32 s6, s5, -1
	s_and_saveexec_b32 s7, s6
	s_xor_b32 s6, exec_lo, s7
; %bb.63:
	v_lshl_add_u32 v16, v37, 3, v31
	ds_read_b64 v[16:17], v16 offset:8
; %bb.64:
	s_or_saveexec_b32 s6, s6
	v_mov_b32_e32 v22, v24
	v_mov_b32_e32 v23, v25
	s_xor_b32 exec_lo, exec_lo, s6
	s_cbranch_execz .LBB187_66
; %bb.65:
	s_waitcnt lgkmcnt(0)
	v_lshl_add_u32 v16, v38, 3, v31
	ds_read_b64 v[22:23], v16 offset:8
	v_mov_b32_e32 v16, v20
	v_mov_b32_e32 v17, v21
.LBB187_66:
	s_or_b32 exec_lo, exec_lo, s6
	v_add_nc_u32_e32 v39, 1, v37
	v_and_b32_e32 v40, 64, v34
	v_add_nc_u32_e32 v41, 1, v38
	v_cndmask_b32_e64 v25, v21, v25, s5
	v_cndmask_b32_e64 v24, v20, v24, s5
	;; [unrolled: 1-line block ×3, first 2 shown]
	v_min_i32_e32 v20, v32, v40
	v_cndmask_b32_e64 v39, v38, v41, s5
	v_cndmask_b32_e64 v37, v37, v38, s5
	s_waitcnt lgkmcnt(0)
	v_cmp_lt_i64_e64 s5, v[22:23], v[16:17]
	v_cmp_ge_i32_e64 s6, v21, v26
	v_add_nc_u32_e32 v26, 32, v20
	v_cmp_lt_i32_e64 s7, v39, v27
	v_cndmask_b32_e64 v28, v29, v28, s3
	v_cndmask_b32_e64 v35, v35, v36, s4
	s_or_b32 s5, s6, s5
	v_min_i32_e32 v27, v32, v26
	s_and_b32 s5, s7, s5
	v_cndmask_b32_e64 v23, v17, v23, s5
	v_cndmask_b32_e64 v17, v21, v39, s5
	; wave barrier
	ds_write2_b64 v33, v[0:1], v[4:5] offset1:1
	ds_write2_b64 v33, v[2:3], v[6:7] offset0:2 offset1:3
	v_add_nc_u32_e32 v0, 32, v27
	v_lshl_add_u32 v1, v28, 3, v31
	v_and_b32_e32 v2, 60, v34
	v_lshl_add_u32 v3, v35, 3, v31
	v_lshl_add_u32 v6, v37, 3, v31
	;; [unrolled: 1-line block ×3, first 2 shown]
	; wave barrier
	v_min_i32_e32 v28, v32, v0
	v_min_i32_e32 v17, v32, v2
	ds_read_b64 v[0:1], v1
	ds_read_b64 v[4:5], v3
	ds_read_b64 v[2:3], v6
	ds_read_b64 v[6:7], v7
	v_cndmask_b32_e64 v15, v13, v15, s4
	v_cndmask_b32_e64 v11, v9, v11, s3
	v_sub_nc_u32_e32 v21, v28, v27
	v_sub_nc_u32_e32 v13, v27, v20
	v_cndmask_b32_e64 v10, v8, v10, s3
	v_cndmask_b32_e64 v14, v12, v14, s4
	;; [unrolled: 1-line block ×3, first 2 shown]
	v_sub_nc_u32_e32 v9, v17, v21
	v_cmp_ge_i32_e64 s3, v17, v21
	v_lshl_add_u32 v8, v20, 3, v31
	s_mov_b32 s5, 0
	s_mov_b32 s4, exec_lo
	v_cndmask_b32_e64 v12, 0, v9, s3
	v_min_i32_e32 v9, v17, v13
	; wave barrier
	ds_write2_b64 v33, v[10:11], v[14:15] offset1:1
	ds_write2_b64 v33, v[24:25], v[22:23] offset0:2 offset1:3
	; wave barrier
	v_cmpx_lt_i32_e64 v12, v9
	s_cbranch_execz .LBB187_70
; %bb.67:
	v_lshlrev_b32_e32 v10, 3, v27
	v_lshlrev_b32_e32 v11, 3, v17
	v_add3_u32 v10, v31, v10, v11
	.p2align	6
.LBB187_68:                             ; =>This Inner Loop Header: Depth=1
	v_sub_nc_u32_e32 v11, v9, v12
	v_lshrrev_b32_e32 v11, 1, v11
	v_add_nc_u32_e32 v11, v11, v12
	v_not_b32_e32 v13, v11
	v_lshl_add_u32 v14, v11, 3, v8
	v_lshl_add_u32 v15, v13, 3, v10
	ds_read_b64 v[13:14], v14
	ds_read_b64 v[15:16], v15
	s_waitcnt lgkmcnt(0)
	v_cmp_lt_i64_e64 s3, v[15:16], v[13:14]
	v_add_nc_u32_e32 v13, 1, v11
	v_cndmask_b32_e64 v9, v9, v11, s3
	v_cndmask_b32_e64 v12, v13, v12, s3
	v_cmp_ge_i32_e64 s3, v12, v9
	s_or_b32 s5, s3, s5
	s_andn2_b32 exec_lo, exec_lo, s5
	s_cbranch_execnz .LBB187_68
; %bb.69:
	s_or_b32 exec_lo, exec_lo, s5
.LBB187_70:
	s_or_b32 exec_lo, exec_lo, s4
	v_add_nc_u32_e32 v9, v27, v17
	v_lshl_add_u32 v14, v12, 3, v8
	v_add_nc_u32_e32 v35, v12, v20
	v_sub_nc_u32_e32 v29, v9, v12
                                        ; implicit-def: $vgpr12_vgpr13
	v_cmp_le_i32_e64 s4, v27, v35
	v_lshl_add_u32 v16, v29, 3, v31
	v_cmp_gt_i32_e64 s5, v28, v29
	ds_read_b64 v[8:9], v14
	ds_read_b64 v[10:11], v16
	s_waitcnt lgkmcnt(0)
	v_cmp_lt_i64_e64 s3, v[10:11], v[8:9]
	s_or_b32 s3, s4, s3
	s_and_b32 s3, s5, s3
	s_xor_b32 s4, s3, -1
	s_and_saveexec_b32 s5, s4
	s_xor_b32 s4, exec_lo, s5
; %bb.71:
	ds_read_b64 v[12:13], v14 offset:8
                                        ; implicit-def: $vgpr16
; %bb.72:
	s_or_saveexec_b32 s4, s4
	v_mov_b32_e32 v15, v11
	v_mov_b32_e32 v14, v10
	s_xor_b32 exec_lo, exec_lo, s4
	s_cbranch_execz .LBB187_74
; %bb.73:
	ds_read_b64 v[14:15], v16 offset:8
	s_waitcnt lgkmcnt(1)
	v_mov_b32_e32 v13, v9
	v_mov_b32_e32 v12, v8
.LBB187_74:
	s_or_b32 exec_lo, exec_lo, s4
	v_add_nc_u32_e32 v16, 1, v35
	v_add_nc_u32_e32 v17, 1, v29
	s_waitcnt lgkmcnt(0)
	v_cmp_lt_i64_e64 s4, v[14:15], v[12:13]
                                        ; implicit-def: $vgpr22_vgpr23
	v_cndmask_b32_e64 v36, v16, v35, s3
	v_cndmask_b32_e64 v37, v29, v17, s3
	v_cmp_ge_i32_e64 s5, v36, v27
	v_cmp_lt_i32_e64 s6, v37, v28
	s_or_b32 s4, s5, s4
	s_and_b32 s4, s6, s4
	s_xor_b32 s5, s4, -1
	s_and_saveexec_b32 s6, s5
	s_xor_b32 s5, exec_lo, s6
; %bb.75:
	v_lshl_add_u32 v16, v36, 3, v31
	ds_read_b64 v[22:23], v16 offset:8
; %bb.76:
	s_or_saveexec_b32 s5, s5
	v_mov_b32_e32 v25, v15
	v_mov_b32_e32 v24, v14
	s_xor_b32 exec_lo, exec_lo, s5
	s_cbranch_execz .LBB187_78
; %bb.77:
	v_lshl_add_u32 v16, v37, 3, v31
	s_waitcnt lgkmcnt(0)
	v_mov_b32_e32 v23, v13
	v_mov_b32_e32 v22, v12
	ds_read_b64 v[24:25], v16 offset:8
.LBB187_78:
	s_or_b32 exec_lo, exec_lo, s5
	v_add_nc_u32_e32 v16, 1, v36
	v_add_nc_u32_e32 v17, 1, v37
	s_waitcnt lgkmcnt(0)
	v_cmp_lt_i64_e64 s5, v[24:25], v[22:23]
	v_cndmask_b32_e64 v26, v16, v36, s4
	v_cndmask_b32_e64 v38, v37, v17, s4
                                        ; implicit-def: $vgpr16_vgpr17
	v_cmp_ge_i32_e64 s6, v26, v27
	v_cmp_lt_i32_e64 s7, v38, v28
	s_or_b32 s5, s6, s5
	s_and_b32 s5, s7, s5
	s_xor_b32 s6, s5, -1
	s_and_saveexec_b32 s7, s6
	s_xor_b32 s6, exec_lo, s7
; %bb.79:
	v_lshl_add_u32 v16, v26, 3, v31
	ds_read_b64 v[16:17], v16 offset:8
; %bb.80:
	s_or_saveexec_b32 s6, s6
	v_mov_b32_e32 v20, v24
	v_mov_b32_e32 v21, v25
	s_xor_b32 exec_lo, exec_lo, s6
	s_cbranch_execz .LBB187_82
; %bb.81:
	s_waitcnt lgkmcnt(0)
	v_lshl_add_u32 v16, v38, 3, v31
	ds_read_b64 v[20:21], v16 offset:8
	v_mov_b32_e32 v16, v22
	v_mov_b32_e32 v17, v23
.LBB187_82:
	s_or_b32 exec_lo, exec_lo, s6
	v_add_nc_u32_e32 v39, 1, v26
	v_cndmask_b32_e64 v23, v23, v25, s5
	v_add_nc_u32_e32 v25, 1, v38
	v_cndmask_b32_e64 v22, v22, v24, s5
	v_cndmask_b32_e64 v24, v26, v38, s5
	;; [unrolled: 1-line block ×3, first 2 shown]
	v_min_i32_e32 v26, 0, v32
	v_cndmask_b32_e64 v25, v38, v25, s5
	s_waitcnt lgkmcnt(0)
	v_cmp_lt_i64_e64 s5, v[20:21], v[16:17]
	v_cndmask_b32_e64 v36, v36, v37, s4
	v_cmp_ge_i32_e64 s6, v39, v27
	v_add_nc_u32_e32 v27, 64, v26
	v_cmp_lt_i32_e64 s7, v25, v28
	v_cndmask_b32_e64 v28, v35, v29, s3
	s_or_b32 s5, s6, s5
	v_min_i32_e32 v29, v32, v27
	s_and_b32 s5, s7, s5
	; wave barrier
	v_cndmask_b32_e64 v17, v17, v21, s5
	v_cndmask_b32_e64 v21, v39, v25, s5
	ds_write2_b64 v33, v[0:1], v[4:5] offset1:1
	ds_write2_b64 v33, v[2:3], v[6:7] offset0:2 offset1:3
	v_add_nc_u32_e32 v0, 64, v29
	v_lshl_add_u32 v1, v28, 3, v31
	v_and_b32_e32 v2, 0x7c, v34
	v_lshl_add_u32 v3, v36, 3, v31
	v_lshl_add_u32 v6, v24, 3, v31
	;; [unrolled: 1-line block ×3, first 2 shown]
	; wave barrier
	v_min_i32_e32 v34, v32, v0
	v_min_i32_e32 v27, v32, v2
	ds_read_b64 v[0:1], v1
	ds_read_b64 v[4:5], v3
	;; [unrolled: 1-line block ×4, first 2 shown]
	v_cndmask_b32_e64 v15, v13, v15, s4
	v_cndmask_b32_e64 v11, v9, v11, s3
	v_sub_nc_u32_e32 v21, v34, v29
	v_sub_nc_u32_e32 v13, v29, v26
	v_cndmask_b32_e64 v10, v8, v10, s3
	v_cndmask_b32_e64 v14, v12, v14, s4
	;; [unrolled: 1-line block ×3, first 2 shown]
	v_sub_nc_u32_e32 v9, v27, v21
	v_cmp_ge_i32_e64 s3, v27, v21
	v_min_i32_e32 v8, v27, v13
	v_lshl_add_u32 v28, v26, 3, v31
	s_mov_b32 s5, 0
	s_mov_b32 s4, exec_lo
	v_cndmask_b32_e64 v12, 0, v9, s3
	; wave barrier
	ds_write2_b64 v33, v[10:11], v[14:15] offset1:1
	ds_write2_b64 v33, v[22:23], v[16:17] offset0:2 offset1:3
	; wave barrier
	v_cmpx_lt_i32_e64 v12, v8
	s_cbranch_execz .LBB187_86
; %bb.83:
	v_lshlrev_b32_e32 v9, 3, v29
	v_lshlrev_b32_e32 v10, 3, v27
	v_add3_u32 v9, v31, v9, v10
	.p2align	6
.LBB187_84:                             ; =>This Inner Loop Header: Depth=1
	v_sub_nc_u32_e32 v10, v8, v12
	v_lshrrev_b32_e32 v10, 1, v10
	v_add_nc_u32_e32 v15, v10, v12
	v_not_b32_e32 v10, v15
	v_lshl_add_u32 v11, v15, 3, v28
	v_lshl_add_u32 v13, v10, 3, v9
	ds_read_b64 v[10:11], v11
	ds_read_b64 v[13:14], v13
	s_waitcnt lgkmcnt(0)
	v_cmp_lt_i64_e64 s3, v[13:14], v[10:11]
	v_add_nc_u32_e32 v10, 1, v15
	v_cndmask_b32_e64 v8, v8, v15, s3
	v_cndmask_b32_e64 v12, v10, v12, s3
	v_cmp_ge_i32_e64 s3, v12, v8
	s_or_b32 s5, s3, s5
	s_andn2_b32 exec_lo, exec_lo, s5
	s_cbranch_execnz .LBB187_84
; %bb.85:
	s_or_b32 exec_lo, exec_lo, s5
.LBB187_86:
	s_or_b32 exec_lo, exec_lo, s4
	v_add_nc_u32_e32 v8, v29, v27
	v_lshl_add_u32 v14, v12, 3, v28
	v_add_nc_u32_e32 v36, v12, v26
	v_sub_nc_u32_e32 v35, v8, v12
                                        ; implicit-def: $vgpr12_vgpr13
	v_cmp_le_i32_e64 s4, v29, v36
	v_lshl_add_u32 v16, v35, 3, v31
	v_cmp_gt_i32_e64 s5, v34, v35
	ds_read_b64 v[8:9], v14
	ds_read_b64 v[10:11], v16
	s_waitcnt lgkmcnt(0)
	v_cmp_lt_i64_e64 s3, v[10:11], v[8:9]
	s_or_b32 s3, s4, s3
	s_and_b32 s3, s5, s3
	s_xor_b32 s4, s3, -1
	s_and_saveexec_b32 s5, s4
	s_xor_b32 s4, exec_lo, s5
; %bb.87:
	ds_read_b64 v[12:13], v14 offset:8
                                        ; implicit-def: $vgpr16
; %bb.88:
	s_or_saveexec_b32 s4, s4
	v_mov_b32_e32 v15, v11
	v_mov_b32_e32 v14, v10
	s_xor_b32 exec_lo, exec_lo, s4
	s_cbranch_execz .LBB187_90
; %bb.89:
	ds_read_b64 v[14:15], v16 offset:8
	s_waitcnt lgkmcnt(1)
	v_mov_b32_e32 v13, v9
	v_mov_b32_e32 v12, v8
.LBB187_90:
	s_or_b32 exec_lo, exec_lo, s4
	v_add_nc_u32_e32 v16, 1, v36
	v_add_nc_u32_e32 v17, 1, v35
	s_waitcnt lgkmcnt(0)
	v_cmp_lt_i64_e64 s4, v[14:15], v[12:13]
	v_cndmask_b32_e64 v38, v16, v36, s3
	v_cndmask_b32_e64 v39, v35, v17, s3
                                        ; implicit-def: $vgpr16_vgpr17
	v_cmp_ge_i32_e64 s5, v38, v29
	v_cmp_lt_i32_e64 s6, v39, v34
	s_or_b32 s4, s5, s4
	s_and_b32 s4, s6, s4
	s_xor_b32 s5, s4, -1
	s_and_saveexec_b32 s6, s5
	s_xor_b32 s5, exec_lo, s6
; %bb.91:
	v_lshl_add_u32 v16, v38, 3, v31
	ds_read_b64 v[16:17], v16 offset:8
; %bb.92:
	s_or_saveexec_b32 s5, s5
	v_mov_b32_e32 v21, v15
	v_mov_b32_e32 v20, v14
	s_xor_b32 exec_lo, exec_lo, s5
	s_cbranch_execz .LBB187_94
; %bb.93:
	s_waitcnt lgkmcnt(0)
	v_lshl_add_u32 v16, v39, 3, v31
	ds_read_b64 v[20:21], v16 offset:8
	v_mov_b32_e32 v17, v13
	v_mov_b32_e32 v16, v12
.LBB187_94:
	s_or_b32 exec_lo, exec_lo, s5
	v_add_nc_u32_e32 v22, 1, v38
	v_add_nc_u32_e32 v23, 1, v39
	s_waitcnt lgkmcnt(0)
	v_cmp_lt_i64_e64 s5, v[20:21], v[16:17]
	v_cndmask_b32_e64 v40, v22, v38, s4
	v_cndmask_b32_e64 v37, v39, v23, s4
                                        ; implicit-def: $vgpr22_vgpr23
	v_cmp_ge_i32_e64 s6, v40, v29
	v_cmp_lt_i32_e64 s7, v37, v34
	s_or_b32 s5, s6, s5
	s_and_b32 s5, s7, s5
	s_xor_b32 s6, s5, -1
	s_and_saveexec_b32 s7, s6
	s_xor_b32 s6, exec_lo, s7
; %bb.95:
	v_lshl_add_u32 v22, v40, 3, v31
	ds_read_b64 v[22:23], v22 offset:8
; %bb.96:
	s_or_saveexec_b32 s6, s6
	v_mov_b32_e32 v25, v21
	v_mov_b32_e32 v24, v20
	s_xor_b32 exec_lo, exec_lo, s6
	s_cbranch_execz .LBB187_98
; %bb.97:
	s_waitcnt lgkmcnt(0)
	v_lshl_add_u32 v22, v37, 3, v31
	ds_read_b64 v[24:25], v22 offset:8
	v_mov_b32_e32 v23, v17
	v_mov_b32_e32 v22, v16
.LBB187_98:
	s_or_b32 exec_lo, exec_lo, s6
	v_add_nc_u32_e32 v41, 1, v40
	v_cndmask_b32_e64 v17, v17, v21, s5
	v_add_nc_u32_e32 v21, 1, v37
	v_cndmask_b32_e64 v38, v38, v39, s4
	v_cndmask_b32_e64 v42, v40, v37, s5
	;; [unrolled: 1-line block ×3, first 2 shown]
	s_waitcnt lgkmcnt(0)
	v_cmp_lt_i64_e64 s6, v[24:25], v[22:23]
	v_cndmask_b32_e64 v37, v37, v21, s5
	v_add_nc_u32_e32 v40, 0x80, v26
	v_cndmask_b32_e64 v35, v36, v35, s3
	v_cmp_ge_i32_e64 s7, v39, v29
	v_cmp_lt_i32_e64 s8, v37, v34
	v_min_i32_e32 v29, v32, v40
	; wave barrier
	s_or_b32 s6, s7, s6
	ds_write2_b64 v33, v[0:1], v[4:5] offset1:1
	ds_write2_b64 v33, v[2:3], v[6:7] offset0:2 offset1:3
	s_and_b32 s6, s8, s6
	v_lshl_add_u32 v0, v35, 3, v31
	v_cndmask_b32_e64 v21, v23, v25, s6
	v_cndmask_b32_e64 v23, v39, v37, s6
	v_lshl_add_u32 v1, v38, 3, v31
	v_add_nc_u32_e32 v34, 0x80, v29
	v_lshl_add_u32 v2, v42, 3, v31
	v_lshl_add_u32 v3, v23, 3, v31
	; wave barrier
	ds_read_b64 v[4:5], v0
	ds_read_b64 v[6:7], v1
	;; [unrolled: 1-line block ×4, first 2 shown]
	v_min_i32_e32 v32, v32, v34
	v_cndmask_b32_e64 v15, v13, v15, s4
	v_cndmask_b32_e64 v14, v12, v14, s4
	v_sub_nc_u32_e32 v13, v29, v26
	v_cndmask_b32_e64 v11, v9, v11, s3
	v_sub_nc_u32_e32 v23, v32, v29
	v_cndmask_b32_e64 v10, v8, v10, s3
	v_cndmask_b32_e64 v16, v16, v20, s5
	v_min_i32_e32 v8, v27, v13
	v_cndmask_b32_e64 v20, v22, v24, s6
	v_sub_nc_u32_e32 v12, v27, v23
	v_cmp_ge_i32_e64 s3, v27, v23
	s_mov_b32 s5, 0
	s_mov_b32 s4, exec_lo
	; wave barrier
	v_cndmask_b32_e64 v12, 0, v12, s3
	ds_write2_b64 v33, v[10:11], v[14:15] offset1:1
	ds_write2_b64 v33, v[16:17], v[20:21] offset0:2 offset1:3
	; wave barrier
	v_cmpx_lt_i32_e64 v12, v8
	s_cbranch_execz .LBB187_102
; %bb.99:
	v_lshlrev_b32_e32 v9, 3, v29
	v_lshlrev_b32_e32 v10, 3, v27
	v_add3_u32 v9, v31, v9, v10
	.p2align	6
.LBB187_100:                            ; =>This Inner Loop Header: Depth=1
	v_sub_nc_u32_e32 v10, v8, v12
	v_lshrrev_b32_e32 v10, 1, v10
	v_add_nc_u32_e32 v15, v10, v12
	v_not_b32_e32 v10, v15
	v_lshl_add_u32 v11, v15, 3, v28
	v_lshl_add_u32 v13, v10, 3, v9
	ds_read_b64 v[10:11], v11
	ds_read_b64 v[13:14], v13
	s_waitcnt lgkmcnt(0)
	v_cmp_lt_i64_e64 s3, v[13:14], v[10:11]
	v_add_nc_u32_e32 v10, 1, v15
	v_cndmask_b32_e64 v8, v8, v15, s3
	v_cndmask_b32_e64 v12, v10, v12, s3
	v_cmp_ge_i32_e64 s3, v12, v8
	s_or_b32 s5, s3, s5
	s_andn2_b32 exec_lo, exec_lo, s5
	s_cbranch_execnz .LBB187_100
; %bb.101:
	s_or_b32 exec_lo, exec_lo, s5
.LBB187_102:
	s_or_b32 exec_lo, exec_lo, s4
	v_add_nc_u32_e32 v8, v29, v27
	v_lshl_add_u32 v14, v12, 3, v28
	v_add_nc_u32_e32 v26, v12, v26
	v_sub_nc_u32_e32 v27, v8, v12
                                        ; implicit-def: $vgpr12_vgpr13
	v_cmp_le_i32_e64 s4, v29, v26
	v_lshl_add_u32 v16, v27, 3, v31
	v_cmp_gt_i32_e64 s5, v32, v27
	ds_read_b64 v[8:9], v14
	ds_read_b64 v[10:11], v16
	s_waitcnt lgkmcnt(0)
	v_cmp_lt_i64_e64 s3, v[10:11], v[8:9]
	s_or_b32 s3, s4, s3
	s_and_b32 s3, s5, s3
	s_xor_b32 s4, s3, -1
	s_and_saveexec_b32 s5, s4
	s_xor_b32 s4, exec_lo, s5
; %bb.103:
	ds_read_b64 v[12:13], v14 offset:8
                                        ; implicit-def: $vgpr16
; %bb.104:
	s_or_saveexec_b32 s4, s4
	v_mov_b32_e32 v15, v11
	v_mov_b32_e32 v14, v10
	s_xor_b32 exec_lo, exec_lo, s4
	s_cbranch_execz .LBB187_106
; %bb.105:
	ds_read_b64 v[14:15], v16 offset:8
	s_waitcnt lgkmcnt(1)
	v_mov_b32_e32 v13, v9
	v_mov_b32_e32 v12, v8
.LBB187_106:
	s_or_b32 exec_lo, exec_lo, s4
	v_add_nc_u32_e32 v16, 1, v26
	v_add_nc_u32_e32 v17, 1, v27
	s_waitcnt lgkmcnt(0)
	v_cmp_lt_i64_e64 s4, v[14:15], v[12:13]
	v_cndmask_b32_e64 v28, v16, v26, s3
	v_cndmask_b32_e64 v34, v27, v17, s3
                                        ; implicit-def: $vgpr16_vgpr17
	v_cmp_ge_i32_e64 s5, v28, v29
	v_cmp_lt_i32_e64 s6, v34, v32
	s_or_b32 s4, s5, s4
	s_and_b32 s4, s6, s4
	s_xor_b32 s5, s4, -1
	s_and_saveexec_b32 s6, s5
	s_xor_b32 s5, exec_lo, s6
; %bb.107:
	v_lshl_add_u32 v16, v28, 3, v31
	ds_read_b64 v[16:17], v16 offset:8
; %bb.108:
	s_or_saveexec_b32 s5, s5
	v_mov_b32_e32 v21, v15
	v_mov_b32_e32 v20, v14
	s_xor_b32 exec_lo, exec_lo, s5
	s_cbranch_execz .LBB187_110
; %bb.109:
	s_waitcnt lgkmcnt(0)
	v_lshl_add_u32 v16, v34, 3, v31
	ds_read_b64 v[20:21], v16 offset:8
	v_mov_b32_e32 v17, v13
	v_mov_b32_e32 v16, v12
.LBB187_110:
	s_or_b32 exec_lo, exec_lo, s5
	v_add_nc_u32_e32 v22, 1, v28
	v_add_nc_u32_e32 v23, 1, v34
	s_waitcnt lgkmcnt(0)
	v_cmp_lt_i64_e64 s5, v[20:21], v[16:17]
                                        ; implicit-def: $vgpr37
	v_cndmask_b32_e64 v38, v22, v28, s4
	v_cndmask_b32_e64 v35, v34, v23, s4
                                        ; implicit-def: $vgpr22_vgpr23
	v_cmp_ge_i32_e64 s6, v38, v29
	v_cmp_lt_i32_e64 s7, v35, v32
	s_or_b32 s5, s6, s5
	s_and_b32 s5, s7, s5
	s_xor_b32 s6, s5, -1
	s_and_saveexec_b32 s7, s6
	s_xor_b32 s6, exec_lo, s7
; %bb.111:
	v_lshl_add_u32 v22, v38, 3, v31
	v_add_nc_u32_e32 v37, 1, v38
	ds_read_b64 v[22:23], v22 offset:8
; %bb.112:
	s_or_saveexec_b32 s6, s6
	v_mov_b32_e32 v25, v21
	v_mov_b32_e32 v36, v38
	;; [unrolled: 1-line block ×3, first 2 shown]
	s_xor_b32 exec_lo, exec_lo, s6
	s_cbranch_execz .LBB187_114
; %bb.113:
	s_waitcnt lgkmcnt(0)
	v_lshl_add_u32 v22, v35, 3, v31
	v_mov_b32_e32 v36, v35
	v_mov_b32_e32 v37, v38
	ds_read_b64 v[24:25], v22 offset:8
	v_add_nc_u32_e32 v22, 1, v35
	v_mov_b32_e32 v35, v22
	v_mov_b32_e32 v23, v17
	;; [unrolled: 1-line block ×3, first 2 shown]
.LBB187_114:
	s_or_b32 exec_lo, exec_lo, s6
	s_waitcnt lgkmcnt(0)
	v_cmp_lt_i64_e64 s6, v[24:25], v[22:23]
	v_cmp_ge_i32_e64 s7, v37, v29
	v_cmp_lt_i32_e64 s8, v35, v32
	v_cndmask_b32_e64 v28, v28, v34, s4
	; wave barrier
	s_or_b32 s6, s7, s6
	ds_write2_b64 v33, v[4:5], v[6:7] offset1:1
	ds_write2_b64 v33, v[0:1], v[2:3] offset0:2 offset1:3
	s_and_b32 s6, s8, s6
	v_lshl_add_u32 v0, v28, 3, v31
	v_cndmask_b32_e64 v23, v23, v25, s6
	v_cndmask_b32_e64 v25, v37, v35, s6
	v_lshl_add_u32 v1, v36, 3, v31
	; wave barrier
	v_lshl_add_u32 v2, v25, 3, v31
	ds_read_b64 v[6:7], v0
	ds_read_b64 v[4:5], v1
	;; [unrolled: 1-line block ×3, first 2 shown]
	v_cndmask_b32_e64 v1, v9, v11, s3
	v_cndmask_b32_e64 v0, v8, v10, s3
	;; [unrolled: 1-line block ×7, first 2 shown]
	s_and_saveexec_b32 s4, vcc_lo
	s_cbranch_execz .LBB187_116
; %bb.115:
	v_cndmask_b32_e64 v13, v26, v27, s3
	v_lshl_add_u32 v13, v13, 3, v31
	ds_read_b64 v[13:14], v13
	s_waitcnt lgkmcnt(0)
	v_add_co_u32 v0, s3, v13, v0
	v_add_co_ci_u32_e64 v1, null, v14, v1, s3
.LBB187_116:
	s_or_b32 exec_lo, exec_lo, s4
	s_waitcnt lgkmcnt(2)
	v_add_co_u32 v6, s3, v8, v6
	v_add_co_ci_u32_e64 v7, null, v9, v7, s3
	s_waitcnt lgkmcnt(1)
	v_add_co_u32 v4, s3, v11, v4
	v_add_co_ci_u32_e64 v5, null, v12, v5, s3
	;; [unrolled: 3-line block ×3, first 2 shown]
	v_cndmask_b32_e64 v8, v8, v6, s0
	v_cndmask_b32_e64 v6, v11, v4, s1
	v_add_co_u32 v4, s3, s10, v18
	v_cndmask_b32_e64 v9, v9, v7, s0
	v_cndmask_b32_e64 v7, v12, v5, s1
	v_add_co_ci_u32_e64 v5, null, s11, v19, s3
	v_add_co_u32 v4, s3, v4, v30
	v_cndmask_b32_e64 v3, v23, v3, s2
	v_cndmask_b32_e64 v2, v10, v2, s2
	v_add_co_ci_u32_e64 v5, null, 0, v5, s3
	s_and_saveexec_b32 s3, vcc_lo
	s_xor_b32 s3, exec_lo, s3
	s_cbranch_execnz .LBB187_121
; %bb.117:
	s_or_b32 exec_lo, exec_lo, s3
	s_and_saveexec_b32 s3, s0
	s_cbranch_execnz .LBB187_122
.LBB187_118:
	s_or_b32 exec_lo, exec_lo, s3
	s_and_saveexec_b32 s0, s1
	s_cbranch_execnz .LBB187_123
.LBB187_119:
	s_or_b32 exec_lo, exec_lo, s0
	s_and_saveexec_b32 s0, s2
	s_cbranch_execnz .LBB187_124
.LBB187_120:
	s_endpgm
.LBB187_121:
	global_store_dwordx2 v[4:5], v[0:1], off
	s_or_b32 exec_lo, exec_lo, s3
	s_and_saveexec_b32 s3, s0
	s_cbranch_execz .LBB187_118
.LBB187_122:
	global_store_dwordx2 v[4:5], v[8:9], off offset:8
	s_or_b32 exec_lo, exec_lo, s3
	s_and_saveexec_b32 s0, s1
	s_cbranch_execz .LBB187_119
.LBB187_123:
	global_store_dwordx2 v[4:5], v[6:7], off offset:16
	s_or_b32 exec_lo, exec_lo, s0
	s_and_saveexec_b32 s0, s2
	s_cbranch_execz .LBB187_120
.LBB187_124:
	global_store_dwordx2 v[4:5], v[2:3], off offset:24
	s_endpgm
	.section	.rodata,"a",@progbits
	.p2align	6, 0x0
	.amdhsa_kernel _Z20sort_pairs_segmentedILj256ELj64ELj4ExN10test_utils4lessEEvPKT2_PS2_PKjT3_
		.amdhsa_group_segment_fixed_size 8224
		.amdhsa_private_segment_fixed_size 0
		.amdhsa_kernarg_size 28
		.amdhsa_user_sgpr_count 6
		.amdhsa_user_sgpr_private_segment_buffer 1
		.amdhsa_user_sgpr_dispatch_ptr 0
		.amdhsa_user_sgpr_queue_ptr 0
		.amdhsa_user_sgpr_kernarg_segment_ptr 1
		.amdhsa_user_sgpr_dispatch_id 0
		.amdhsa_user_sgpr_flat_scratch_init 0
		.amdhsa_user_sgpr_private_segment_size 0
		.amdhsa_wavefront_size32 1
		.amdhsa_uses_dynamic_stack 0
		.amdhsa_system_sgpr_private_segment_wavefront_offset 0
		.amdhsa_system_sgpr_workgroup_id_x 1
		.amdhsa_system_sgpr_workgroup_id_y 0
		.amdhsa_system_sgpr_workgroup_id_z 0
		.amdhsa_system_sgpr_workgroup_info 0
		.amdhsa_system_vgpr_workitem_id 0
		.amdhsa_next_free_vgpr 44
		.amdhsa_next_free_sgpr 12
		.amdhsa_reserve_vcc 1
		.amdhsa_reserve_flat_scratch 0
		.amdhsa_float_round_mode_32 0
		.amdhsa_float_round_mode_16_64 0
		.amdhsa_float_denorm_mode_32 3
		.amdhsa_float_denorm_mode_16_64 3
		.amdhsa_dx10_clamp 1
		.amdhsa_ieee_mode 1
		.amdhsa_fp16_overflow 0
		.amdhsa_workgroup_processor_mode 1
		.amdhsa_memory_ordered 1
		.amdhsa_forward_progress 1
		.amdhsa_shared_vgpr_count 0
		.amdhsa_exception_fp_ieee_invalid_op 0
		.amdhsa_exception_fp_denorm_src 0
		.amdhsa_exception_fp_ieee_div_zero 0
		.amdhsa_exception_fp_ieee_overflow 0
		.amdhsa_exception_fp_ieee_underflow 0
		.amdhsa_exception_fp_ieee_inexact 0
		.amdhsa_exception_int_div_zero 0
	.end_amdhsa_kernel
	.section	.text._Z20sort_pairs_segmentedILj256ELj64ELj4ExN10test_utils4lessEEvPKT2_PS2_PKjT3_,"axG",@progbits,_Z20sort_pairs_segmentedILj256ELj64ELj4ExN10test_utils4lessEEvPKT2_PS2_PKjT3_,comdat
.Lfunc_end187:
	.size	_Z20sort_pairs_segmentedILj256ELj64ELj4ExN10test_utils4lessEEvPKT2_PS2_PKjT3_, .Lfunc_end187-_Z20sort_pairs_segmentedILj256ELj64ELj4ExN10test_utils4lessEEvPKT2_PS2_PKjT3_
                                        ; -- End function
	.set _Z20sort_pairs_segmentedILj256ELj64ELj4ExN10test_utils4lessEEvPKT2_PS2_PKjT3_.num_vgpr, 44
	.set _Z20sort_pairs_segmentedILj256ELj64ELj4ExN10test_utils4lessEEvPKT2_PS2_PKjT3_.num_agpr, 0
	.set _Z20sort_pairs_segmentedILj256ELj64ELj4ExN10test_utils4lessEEvPKT2_PS2_PKjT3_.numbered_sgpr, 12
	.set _Z20sort_pairs_segmentedILj256ELj64ELj4ExN10test_utils4lessEEvPKT2_PS2_PKjT3_.num_named_barrier, 0
	.set _Z20sort_pairs_segmentedILj256ELj64ELj4ExN10test_utils4lessEEvPKT2_PS2_PKjT3_.private_seg_size, 0
	.set _Z20sort_pairs_segmentedILj256ELj64ELj4ExN10test_utils4lessEEvPKT2_PS2_PKjT3_.uses_vcc, 1
	.set _Z20sort_pairs_segmentedILj256ELj64ELj4ExN10test_utils4lessEEvPKT2_PS2_PKjT3_.uses_flat_scratch, 0
	.set _Z20sort_pairs_segmentedILj256ELj64ELj4ExN10test_utils4lessEEvPKT2_PS2_PKjT3_.has_dyn_sized_stack, 0
	.set _Z20sort_pairs_segmentedILj256ELj64ELj4ExN10test_utils4lessEEvPKT2_PS2_PKjT3_.has_recursion, 0
	.set _Z20sort_pairs_segmentedILj256ELj64ELj4ExN10test_utils4lessEEvPKT2_PS2_PKjT3_.has_indirect_call, 0
	.section	.AMDGPU.csdata,"",@progbits
; Kernel info:
; codeLenInByte = 6816
; TotalNumSgprs: 14
; NumVgprs: 44
; ScratchSize: 0
; MemoryBound: 1
; FloatMode: 240
; IeeeMode: 1
; LDSByteSize: 8224 bytes/workgroup (compile time only)
; SGPRBlocks: 0
; VGPRBlocks: 5
; NumSGPRsForWavesPerEU: 14
; NumVGPRsForWavesPerEU: 44
; Occupancy: 16
; WaveLimiterHint : 0
; COMPUTE_PGM_RSRC2:SCRATCH_EN: 0
; COMPUTE_PGM_RSRC2:USER_SGPR: 6
; COMPUTE_PGM_RSRC2:TRAP_HANDLER: 0
; COMPUTE_PGM_RSRC2:TGID_X_EN: 1
; COMPUTE_PGM_RSRC2:TGID_Y_EN: 0
; COMPUTE_PGM_RSRC2:TGID_Z_EN: 0
; COMPUTE_PGM_RSRC2:TIDIG_COMP_CNT: 0
	.section	.text._Z9sort_keysILj256ELj64ELj8ExN10test_utils4lessEEvPKT2_PS2_T3_,"axG",@progbits,_Z9sort_keysILj256ELj64ELj8ExN10test_utils4lessEEvPKT2_PS2_T3_,comdat
	.protected	_Z9sort_keysILj256ELj64ELj8ExN10test_utils4lessEEvPKT2_PS2_T3_ ; -- Begin function _Z9sort_keysILj256ELj64ELj8ExN10test_utils4lessEEvPKT2_PS2_T3_
	.globl	_Z9sort_keysILj256ELj64ELj8ExN10test_utils4lessEEvPKT2_PS2_T3_
	.p2align	8
	.type	_Z9sort_keysILj256ELj64ELj8ExN10test_utils4lessEEvPKT2_PS2_T3_,@function
_Z9sort_keysILj256ELj64ELj8ExN10test_utils4lessEEvPKT2_PS2_T3_: ; @_Z9sort_keysILj256ELj64ELj8ExN10test_utils4lessEEvPKT2_PS2_T3_
; %bb.0:
	s_load_dwordx4 s[8:11], s[4:5], 0x0
	s_mov_b32 s7, 0
	s_lshl_b32 s6, s6, 11
	v_lshlrev_b32_e32 v1, 6, v0
	s_lshl_b64 s[12:13], s[6:7], 3
	v_lshlrev_b32_e32 v32, 3, v0
	v_lshrrev_b32_e32 v2, 6, v0
	v_mul_u32_u24_e32 v33, 0x1008, v2
	s_waitcnt lgkmcnt(0)
	s_add_u32 s0, s8, s12
	s_addc_u32 s1, s9, s13
	s_clause 0x3
	global_load_dwordx4 v[6:9], v1, s[0:1]
	global_load_dwordx4 v[10:13], v1, s[0:1] offset:16
	global_load_dwordx4 v[14:17], v1, s[0:1] offset:32
	;; [unrolled: 1-line block ×3, first 2 shown]
	v_mbcnt_lo_u32_b32 v1, -1, 0
	; wave barrier
	v_lshlrev_b32_e32 v35, 3, v1
	v_lshlrev_b32_e32 v1, 6, v1
	v_and_b32_e32 v4, 0xf0, v35
	v_and_b32_e32 v0, 8, v35
	v_mad_u32_u24 v34, 0x1008, v2, v1
	v_or_b32_e32 v37, 8, v4
	v_add_nc_u32_e32 v36, 16, v4
	v_lshlrev_b32_e32 v3, 3, v4
	v_sub_nc_u32_e32 v22, v37, v4
	v_sub_nc_u32_e32 v5, v36, v37
	v_mad_u32_u24 v1, 0x1008, v2, v3
	v_min_i32_e32 v2, v0, v22
	v_sub_nc_u32_e32 v3, v0, v5
	v_cmp_ge_i32_e32 vcc_lo, v0, v5
	v_cndmask_b32_e32 v5, 0, v3, vcc_lo
	s_waitcnt vmcnt(3)
	v_cmp_gt_i64_e32 vcc_lo, v[8:9], v[6:7]
	v_cmp_lt_i64_e64 s0, v[8:9], v[6:7]
	s_waitcnt vmcnt(2)
	v_cmp_gt_i64_e64 s1, v[12:13], v[10:11]
	v_cmp_lt_i64_e64 s2, v[12:13], v[10:11]
	s_waitcnt vmcnt(1)
	v_cmp_lt_i64_e64 s3, v[16:17], v[14:15]
	v_cmp_gt_i64_e64 s4, v[16:17], v[14:15]
	s_waitcnt vmcnt(0)
	v_cmp_lt_i64_e64 s5, v[20:21], v[18:19]
	v_cmp_gt_i64_e64 s6, v[20:21], v[18:19]
	v_cndmask_b32_e32 v22, v7, v9, vcc_lo
	v_cndmask_b32_e64 v7, v7, v9, s0
	v_cndmask_b32_e64 v9, v11, v13, s1
	;; [unrolled: 1-line block ×7, first 2 shown]
	v_cndmask_b32_e32 v21, v6, v8, vcc_lo
	v_cndmask_b32_e64 v6, v6, v8, s0
	v_cndmask_b32_e64 v8, v10, v12, s1
	;; [unrolled: 1-line block ×7, first 2 shown]
	v_cmp_gt_i64_e32 vcc_lo, v[10:11], v[21:22]
	v_cmp_lt_i64_e64 s1, v[12:13], v[8:9]
	v_cmp_gt_i64_e64 s2, v[12:13], v[8:9]
	v_cmp_lt_i64_e64 s3, v[16:17], v[14:15]
	v_cmp_lt_i64_e64 s0, v[10:11], v[21:22]
	v_cmp_gt_i64_e64 s4, v[16:17], v[14:15]
	v_cndmask_b32_e32 v24, v22, v11, vcc_lo
	v_cndmask_b32_e64 v26, v9, v13, s1
	v_cndmask_b32_e64 v9, v9, v13, s2
	;; [unrolled: 1-line block ×3, first 2 shown]
	v_cndmask_b32_e32 v23, v21, v10, vcc_lo
	v_cndmask_b32_e64 v25, v8, v12, s1
	v_cndmask_b32_e64 v8, v8, v12, s2
	v_cndmask_b32_e64 v12, v14, v16, s3
	v_cndmask_b32_e64 v3, v21, v10, s0
	v_cndmask_b32_e64 v28, v14, v16, s4
	v_cndmask_b32_e64 v21, v22, v11, s0
	v_cndmask_b32_e64 v17, v15, v17, s4
	v_cmp_gt_i64_e32 vcc_lo, v[14:15], v[18:19]
	v_cmp_lt_i64_e64 s0, v[10:11], v[6:7]
	v_cmp_gt_i64_e64 s1, v[25:26], v[23:24]
	v_cmp_lt_i64_e64 s2, v[25:26], v[23:24]
	v_cmp_lt_i64_e64 s3, v[12:13], v[8:9]
	v_cmp_gt_i64_e64 s4, v[12:13], v[8:9]
	v_cndmask_b32_e32 v27, v17, v19, vcc_lo
	v_cndmask_b32_e64 v10, v21, v7, s0
	v_cndmask_b32_e64 v14, v24, v26, s1
	;; [unrolled: 1-line block ×7, first 2 shown]
	v_cndmask_b32_e32 v26, v28, v18, vcc_lo
	v_cndmask_b32_e32 v29, v19, v17, vcc_lo
	v_cndmask_b32_e64 v15, v23, v25, s2
	v_cndmask_b32_e64 v13, v23, v25, s1
	;; [unrolled: 1-line block ×5, first 2 shown]
	v_cndmask_b32_e32 v28, v18, v28, vcc_lo
	v_cmp_gt_i64_e32 vcc_lo, v[15:16], v[9:10]
	v_cmp_lt_i64_e64 s0, v[15:16], v[9:10]
	v_cmp_lt_i64_e64 s1, v[19:20], v[13:14]
	v_cmp_gt_i64_e64 s2, v[19:20], v[13:14]
	v_cmp_lt_i64_e64 s3, v[26:27], v[21:22]
	v_cmp_gt_i64_e64 s4, v[26:27], v[21:22]
	v_cndmask_b32_e32 v11, v10, v16, vcc_lo
	v_cndmask_b32_e64 v16, v10, v16, s0
	v_cndmask_b32_e64 v18, v14, v20, s1
	;; [unrolled: 1-line block ×5, first 2 shown]
	v_cndmask_b32_e32 v10, v9, v15, vcc_lo
	v_cndmask_b32_e64 v15, v9, v15, s0
	v_cndmask_b32_e64 v17, v13, v19, s1
	v_cndmask_b32_e64 v13, v13, v19, s2
	v_cndmask_b32_e64 v19, v21, v26, s3
	v_cndmask_b32_e64 v21, v21, v26, s4
	v_cmp_gt_i64_e32 vcc_lo, v[15:16], v[6:7]
	v_cmp_lt_i64_e64 s0, v[15:16], v[6:7]
	v_cmp_gt_i64_e64 s1, v[17:18], v[10:11]
	v_cmp_lt_i64_e64 s2, v[17:18], v[10:11]
	v_cmp_lt_i64_e64 s3, v[19:20], v[13:14]
	v_cmp_gt_i64_e64 s4, v[19:20], v[13:14]
	v_cmp_lt_i64_e64 s5, v[28:29], v[21:22]
	v_cmp_gt_i64_e64 s6, v[28:29], v[21:22]
	v_cndmask_b32_e32 v8, v7, v16, vcc_lo
	v_cndmask_b32_e64 v12, v7, v16, s0
	v_cndmask_b32_e64 v16, v11, v18, s1
	;; [unrolled: 1-line block ×7, first 2 shown]
	v_cndmask_b32_e32 v7, v6, v15, vcc_lo
	v_cndmask_b32_e64 v11, v6, v15, s0
	v_cndmask_b32_e64 v15, v10, v17, s1
	v_cndmask_b32_e64 v17, v10, v17, s2
	v_cndmask_b32_e64 v22, v13, v19, s3
	v_cndmask_b32_e64 v13, v13, v19, s4
	v_cndmask_b32_e64 v19, v21, v28, s5
	v_cndmask_b32_e64 v24, v21, v28, s6
	v_cmp_gt_i64_e32 vcc_lo, v[17:18], v[7:8]
	v_cmp_lt_i64_e64 s0, v[17:18], v[7:8]
	v_cmp_lt_i64_e64 s1, v[22:23], v[15:16]
	v_cmp_gt_i64_e64 s2, v[22:23], v[15:16]
	v_cmp_lt_i64_e64 s3, v[19:20], v[13:14]
	v_cmp_gt_i64_e64 s4, v[19:20], v[13:14]
	v_cndmask_b32_e32 v9, v8, v18, vcc_lo
	v_cndmask_b32_e64 v27, v8, v18, s0
	v_cndmask_b32_e64 v29, v16, v23, s1
	;; [unrolled: 1-line block ×4, first 2 shown]
	v_cndmask_b32_e32 v8, v7, v17, vcc_lo
	v_cndmask_b32_e64 v26, v7, v17, s0
	v_cndmask_b32_e64 v28, v15, v22, s1
	;; [unrolled: 1-line block ×6, first 2 shown]
	v_cmp_lt_i64_e64 s0, v[17:18], v[11:12]
	v_cmp_lt_i64_e64 s1, v[26:27], v[11:12]
	v_cmp_gt_i64_e64 s2, v[26:27], v[11:12]
	v_cmp_gt_i64_e64 s3, v[28:29], v[8:9]
	v_cmp_lt_i64_e64 s4, v[28:29], v[8:9]
	v_cmp_lt_i64_e64 s5, v[22:23], v[15:16]
	v_cmp_gt_i64_e64 s6, v[22:23], v[15:16]
	v_cmp_gt_i64_e32 vcc_lo, v[13:14], v[24:25]
	v_cndmask_b32_e64 v7, v12, v27, s1
	v_cndmask_b32_e64 v10, v12, v27, s2
	;; [unrolled: 1-line block ×11, first 2 shown]
	v_cndmask_b32_e32 v30, v6, v25, vcc_lo
	v_cndmask_b32_e32 v29, v3, v24, vcc_lo
	v_cndmask_b32_e64 v20, v15, v22, s6
	v_cndmask_b32_e64 v31, v26, v11, s0
	v_cndmask_b32_e32 v25, v25, v6, vcc_lo
	v_cndmask_b32_e32 v24, v24, v3, vcc_lo
	v_cndmask_b32_e64 v6, v11, v26, s1
	v_cmp_gt_i64_e32 vcc_lo, v[16:17], v[9:10]
	v_cmp_lt_i64_e64 s0, v[16:17], v[9:10]
	v_cmp_lt_i64_e64 s1, v[18:19], v[12:13]
	v_cmp_gt_i64_e64 s2, v[18:19], v[12:13]
	v_cmp_lt_i64_e64 s3, v[29:30], v[20:21]
	v_cmp_gt_i64_e64 s4, v[29:30], v[20:21]
	v_cndmask_b32_e32 v11, v10, v17, vcc_lo
	v_cndmask_b32_e64 v14, v14, v17, s0
	v_cndmask_b32_e64 v17, v13, v19, s1
	;; [unrolled: 1-line block ×4, first 2 shown]
	v_cndmask_b32_e32 v10, v9, v16, vcc_lo
	v_cndmask_b32_e64 v16, v12, v18, s1
	v_cndmask_b32_e64 v22, v21, v30, s3
	;; [unrolled: 1-line block ×6, first 2 shown]
	s_mov_b32 s0, exec_lo
	ds_write2_b64 v34, v[6:7], v[13:14] offset1:1
	ds_write2_b64 v34, v[10:11], v[16:17] offset0:2 offset1:3
	ds_write2_b64 v34, v[18:19], v[21:22] offset0:4 offset1:5
	;; [unrolled: 1-line block ×3, first 2 shown]
	; wave barrier
	v_cmpx_lt_i32_e64 v5, v2
	s_cbranch_execz .LBB188_4
; %bb.1:
	v_lshlrev_b32_e32 v3, 3, v37
	v_lshlrev_b32_e32 v6, 3, v0
	v_add3_u32 v3, v33, v3, v6
	.p2align	6
.LBB188_2:                              ; =>This Inner Loop Header: Depth=1
	v_sub_nc_u32_e32 v6, v2, v5
	v_lshrrev_b32_e32 v6, 1, v6
	v_add_nc_u32_e32 v10, v6, v5
	v_not_b32_e32 v6, v10
	v_lshl_add_u32 v7, v10, 3, v1
	v_lshl_add_u32 v8, v6, 3, v3
	ds_read_b64 v[6:7], v7
	ds_read_b64 v[8:9], v8
	s_waitcnt lgkmcnt(0)
	v_cmp_lt_i64_e32 vcc_lo, v[8:9], v[6:7]
	v_add_nc_u32_e32 v6, 1, v10
	v_cndmask_b32_e32 v2, v2, v10, vcc_lo
	v_cndmask_b32_e32 v5, v6, v5, vcc_lo
	v_cmp_ge_i32_e32 vcc_lo, v5, v2
	s_or_b32 s7, vcc_lo, s7
	s_andn2_b32 exec_lo, exec_lo, s7
	s_cbranch_execnz .LBB188_2
; %bb.3:
	s_or_b32 exec_lo, exec_lo, s7
.LBB188_4:
	s_or_b32 exec_lo, exec_lo, s0
	v_add_nc_u32_e32 v0, v37, v0
	v_lshl_add_u32 v6, v5, 3, v1
	v_add_nc_u32_e32 v9, v5, v4
	v_sub_nc_u32_e32 v8, v0, v5
                                        ; implicit-def: $vgpr4_vgpr5
	v_cmp_le_i32_e64 s0, v37, v9
	v_lshl_add_u32 v10, v8, 3, v33
	v_cmp_gt_i32_e64 s1, v36, v8
	ds_read_b64 v[0:1], v6
	ds_read_b64 v[2:3], v10
	s_waitcnt lgkmcnt(0)
	v_cmp_lt_i64_e32 vcc_lo, v[2:3], v[0:1]
	s_or_b32 s0, s0, vcc_lo
	s_and_b32 vcc_lo, s1, s0
	s_xor_b32 s0, vcc_lo, -1
	s_and_saveexec_b32 s1, s0
	s_xor_b32 s0, exec_lo, s1
; %bb.5:
	ds_read_b64 v[4:5], v6 offset:8
                                        ; implicit-def: $vgpr10
; %bb.6:
	s_or_saveexec_b32 s0, s0
	v_mov_b32_e32 v7, v3
	v_mov_b32_e32 v6, v2
	s_xor_b32 exec_lo, exec_lo, s0
	s_cbranch_execz .LBB188_8
; %bb.7:
	ds_read_b64 v[6:7], v10 offset:8
	s_waitcnt lgkmcnt(1)
	v_mov_b32_e32 v5, v1
	v_mov_b32_e32 v4, v0
.LBB188_8:
	s_or_b32 exec_lo, exec_lo, s0
	v_add_nc_u32_e32 v10, 1, v9
	v_add_nc_u32_e32 v11, 1, v8
	s_waitcnt lgkmcnt(0)
	v_cmp_lt_i64_e64 s0, v[6:7], v[4:5]
	v_cndmask_b32_e32 v13, v10, v9, vcc_lo
	v_cndmask_b32_e32 v12, v8, v11, vcc_lo
                                        ; implicit-def: $vgpr8_vgpr9
	v_cmp_ge_i32_e64 s1, v13, v37
	v_cmp_lt_i32_e64 s2, v12, v36
	s_or_b32 s0, s1, s0
	s_and_b32 s0, s2, s0
	s_xor_b32 s1, s0, -1
	s_and_saveexec_b32 s2, s1
	s_xor_b32 s1, exec_lo, s2
; %bb.9:
	v_lshl_add_u32 v8, v13, 3, v33
	ds_read_b64 v[8:9], v8 offset:8
; %bb.10:
	s_or_saveexec_b32 s1, s1
	v_mov_b32_e32 v11, v7
	v_mov_b32_e32 v10, v6
	s_xor_b32 exec_lo, exec_lo, s1
	s_cbranch_execz .LBB188_12
; %bb.11:
	s_waitcnt lgkmcnt(0)
	v_lshl_add_u32 v8, v12, 3, v33
	ds_read_b64 v[10:11], v8 offset:8
	v_mov_b32_e32 v9, v5
	v_mov_b32_e32 v8, v4
.LBB188_12:
	s_or_b32 exec_lo, exec_lo, s1
	v_add_nc_u32_e32 v14, 1, v13
	v_add_nc_u32_e32 v15, 1, v12
	s_waitcnt lgkmcnt(0)
	v_cmp_lt_i64_e64 s1, v[10:11], v[8:9]
	v_cndmask_b32_e64 v17, v14, v13, s0
	v_cndmask_b32_e64 v16, v12, v15, s0
                                        ; implicit-def: $vgpr12_vgpr13
	v_cmp_ge_i32_e64 s2, v17, v37
	v_cmp_lt_i32_e64 s3, v16, v36
	s_or_b32 s1, s2, s1
	s_and_b32 s1, s3, s1
	s_xor_b32 s2, s1, -1
	s_and_saveexec_b32 s3, s2
	s_xor_b32 s2, exec_lo, s3
; %bb.13:
	v_lshl_add_u32 v12, v17, 3, v33
	ds_read_b64 v[12:13], v12 offset:8
; %bb.14:
	s_or_saveexec_b32 s2, s2
	v_mov_b32_e32 v15, v11
	v_mov_b32_e32 v14, v10
	s_xor_b32 exec_lo, exec_lo, s2
	s_cbranch_execz .LBB188_16
; %bb.15:
	s_waitcnt lgkmcnt(0)
	v_lshl_add_u32 v12, v16, 3, v33
	ds_read_b64 v[14:15], v12 offset:8
	v_mov_b32_e32 v13, v9
	v_mov_b32_e32 v12, v8
.LBB188_16:
	s_or_b32 exec_lo, exec_lo, s2
	v_add_nc_u32_e32 v18, 1, v17
	v_add_nc_u32_e32 v19, 1, v16
	s_waitcnt lgkmcnt(0)
	v_cmp_lt_i64_e64 s2, v[14:15], v[12:13]
	v_cndmask_b32_e64 v21, v18, v17, s1
	v_cndmask_b32_e64 v20, v16, v19, s1
                                        ; implicit-def: $vgpr16_vgpr17
	v_cmp_ge_i32_e64 s3, v21, v37
	v_cmp_lt_i32_e64 s4, v20, v36
	s_or_b32 s2, s3, s2
	s_and_b32 s2, s4, s2
	s_xor_b32 s3, s2, -1
	s_and_saveexec_b32 s4, s3
	s_xor_b32 s3, exec_lo, s4
; %bb.17:
	v_lshl_add_u32 v16, v21, 3, v33
	ds_read_b64 v[16:17], v16 offset:8
; %bb.18:
	s_or_saveexec_b32 s3, s3
	v_mov_b32_e32 v19, v15
	v_mov_b32_e32 v18, v14
	s_xor_b32 exec_lo, exec_lo, s3
	s_cbranch_execz .LBB188_20
; %bb.19:
	s_waitcnt lgkmcnt(0)
	v_lshl_add_u32 v16, v20, 3, v33
	ds_read_b64 v[18:19], v16 offset:8
	v_mov_b32_e32 v17, v13
	v_mov_b32_e32 v16, v12
.LBB188_20:
	s_or_b32 exec_lo, exec_lo, s3
	v_add_nc_u32_e32 v22, 1, v21
	v_add_nc_u32_e32 v23, 1, v20
	s_waitcnt lgkmcnt(0)
	v_cmp_lt_i64_e64 s3, v[18:19], v[16:17]
	v_cndmask_b32_e64 v25, v22, v21, s2
	v_cndmask_b32_e64 v24, v20, v23, s2
                                        ; implicit-def: $vgpr20_vgpr21
	v_cmp_ge_i32_e64 s4, v25, v37
	v_cmp_lt_i32_e64 s5, v24, v36
	s_or_b32 s3, s4, s3
	s_and_b32 s3, s5, s3
	s_xor_b32 s4, s3, -1
	s_and_saveexec_b32 s5, s4
	s_xor_b32 s4, exec_lo, s5
; %bb.21:
	v_lshl_add_u32 v20, v25, 3, v33
	ds_read_b64 v[20:21], v20 offset:8
; %bb.22:
	s_or_saveexec_b32 s4, s4
	v_mov_b32_e32 v23, v19
	v_mov_b32_e32 v22, v18
	s_xor_b32 exec_lo, exec_lo, s4
	s_cbranch_execz .LBB188_24
; %bb.23:
	s_waitcnt lgkmcnt(0)
	v_lshl_add_u32 v20, v24, 3, v33
	ds_read_b64 v[22:23], v20 offset:8
	v_mov_b32_e32 v21, v17
	v_mov_b32_e32 v20, v16
.LBB188_24:
	s_or_b32 exec_lo, exec_lo, s4
	v_add_nc_u32_e32 v26, 1, v25
	v_add_nc_u32_e32 v27, 1, v24
	s_waitcnt lgkmcnt(0)
	v_cmp_lt_i64_e64 s4, v[22:23], v[20:21]
                                        ; implicit-def: $vgpr28_vgpr29
	v_cndmask_b32_e64 v25, v26, v25, s3
	v_cndmask_b32_e64 v24, v24, v27, s3
	v_cmp_ge_i32_e64 s5, v25, v37
	v_cmp_lt_i32_e64 s6, v24, v36
	s_or_b32 s4, s5, s4
	s_and_b32 s4, s6, s4
	s_xor_b32 s5, s4, -1
	s_and_saveexec_b32 s6, s5
	s_xor_b32 s5, exec_lo, s6
; %bb.25:
	v_lshl_add_u32 v26, v25, 3, v33
	ds_read_b64 v[28:29], v26 offset:8
; %bb.26:
	s_or_saveexec_b32 s5, s5
	v_mov_b32_e32 v31, v23
	v_mov_b32_e32 v30, v22
	s_xor_b32 exec_lo, exec_lo, s5
	s_cbranch_execz .LBB188_28
; %bb.27:
	v_lshl_add_u32 v26, v24, 3, v33
	s_waitcnt lgkmcnt(0)
	v_mov_b32_e32 v29, v21
	v_mov_b32_e32 v28, v20
	ds_read_b64 v[30:31], v26 offset:8
.LBB188_28:
	s_or_b32 exec_lo, exec_lo, s5
	v_add_nc_u32_e32 v26, 1, v25
	v_add_nc_u32_e32 v27, 1, v24
	s_waitcnt lgkmcnt(0)
	v_cmp_lt_i64_e64 s5, v[30:31], v[28:29]
	v_cndmask_b32_e64 v38, v26, v25, s4
	v_cndmask_b32_e64 v39, v24, v27, s4
                                        ; implicit-def: $vgpr24_vgpr25
	v_cmp_ge_i32_e64 s6, v38, v37
	v_cmp_lt_i32_e64 s7, v39, v36
	s_or_b32 s5, s6, s5
	s_and_b32 s5, s7, s5
	s_xor_b32 s6, s5, -1
	s_and_saveexec_b32 s7, s6
	s_xor_b32 s6, exec_lo, s7
; %bb.29:
	v_lshl_add_u32 v24, v38, 3, v33
	ds_read_b64 v[24:25], v24 offset:8
; %bb.30:
	s_or_saveexec_b32 s6, s6
	v_mov_b32_e32 v26, v30
	v_mov_b32_e32 v27, v31
	s_xor_b32 exec_lo, exec_lo, s6
	s_cbranch_execz .LBB188_32
; %bb.31:
	s_waitcnt lgkmcnt(0)
	v_lshl_add_u32 v24, v39, 3, v33
	ds_read_b64 v[26:27], v24 offset:8
	v_mov_b32_e32 v24, v28
	v_mov_b32_e32 v25, v29
.LBB188_32:
	s_or_b32 exec_lo, exec_lo, s6
	v_add_nc_u32_e32 v41, 1, v38
	v_add_nc_u32_e32 v40, 1, v39
	v_cndmask_b32_e64 v29, v29, v31, s5
	v_cndmask_b32_e64 v10, v8, v10, s1
	v_and_b32_e32 v8, 0xe0, v35
	v_cndmask_b32_e64 v31, v41, v38, s5
	v_cndmask_b32_e64 v28, v28, v30, s5
	;; [unrolled: 1-line block ×6, first 2 shown]
	s_waitcnt lgkmcnt(0)
	v_cmp_lt_i64_e64 s0, v[26:27], v[24:25]
	v_cmp_ge_i32_e64 s1, v31, v37
	v_or_b32_e32 v38, 16, v8
	v_add_nc_u32_e32 v37, 32, v8
	v_cndmask_b32_e64 v13, v13, v15, s2
	v_cndmask_b32_e64 v12, v12, v14, s2
	v_cmp_lt_i32_e64 s2, v30, v36
	v_cndmask_b32_e32 v15, v1, v3, vcc_lo
	v_and_b32_e32 v1, 24, v35
	v_sub_nc_u32_e32 v3, v37, v38
	s_or_b32 s0, s1, s0
	v_cndmask_b32_e32 v14, v0, v2, vcc_lo
	s_and_b32 vcc_lo, s2, s0
	v_cndmask_b32_e64 v17, v17, v19, s3
	v_cndmask_b32_e64 v16, v16, v18, s3
	v_cndmask_b32_e32 v19, v25, v27, vcc_lo
	v_cndmask_b32_e32 v18, v24, v26, vcc_lo
	v_sub_nc_u32_e32 v0, v1, v3
	v_sub_nc_u32_e32 v2, v38, v8
	v_cmp_ge_i32_e32 vcc_lo, v1, v3
	v_cndmask_b32_e64 v21, v21, v23, s4
	v_cndmask_b32_e64 v20, v20, v22, s4
	s_mov_b32 s1, 0
	v_min_i32_e32 v2, v1, v2
	v_cndmask_b32_e32 v4, 0, v0, vcc_lo
	v_lshl_add_u32 v0, v8, 3, v33
	s_mov_b32 s0, exec_lo
	; wave barrier
	ds_write2_b64 v34, v[14:15], v[6:7] offset1:1
	ds_write2_b64 v34, v[10:11], v[12:13] offset0:2 offset1:3
	ds_write2_b64 v34, v[16:17], v[20:21] offset0:4 offset1:5
	;; [unrolled: 1-line block ×3, first 2 shown]
	; wave barrier
	v_cmpx_lt_i32_e64 v4, v2
	s_cbranch_execz .LBB188_36
; %bb.33:
	v_lshlrev_b32_e32 v3, 3, v38
	v_lshlrev_b32_e32 v5, 3, v1
	v_add3_u32 v3, v33, v3, v5
	.p2align	6
.LBB188_34:                             ; =>This Inner Loop Header: Depth=1
	v_sub_nc_u32_e32 v5, v2, v4
	v_lshrrev_b32_e32 v5, 1, v5
	v_add_nc_u32_e32 v7, v5, v4
	v_not_b32_e32 v5, v7
	v_lshl_add_u32 v6, v7, 3, v0
	v_lshl_add_u32 v9, v5, 3, v3
	ds_read_b64 v[5:6], v6
	ds_read_b64 v[9:10], v9
	s_waitcnt lgkmcnt(0)
	v_cmp_lt_i64_e32 vcc_lo, v[9:10], v[5:6]
	v_add_nc_u32_e32 v5, 1, v7
	v_cndmask_b32_e32 v2, v2, v7, vcc_lo
	v_cndmask_b32_e32 v4, v5, v4, vcc_lo
	v_cmp_ge_i32_e32 vcc_lo, v4, v2
	s_or_b32 s1, vcc_lo, s1
	s_andn2_b32 exec_lo, exec_lo, s1
	s_cbranch_execnz .LBB188_34
; %bb.35:
	s_or_b32 exec_lo, exec_lo, s1
.LBB188_36:
	s_or_b32 exec_lo, exec_lo, s0
	v_add_nc_u32_e32 v1, v38, v1
	v_lshl_add_u32 v6, v4, 3, v0
	v_add_nc_u32_e32 v8, v4, v8
	v_sub_nc_u32_e32 v9, v1, v4
                                        ; implicit-def: $vgpr4_vgpr5
	v_cmp_le_i32_e64 s0, v38, v8
	v_lshl_add_u32 v10, v9, 3, v33
	v_cmp_gt_i32_e64 s1, v37, v9
	ds_read_b64 v[0:1], v6
	ds_read_b64 v[2:3], v10
	s_waitcnt lgkmcnt(0)
	v_cmp_lt_i64_e32 vcc_lo, v[2:3], v[0:1]
	s_or_b32 s0, s0, vcc_lo
	s_and_b32 vcc_lo, s1, s0
	s_xor_b32 s0, vcc_lo, -1
	s_and_saveexec_b32 s1, s0
	s_xor_b32 s0, exec_lo, s1
; %bb.37:
	ds_read_b64 v[4:5], v6 offset:8
                                        ; implicit-def: $vgpr10
; %bb.38:
	s_or_saveexec_b32 s0, s0
	v_mov_b32_e32 v7, v3
	v_mov_b32_e32 v6, v2
	s_xor_b32 exec_lo, exec_lo, s0
	s_cbranch_execz .LBB188_40
; %bb.39:
	ds_read_b64 v[6:7], v10 offset:8
	s_waitcnt lgkmcnt(1)
	v_mov_b32_e32 v5, v1
	v_mov_b32_e32 v4, v0
.LBB188_40:
	s_or_b32 exec_lo, exec_lo, s0
	v_add_nc_u32_e32 v10, 1, v8
	v_add_nc_u32_e32 v11, 1, v9
	s_waitcnt lgkmcnt(0)
	v_cmp_lt_i64_e64 s0, v[6:7], v[4:5]
	v_cndmask_b32_e32 v13, v10, v8, vcc_lo
	v_cndmask_b32_e32 v12, v9, v11, vcc_lo
                                        ; implicit-def: $vgpr8_vgpr9
	v_cmp_ge_i32_e64 s1, v13, v38
	v_cmp_lt_i32_e64 s2, v12, v37
	s_or_b32 s0, s1, s0
	s_and_b32 s0, s2, s0
	s_xor_b32 s1, s0, -1
	s_and_saveexec_b32 s2, s1
	s_xor_b32 s1, exec_lo, s2
; %bb.41:
	v_lshl_add_u32 v8, v13, 3, v33
	ds_read_b64 v[8:9], v8 offset:8
; %bb.42:
	s_or_saveexec_b32 s1, s1
	v_mov_b32_e32 v11, v7
	v_mov_b32_e32 v10, v6
	s_xor_b32 exec_lo, exec_lo, s1
	s_cbranch_execz .LBB188_44
; %bb.43:
	s_waitcnt lgkmcnt(0)
	v_lshl_add_u32 v8, v12, 3, v33
	ds_read_b64 v[10:11], v8 offset:8
	v_mov_b32_e32 v9, v5
	v_mov_b32_e32 v8, v4
.LBB188_44:
	s_or_b32 exec_lo, exec_lo, s1
	v_add_nc_u32_e32 v14, 1, v13
	v_add_nc_u32_e32 v15, 1, v12
	s_waitcnt lgkmcnt(0)
	v_cmp_lt_i64_e64 s1, v[10:11], v[8:9]
	v_cndmask_b32_e64 v17, v14, v13, s0
	v_cndmask_b32_e64 v16, v12, v15, s0
                                        ; implicit-def: $vgpr12_vgpr13
	v_cmp_ge_i32_e64 s2, v17, v38
	v_cmp_lt_i32_e64 s3, v16, v37
	s_or_b32 s1, s2, s1
	s_and_b32 s1, s3, s1
	s_xor_b32 s2, s1, -1
	s_and_saveexec_b32 s3, s2
	s_xor_b32 s2, exec_lo, s3
; %bb.45:
	v_lshl_add_u32 v12, v17, 3, v33
	ds_read_b64 v[12:13], v12 offset:8
; %bb.46:
	s_or_saveexec_b32 s2, s2
	v_mov_b32_e32 v15, v11
	v_mov_b32_e32 v14, v10
	s_xor_b32 exec_lo, exec_lo, s2
	s_cbranch_execz .LBB188_48
; %bb.47:
	s_waitcnt lgkmcnt(0)
	v_lshl_add_u32 v12, v16, 3, v33
	ds_read_b64 v[14:15], v12 offset:8
	v_mov_b32_e32 v13, v9
	v_mov_b32_e32 v12, v8
.LBB188_48:
	s_or_b32 exec_lo, exec_lo, s2
	v_add_nc_u32_e32 v18, 1, v17
	v_add_nc_u32_e32 v19, 1, v16
	s_waitcnt lgkmcnt(0)
	v_cmp_lt_i64_e64 s2, v[14:15], v[12:13]
	v_cndmask_b32_e64 v21, v18, v17, s1
	v_cndmask_b32_e64 v20, v16, v19, s1
                                        ; implicit-def: $vgpr16_vgpr17
	v_cmp_ge_i32_e64 s3, v21, v38
	v_cmp_lt_i32_e64 s4, v20, v37
	s_or_b32 s2, s3, s2
	s_and_b32 s2, s4, s2
	s_xor_b32 s3, s2, -1
	s_and_saveexec_b32 s4, s3
	s_xor_b32 s3, exec_lo, s4
; %bb.49:
	v_lshl_add_u32 v16, v21, 3, v33
	ds_read_b64 v[16:17], v16 offset:8
; %bb.50:
	s_or_saveexec_b32 s3, s3
	v_mov_b32_e32 v19, v15
	v_mov_b32_e32 v18, v14
	s_xor_b32 exec_lo, exec_lo, s3
	s_cbranch_execz .LBB188_52
; %bb.51:
	s_waitcnt lgkmcnt(0)
	v_lshl_add_u32 v16, v20, 3, v33
	ds_read_b64 v[18:19], v16 offset:8
	v_mov_b32_e32 v17, v13
	v_mov_b32_e32 v16, v12
.LBB188_52:
	s_or_b32 exec_lo, exec_lo, s3
	v_add_nc_u32_e32 v22, 1, v21
	v_add_nc_u32_e32 v23, 1, v20
	s_waitcnt lgkmcnt(0)
	v_cmp_lt_i64_e64 s3, v[18:19], v[16:17]
	v_cndmask_b32_e64 v25, v22, v21, s2
	v_cndmask_b32_e64 v24, v20, v23, s2
                                        ; implicit-def: $vgpr20_vgpr21
	v_cmp_ge_i32_e64 s4, v25, v38
	v_cmp_lt_i32_e64 s5, v24, v37
	s_or_b32 s3, s4, s3
	s_and_b32 s3, s5, s3
	s_xor_b32 s4, s3, -1
	s_and_saveexec_b32 s5, s4
	s_xor_b32 s4, exec_lo, s5
; %bb.53:
	v_lshl_add_u32 v20, v25, 3, v33
	ds_read_b64 v[20:21], v20 offset:8
; %bb.54:
	s_or_saveexec_b32 s4, s4
	v_mov_b32_e32 v23, v19
	v_mov_b32_e32 v22, v18
	s_xor_b32 exec_lo, exec_lo, s4
	s_cbranch_execz .LBB188_56
; %bb.55:
	s_waitcnt lgkmcnt(0)
	v_lshl_add_u32 v20, v24, 3, v33
	ds_read_b64 v[22:23], v20 offset:8
	v_mov_b32_e32 v21, v17
	v_mov_b32_e32 v20, v16
.LBB188_56:
	s_or_b32 exec_lo, exec_lo, s4
	v_add_nc_u32_e32 v26, 1, v25
	v_add_nc_u32_e32 v27, 1, v24
	s_waitcnt lgkmcnt(0)
	v_cmp_lt_i64_e64 s4, v[22:23], v[20:21]
                                        ; implicit-def: $vgpr28_vgpr29
	v_cndmask_b32_e64 v25, v26, v25, s3
	v_cndmask_b32_e64 v24, v24, v27, s3
	v_cmp_ge_i32_e64 s5, v25, v38
	v_cmp_lt_i32_e64 s6, v24, v37
	s_or_b32 s4, s5, s4
	s_and_b32 s4, s6, s4
	s_xor_b32 s5, s4, -1
	s_and_saveexec_b32 s6, s5
	s_xor_b32 s5, exec_lo, s6
; %bb.57:
	v_lshl_add_u32 v26, v25, 3, v33
	ds_read_b64 v[28:29], v26 offset:8
; %bb.58:
	s_or_saveexec_b32 s5, s5
	v_mov_b32_e32 v31, v23
	v_mov_b32_e32 v30, v22
	s_xor_b32 exec_lo, exec_lo, s5
	s_cbranch_execz .LBB188_60
; %bb.59:
	v_lshl_add_u32 v26, v24, 3, v33
	s_waitcnt lgkmcnt(0)
	v_mov_b32_e32 v29, v21
	v_mov_b32_e32 v28, v20
	ds_read_b64 v[30:31], v26 offset:8
.LBB188_60:
	s_or_b32 exec_lo, exec_lo, s5
	v_add_nc_u32_e32 v26, 1, v25
	v_add_nc_u32_e32 v27, 1, v24
	s_waitcnt lgkmcnt(0)
	v_cmp_lt_i64_e64 s5, v[30:31], v[28:29]
	v_cndmask_b32_e64 v36, v26, v25, s4
	v_cndmask_b32_e64 v39, v24, v27, s4
                                        ; implicit-def: $vgpr24_vgpr25
	v_cmp_ge_i32_e64 s6, v36, v38
	v_cmp_lt_i32_e64 s7, v39, v37
	s_or_b32 s5, s6, s5
	s_and_b32 s5, s7, s5
	s_xor_b32 s6, s5, -1
	s_and_saveexec_b32 s7, s6
	s_xor_b32 s6, exec_lo, s7
; %bb.61:
	v_lshl_add_u32 v24, v36, 3, v33
	ds_read_b64 v[24:25], v24 offset:8
; %bb.62:
	s_or_saveexec_b32 s6, s6
	v_mov_b32_e32 v26, v30
	v_mov_b32_e32 v27, v31
	s_xor_b32 exec_lo, exec_lo, s6
	s_cbranch_execz .LBB188_64
; %bb.63:
	s_waitcnt lgkmcnt(0)
	v_lshl_add_u32 v24, v39, 3, v33
	ds_read_b64 v[26:27], v24 offset:8
	v_mov_b32_e32 v24, v28
	v_mov_b32_e32 v25, v29
.LBB188_64:
	s_or_b32 exec_lo, exec_lo, s6
	v_add_nc_u32_e32 v41, 1, v36
	v_add_nc_u32_e32 v40, 1, v39
	v_cndmask_b32_e64 v29, v29, v31, s5
	v_cndmask_b32_e64 v10, v8, v10, s1
	v_and_b32_e32 v8, 0xc0, v35
	v_cndmask_b32_e64 v31, v41, v36, s5
	v_cndmask_b32_e64 v28, v28, v30, s5
	;; [unrolled: 1-line block ×6, first 2 shown]
	s_waitcnt lgkmcnt(0)
	v_cmp_lt_i64_e64 s0, v[26:27], v[24:25]
	v_cmp_ge_i32_e64 s1, v31, v38
	v_or_b32_e32 v38, 32, v8
	v_add_nc_u32_e32 v36, 64, v8
	v_cndmask_b32_e64 v13, v13, v15, s2
	v_cndmask_b32_e64 v12, v12, v14, s2
	v_cmp_lt_i32_e64 s2, v30, v37
	v_cndmask_b32_e32 v15, v1, v3, vcc_lo
	v_and_b32_e32 v1, 56, v35
	v_sub_nc_u32_e32 v3, v36, v38
	s_or_b32 s0, s1, s0
	v_cndmask_b32_e32 v14, v0, v2, vcc_lo
	s_and_b32 vcc_lo, s2, s0
	v_cndmask_b32_e64 v17, v17, v19, s3
	v_cndmask_b32_e64 v16, v16, v18, s3
	v_cndmask_b32_e32 v19, v25, v27, vcc_lo
	v_cndmask_b32_e32 v18, v24, v26, vcc_lo
	v_sub_nc_u32_e32 v0, v1, v3
	v_sub_nc_u32_e32 v2, v38, v8
	v_cmp_ge_i32_e32 vcc_lo, v1, v3
	v_cndmask_b32_e64 v21, v21, v23, s4
	v_cndmask_b32_e64 v20, v20, v22, s4
	s_mov_b32 s1, 0
	v_min_i32_e32 v2, v1, v2
	v_cndmask_b32_e32 v4, 0, v0, vcc_lo
	v_lshl_add_u32 v0, v8, 3, v33
	s_mov_b32 s0, exec_lo
	; wave barrier
	ds_write2_b64 v34, v[14:15], v[6:7] offset1:1
	ds_write2_b64 v34, v[10:11], v[12:13] offset0:2 offset1:3
	ds_write2_b64 v34, v[16:17], v[20:21] offset0:4 offset1:5
	;; [unrolled: 1-line block ×3, first 2 shown]
	; wave barrier
	v_cmpx_lt_i32_e64 v4, v2
	s_cbranch_execz .LBB188_68
; %bb.65:
	v_lshlrev_b32_e32 v3, 3, v38
	v_lshlrev_b32_e32 v5, 3, v1
	v_add3_u32 v3, v33, v3, v5
	.p2align	6
.LBB188_66:                             ; =>This Inner Loop Header: Depth=1
	v_sub_nc_u32_e32 v5, v2, v4
	v_lshrrev_b32_e32 v5, 1, v5
	v_add_nc_u32_e32 v7, v5, v4
	v_not_b32_e32 v5, v7
	v_lshl_add_u32 v6, v7, 3, v0
	v_lshl_add_u32 v9, v5, 3, v3
	ds_read_b64 v[5:6], v6
	ds_read_b64 v[9:10], v9
	s_waitcnt lgkmcnt(0)
	v_cmp_lt_i64_e32 vcc_lo, v[9:10], v[5:6]
	v_add_nc_u32_e32 v5, 1, v7
	v_cndmask_b32_e32 v2, v2, v7, vcc_lo
	v_cndmask_b32_e32 v4, v5, v4, vcc_lo
	v_cmp_ge_i32_e32 vcc_lo, v4, v2
	s_or_b32 s1, vcc_lo, s1
	s_andn2_b32 exec_lo, exec_lo, s1
	s_cbranch_execnz .LBB188_66
; %bb.67:
	s_or_b32 exec_lo, exec_lo, s1
.LBB188_68:
	s_or_b32 exec_lo, exec_lo, s0
	v_add_nc_u32_e32 v1, v38, v1
	v_lshl_add_u32 v6, v4, 3, v0
	v_add_nc_u32_e32 v8, v4, v8
	v_sub_nc_u32_e32 v9, v1, v4
                                        ; implicit-def: $vgpr4_vgpr5
	v_cmp_le_i32_e64 s0, v38, v8
	v_lshl_add_u32 v10, v9, 3, v33
	v_cmp_gt_i32_e64 s1, v36, v9
	ds_read_b64 v[0:1], v6
	ds_read_b64 v[2:3], v10
	s_waitcnt lgkmcnt(0)
	v_cmp_lt_i64_e32 vcc_lo, v[2:3], v[0:1]
	s_or_b32 s0, s0, vcc_lo
	s_and_b32 vcc_lo, s1, s0
	s_xor_b32 s0, vcc_lo, -1
	s_and_saveexec_b32 s1, s0
	s_xor_b32 s0, exec_lo, s1
; %bb.69:
	ds_read_b64 v[4:5], v6 offset:8
                                        ; implicit-def: $vgpr10
; %bb.70:
	s_or_saveexec_b32 s0, s0
	v_mov_b32_e32 v7, v3
	v_mov_b32_e32 v6, v2
	s_xor_b32 exec_lo, exec_lo, s0
	s_cbranch_execz .LBB188_72
; %bb.71:
	ds_read_b64 v[6:7], v10 offset:8
	s_waitcnt lgkmcnt(1)
	v_mov_b32_e32 v5, v1
	v_mov_b32_e32 v4, v0
.LBB188_72:
	s_or_b32 exec_lo, exec_lo, s0
	v_add_nc_u32_e32 v10, 1, v8
	v_add_nc_u32_e32 v11, 1, v9
	s_waitcnt lgkmcnt(0)
	v_cmp_lt_i64_e64 s0, v[6:7], v[4:5]
	v_cndmask_b32_e32 v13, v10, v8, vcc_lo
	v_cndmask_b32_e32 v12, v9, v11, vcc_lo
                                        ; implicit-def: $vgpr8_vgpr9
	v_cmp_ge_i32_e64 s1, v13, v38
	v_cmp_lt_i32_e64 s2, v12, v36
	s_or_b32 s0, s1, s0
	s_and_b32 s0, s2, s0
	s_xor_b32 s1, s0, -1
	s_and_saveexec_b32 s2, s1
	s_xor_b32 s1, exec_lo, s2
; %bb.73:
	v_lshl_add_u32 v8, v13, 3, v33
	ds_read_b64 v[8:9], v8 offset:8
; %bb.74:
	s_or_saveexec_b32 s1, s1
	v_mov_b32_e32 v11, v7
	v_mov_b32_e32 v10, v6
	s_xor_b32 exec_lo, exec_lo, s1
	s_cbranch_execz .LBB188_76
; %bb.75:
	s_waitcnt lgkmcnt(0)
	v_lshl_add_u32 v8, v12, 3, v33
	ds_read_b64 v[10:11], v8 offset:8
	v_mov_b32_e32 v9, v5
	v_mov_b32_e32 v8, v4
.LBB188_76:
	s_or_b32 exec_lo, exec_lo, s1
	v_add_nc_u32_e32 v14, 1, v13
	v_add_nc_u32_e32 v15, 1, v12
	s_waitcnt lgkmcnt(0)
	v_cmp_lt_i64_e64 s1, v[10:11], v[8:9]
	v_cndmask_b32_e64 v17, v14, v13, s0
	v_cndmask_b32_e64 v16, v12, v15, s0
                                        ; implicit-def: $vgpr12_vgpr13
	v_cmp_ge_i32_e64 s2, v17, v38
	v_cmp_lt_i32_e64 s3, v16, v36
	s_or_b32 s1, s2, s1
	s_and_b32 s1, s3, s1
	s_xor_b32 s2, s1, -1
	s_and_saveexec_b32 s3, s2
	s_xor_b32 s2, exec_lo, s3
; %bb.77:
	v_lshl_add_u32 v12, v17, 3, v33
	ds_read_b64 v[12:13], v12 offset:8
; %bb.78:
	s_or_saveexec_b32 s2, s2
	v_mov_b32_e32 v15, v11
	v_mov_b32_e32 v14, v10
	s_xor_b32 exec_lo, exec_lo, s2
	s_cbranch_execz .LBB188_80
; %bb.79:
	s_waitcnt lgkmcnt(0)
	v_lshl_add_u32 v12, v16, 3, v33
	ds_read_b64 v[14:15], v12 offset:8
	v_mov_b32_e32 v13, v9
	v_mov_b32_e32 v12, v8
.LBB188_80:
	s_or_b32 exec_lo, exec_lo, s2
	v_add_nc_u32_e32 v18, 1, v17
	v_add_nc_u32_e32 v19, 1, v16
	s_waitcnt lgkmcnt(0)
	v_cmp_lt_i64_e64 s2, v[14:15], v[12:13]
	v_cndmask_b32_e64 v21, v18, v17, s1
	v_cndmask_b32_e64 v20, v16, v19, s1
                                        ; implicit-def: $vgpr16_vgpr17
	v_cmp_ge_i32_e64 s3, v21, v38
	v_cmp_lt_i32_e64 s4, v20, v36
	s_or_b32 s2, s3, s2
	s_and_b32 s2, s4, s2
	s_xor_b32 s3, s2, -1
	s_and_saveexec_b32 s4, s3
	s_xor_b32 s3, exec_lo, s4
; %bb.81:
	v_lshl_add_u32 v16, v21, 3, v33
	ds_read_b64 v[16:17], v16 offset:8
; %bb.82:
	s_or_saveexec_b32 s3, s3
	v_mov_b32_e32 v19, v15
	v_mov_b32_e32 v18, v14
	s_xor_b32 exec_lo, exec_lo, s3
	s_cbranch_execz .LBB188_84
; %bb.83:
	s_waitcnt lgkmcnt(0)
	v_lshl_add_u32 v16, v20, 3, v33
	ds_read_b64 v[18:19], v16 offset:8
	v_mov_b32_e32 v17, v13
	v_mov_b32_e32 v16, v12
.LBB188_84:
	s_or_b32 exec_lo, exec_lo, s3
	v_add_nc_u32_e32 v22, 1, v21
	v_add_nc_u32_e32 v23, 1, v20
	s_waitcnt lgkmcnt(0)
	v_cmp_lt_i64_e64 s3, v[18:19], v[16:17]
	v_cndmask_b32_e64 v25, v22, v21, s2
	v_cndmask_b32_e64 v24, v20, v23, s2
                                        ; implicit-def: $vgpr20_vgpr21
	v_cmp_ge_i32_e64 s4, v25, v38
	v_cmp_lt_i32_e64 s5, v24, v36
	s_or_b32 s3, s4, s3
	s_and_b32 s3, s5, s3
	s_xor_b32 s4, s3, -1
	s_and_saveexec_b32 s5, s4
	s_xor_b32 s4, exec_lo, s5
; %bb.85:
	v_lshl_add_u32 v20, v25, 3, v33
	ds_read_b64 v[20:21], v20 offset:8
; %bb.86:
	s_or_saveexec_b32 s4, s4
	v_mov_b32_e32 v23, v19
	v_mov_b32_e32 v22, v18
	s_xor_b32 exec_lo, exec_lo, s4
	s_cbranch_execz .LBB188_88
; %bb.87:
	s_waitcnt lgkmcnt(0)
	v_lshl_add_u32 v20, v24, 3, v33
	ds_read_b64 v[22:23], v20 offset:8
	v_mov_b32_e32 v21, v17
	v_mov_b32_e32 v20, v16
.LBB188_88:
	s_or_b32 exec_lo, exec_lo, s4
	v_add_nc_u32_e32 v26, 1, v25
	v_add_nc_u32_e32 v27, 1, v24
	s_waitcnt lgkmcnt(0)
	v_cmp_lt_i64_e64 s4, v[22:23], v[20:21]
                                        ; implicit-def: $vgpr28_vgpr29
	v_cndmask_b32_e64 v25, v26, v25, s3
	v_cndmask_b32_e64 v24, v24, v27, s3
	v_cmp_ge_i32_e64 s5, v25, v38
	v_cmp_lt_i32_e64 s6, v24, v36
	s_or_b32 s4, s5, s4
	s_and_b32 s4, s6, s4
	s_xor_b32 s5, s4, -1
	s_and_saveexec_b32 s6, s5
	s_xor_b32 s5, exec_lo, s6
; %bb.89:
	v_lshl_add_u32 v26, v25, 3, v33
	ds_read_b64 v[28:29], v26 offset:8
; %bb.90:
	s_or_saveexec_b32 s5, s5
	v_mov_b32_e32 v31, v23
	v_mov_b32_e32 v30, v22
	s_xor_b32 exec_lo, exec_lo, s5
	s_cbranch_execz .LBB188_92
; %bb.91:
	v_lshl_add_u32 v26, v24, 3, v33
	s_waitcnt lgkmcnt(0)
	v_mov_b32_e32 v29, v21
	v_mov_b32_e32 v28, v20
	ds_read_b64 v[30:31], v26 offset:8
.LBB188_92:
	s_or_b32 exec_lo, exec_lo, s5
	v_add_nc_u32_e32 v26, 1, v25
	v_add_nc_u32_e32 v27, 1, v24
	s_waitcnt lgkmcnt(0)
	v_cmp_lt_i64_e64 s5, v[30:31], v[28:29]
	v_cndmask_b32_e64 v37, v26, v25, s4
	v_cndmask_b32_e64 v39, v24, v27, s4
                                        ; implicit-def: $vgpr24_vgpr25
	v_cmp_ge_i32_e64 s6, v37, v38
	v_cmp_lt_i32_e64 s7, v39, v36
	s_or_b32 s5, s6, s5
	s_and_b32 s5, s7, s5
	s_xor_b32 s6, s5, -1
	s_and_saveexec_b32 s7, s6
	s_xor_b32 s6, exec_lo, s7
; %bb.93:
	v_lshl_add_u32 v24, v37, 3, v33
	ds_read_b64 v[24:25], v24 offset:8
; %bb.94:
	s_or_saveexec_b32 s6, s6
	v_mov_b32_e32 v26, v30
	v_mov_b32_e32 v27, v31
	s_xor_b32 exec_lo, exec_lo, s6
	s_cbranch_execz .LBB188_96
; %bb.95:
	s_waitcnt lgkmcnt(0)
	v_lshl_add_u32 v24, v39, 3, v33
	ds_read_b64 v[26:27], v24 offset:8
	v_mov_b32_e32 v24, v28
	v_mov_b32_e32 v25, v29
.LBB188_96:
	s_or_b32 exec_lo, exec_lo, s6
	v_add_nc_u32_e32 v41, 1, v37
	v_add_nc_u32_e32 v40, 1, v39
	v_cndmask_b32_e64 v29, v29, v31, s5
	v_cndmask_b32_e64 v10, v8, v10, s1
	v_and_b32_e32 v8, 0x80, v35
	v_cndmask_b32_e64 v31, v41, v37, s5
	v_cndmask_b32_e64 v28, v28, v30, s5
	;; [unrolled: 1-line block ×6, first 2 shown]
	s_waitcnt lgkmcnt(0)
	v_cmp_lt_i64_e64 s0, v[26:27], v[24:25]
	v_cmp_ge_i32_e64 s1, v31, v38
	v_or_b32_e32 v38, 64, v8
	v_add_nc_u32_e32 v37, 0x80, v8
	v_cndmask_b32_e64 v13, v13, v15, s2
	v_cndmask_b32_e64 v12, v12, v14, s2
	v_cmp_lt_i32_e64 s2, v30, v36
	v_cndmask_b32_e32 v15, v1, v3, vcc_lo
	v_and_b32_e32 v1, 0x78, v35
	v_sub_nc_u32_e32 v3, v37, v38
	s_or_b32 s0, s1, s0
	v_cndmask_b32_e32 v14, v0, v2, vcc_lo
	s_and_b32 vcc_lo, s2, s0
	v_cndmask_b32_e64 v17, v17, v19, s3
	v_cndmask_b32_e64 v16, v16, v18, s3
	v_cndmask_b32_e32 v19, v25, v27, vcc_lo
	v_cndmask_b32_e32 v18, v24, v26, vcc_lo
	v_sub_nc_u32_e32 v0, v1, v3
	v_sub_nc_u32_e32 v2, v38, v8
	v_cmp_ge_i32_e32 vcc_lo, v1, v3
	v_cndmask_b32_e64 v21, v21, v23, s4
	v_cndmask_b32_e64 v20, v20, v22, s4
	s_mov_b32 s1, 0
	v_min_i32_e32 v2, v1, v2
	v_cndmask_b32_e32 v4, 0, v0, vcc_lo
	v_lshl_add_u32 v0, v8, 3, v33
	s_mov_b32 s0, exec_lo
	; wave barrier
	ds_write2_b64 v34, v[14:15], v[6:7] offset1:1
	ds_write2_b64 v34, v[10:11], v[12:13] offset0:2 offset1:3
	ds_write2_b64 v34, v[16:17], v[20:21] offset0:4 offset1:5
	;; [unrolled: 1-line block ×3, first 2 shown]
	; wave barrier
	v_cmpx_lt_i32_e64 v4, v2
	s_cbranch_execz .LBB188_100
; %bb.97:
	v_lshlrev_b32_e32 v3, 3, v38
	v_lshlrev_b32_e32 v5, 3, v1
	v_add3_u32 v3, v33, v3, v5
	.p2align	6
.LBB188_98:                             ; =>This Inner Loop Header: Depth=1
	v_sub_nc_u32_e32 v5, v2, v4
	v_lshrrev_b32_e32 v5, 1, v5
	v_add_nc_u32_e32 v7, v5, v4
	v_not_b32_e32 v5, v7
	v_lshl_add_u32 v6, v7, 3, v0
	v_lshl_add_u32 v9, v5, 3, v3
	ds_read_b64 v[5:6], v6
	ds_read_b64 v[9:10], v9
	s_waitcnt lgkmcnt(0)
	v_cmp_lt_i64_e32 vcc_lo, v[9:10], v[5:6]
	v_add_nc_u32_e32 v5, 1, v7
	v_cndmask_b32_e32 v2, v2, v7, vcc_lo
	v_cndmask_b32_e32 v4, v5, v4, vcc_lo
	v_cmp_ge_i32_e32 vcc_lo, v4, v2
	s_or_b32 s1, vcc_lo, s1
	s_andn2_b32 exec_lo, exec_lo, s1
	s_cbranch_execnz .LBB188_98
; %bb.99:
	s_or_b32 exec_lo, exec_lo, s1
.LBB188_100:
	s_or_b32 exec_lo, exec_lo, s0
	v_add_nc_u32_e32 v1, v38, v1
	v_lshl_add_u32 v6, v4, 3, v0
	v_add_nc_u32_e32 v8, v4, v8
	v_sub_nc_u32_e32 v9, v1, v4
                                        ; implicit-def: $vgpr4_vgpr5
	v_cmp_le_i32_e64 s0, v38, v8
	v_lshl_add_u32 v10, v9, 3, v33
	v_cmp_gt_i32_e64 s1, v37, v9
	ds_read_b64 v[0:1], v6
	ds_read_b64 v[2:3], v10
	s_waitcnt lgkmcnt(0)
	v_cmp_lt_i64_e32 vcc_lo, v[2:3], v[0:1]
	s_or_b32 s0, s0, vcc_lo
	s_and_b32 vcc_lo, s1, s0
	s_xor_b32 s0, vcc_lo, -1
	s_and_saveexec_b32 s1, s0
	s_xor_b32 s0, exec_lo, s1
; %bb.101:
	ds_read_b64 v[4:5], v6 offset:8
                                        ; implicit-def: $vgpr10
; %bb.102:
	s_or_saveexec_b32 s0, s0
	v_mov_b32_e32 v7, v3
	v_mov_b32_e32 v6, v2
	s_xor_b32 exec_lo, exec_lo, s0
	s_cbranch_execz .LBB188_104
; %bb.103:
	ds_read_b64 v[6:7], v10 offset:8
	s_waitcnt lgkmcnt(1)
	v_mov_b32_e32 v5, v1
	v_mov_b32_e32 v4, v0
.LBB188_104:
	s_or_b32 exec_lo, exec_lo, s0
	v_add_nc_u32_e32 v10, 1, v8
	v_add_nc_u32_e32 v11, 1, v9
	s_waitcnt lgkmcnt(0)
	v_cmp_lt_i64_e64 s0, v[6:7], v[4:5]
	v_cndmask_b32_e32 v13, v10, v8, vcc_lo
	v_cndmask_b32_e32 v12, v9, v11, vcc_lo
                                        ; implicit-def: $vgpr8_vgpr9
	v_cmp_ge_i32_e64 s1, v13, v38
	v_cmp_lt_i32_e64 s2, v12, v37
	s_or_b32 s0, s1, s0
	s_and_b32 s0, s2, s0
	s_xor_b32 s1, s0, -1
	s_and_saveexec_b32 s2, s1
	s_xor_b32 s1, exec_lo, s2
; %bb.105:
	v_lshl_add_u32 v8, v13, 3, v33
	ds_read_b64 v[8:9], v8 offset:8
; %bb.106:
	s_or_saveexec_b32 s1, s1
	v_mov_b32_e32 v11, v7
	v_mov_b32_e32 v10, v6
	s_xor_b32 exec_lo, exec_lo, s1
	s_cbranch_execz .LBB188_108
; %bb.107:
	s_waitcnt lgkmcnt(0)
	v_lshl_add_u32 v8, v12, 3, v33
	ds_read_b64 v[10:11], v8 offset:8
	v_mov_b32_e32 v9, v5
	v_mov_b32_e32 v8, v4
.LBB188_108:
	s_or_b32 exec_lo, exec_lo, s1
	v_add_nc_u32_e32 v14, 1, v13
	v_add_nc_u32_e32 v15, 1, v12
	s_waitcnt lgkmcnt(0)
	v_cmp_lt_i64_e64 s1, v[10:11], v[8:9]
	v_cndmask_b32_e64 v17, v14, v13, s0
	v_cndmask_b32_e64 v16, v12, v15, s0
                                        ; implicit-def: $vgpr12_vgpr13
	v_cmp_ge_i32_e64 s2, v17, v38
	v_cmp_lt_i32_e64 s3, v16, v37
	s_or_b32 s1, s2, s1
	s_and_b32 s1, s3, s1
	s_xor_b32 s2, s1, -1
	s_and_saveexec_b32 s3, s2
	s_xor_b32 s2, exec_lo, s3
; %bb.109:
	v_lshl_add_u32 v12, v17, 3, v33
	ds_read_b64 v[12:13], v12 offset:8
; %bb.110:
	s_or_saveexec_b32 s2, s2
	v_mov_b32_e32 v15, v11
	v_mov_b32_e32 v14, v10
	s_xor_b32 exec_lo, exec_lo, s2
	s_cbranch_execz .LBB188_112
; %bb.111:
	s_waitcnt lgkmcnt(0)
	v_lshl_add_u32 v12, v16, 3, v33
	ds_read_b64 v[14:15], v12 offset:8
	v_mov_b32_e32 v13, v9
	v_mov_b32_e32 v12, v8
.LBB188_112:
	s_or_b32 exec_lo, exec_lo, s2
	v_add_nc_u32_e32 v18, 1, v17
	v_add_nc_u32_e32 v19, 1, v16
	s_waitcnt lgkmcnt(0)
	v_cmp_lt_i64_e64 s2, v[14:15], v[12:13]
	v_cndmask_b32_e64 v21, v18, v17, s1
	v_cndmask_b32_e64 v20, v16, v19, s1
                                        ; implicit-def: $vgpr16_vgpr17
	v_cmp_ge_i32_e64 s3, v21, v38
	v_cmp_lt_i32_e64 s4, v20, v37
	s_or_b32 s2, s3, s2
	s_and_b32 s2, s4, s2
	s_xor_b32 s3, s2, -1
	s_and_saveexec_b32 s4, s3
	s_xor_b32 s3, exec_lo, s4
; %bb.113:
	v_lshl_add_u32 v16, v21, 3, v33
	ds_read_b64 v[16:17], v16 offset:8
; %bb.114:
	s_or_saveexec_b32 s3, s3
	v_mov_b32_e32 v19, v15
	v_mov_b32_e32 v18, v14
	s_xor_b32 exec_lo, exec_lo, s3
	s_cbranch_execz .LBB188_116
; %bb.115:
	s_waitcnt lgkmcnt(0)
	v_lshl_add_u32 v16, v20, 3, v33
	ds_read_b64 v[18:19], v16 offset:8
	v_mov_b32_e32 v17, v13
	v_mov_b32_e32 v16, v12
.LBB188_116:
	s_or_b32 exec_lo, exec_lo, s3
	v_add_nc_u32_e32 v22, 1, v21
	v_add_nc_u32_e32 v23, 1, v20
	s_waitcnt lgkmcnt(0)
	v_cmp_lt_i64_e64 s3, v[18:19], v[16:17]
	v_cndmask_b32_e64 v25, v22, v21, s2
	v_cndmask_b32_e64 v24, v20, v23, s2
                                        ; implicit-def: $vgpr20_vgpr21
	v_cmp_ge_i32_e64 s4, v25, v38
	v_cmp_lt_i32_e64 s5, v24, v37
	s_or_b32 s3, s4, s3
	s_and_b32 s3, s5, s3
	s_xor_b32 s4, s3, -1
	s_and_saveexec_b32 s5, s4
	s_xor_b32 s4, exec_lo, s5
; %bb.117:
	v_lshl_add_u32 v20, v25, 3, v33
	ds_read_b64 v[20:21], v20 offset:8
; %bb.118:
	s_or_saveexec_b32 s4, s4
	v_mov_b32_e32 v23, v19
	v_mov_b32_e32 v22, v18
	s_xor_b32 exec_lo, exec_lo, s4
	s_cbranch_execz .LBB188_120
; %bb.119:
	s_waitcnt lgkmcnt(0)
	v_lshl_add_u32 v20, v24, 3, v33
	ds_read_b64 v[22:23], v20 offset:8
	v_mov_b32_e32 v21, v17
	v_mov_b32_e32 v20, v16
.LBB188_120:
	s_or_b32 exec_lo, exec_lo, s4
	v_add_nc_u32_e32 v26, 1, v25
	v_add_nc_u32_e32 v27, 1, v24
	s_waitcnt lgkmcnt(0)
	v_cmp_lt_i64_e64 s4, v[22:23], v[20:21]
                                        ; implicit-def: $vgpr28_vgpr29
	v_cndmask_b32_e64 v25, v26, v25, s3
	v_cndmask_b32_e64 v24, v24, v27, s3
	v_cmp_ge_i32_e64 s5, v25, v38
	v_cmp_lt_i32_e64 s6, v24, v37
	s_or_b32 s4, s5, s4
	s_and_b32 s4, s6, s4
	s_xor_b32 s5, s4, -1
	s_and_saveexec_b32 s6, s5
	s_xor_b32 s5, exec_lo, s6
; %bb.121:
	v_lshl_add_u32 v26, v25, 3, v33
	ds_read_b64 v[28:29], v26 offset:8
; %bb.122:
	s_or_saveexec_b32 s5, s5
	v_mov_b32_e32 v31, v23
	v_mov_b32_e32 v30, v22
	s_xor_b32 exec_lo, exec_lo, s5
	s_cbranch_execz .LBB188_124
; %bb.123:
	v_lshl_add_u32 v26, v24, 3, v33
	s_waitcnt lgkmcnt(0)
	v_mov_b32_e32 v29, v21
	v_mov_b32_e32 v28, v20
	ds_read_b64 v[30:31], v26 offset:8
.LBB188_124:
	s_or_b32 exec_lo, exec_lo, s5
	v_add_nc_u32_e32 v26, 1, v25
	v_add_nc_u32_e32 v27, 1, v24
	s_waitcnt lgkmcnt(0)
	v_cmp_lt_i64_e64 s5, v[30:31], v[28:29]
	v_cndmask_b32_e64 v36, v26, v25, s4
	v_cndmask_b32_e64 v39, v24, v27, s4
                                        ; implicit-def: $vgpr24_vgpr25
	v_cmp_ge_i32_e64 s6, v36, v38
	v_cmp_lt_i32_e64 s7, v39, v37
	s_or_b32 s5, s6, s5
	s_and_b32 s5, s7, s5
	s_xor_b32 s6, s5, -1
	s_and_saveexec_b32 s7, s6
	s_xor_b32 s6, exec_lo, s7
; %bb.125:
	v_lshl_add_u32 v24, v36, 3, v33
	ds_read_b64 v[24:25], v24 offset:8
; %bb.126:
	s_or_saveexec_b32 s6, s6
	v_mov_b32_e32 v26, v30
	v_mov_b32_e32 v27, v31
	s_xor_b32 exec_lo, exec_lo, s6
	s_cbranch_execz .LBB188_128
; %bb.127:
	s_waitcnt lgkmcnt(0)
	v_lshl_add_u32 v24, v39, 3, v33
	ds_read_b64 v[26:27], v24 offset:8
	v_mov_b32_e32 v24, v28
	v_mov_b32_e32 v25, v29
.LBB188_128:
	s_or_b32 exec_lo, exec_lo, s6
	v_add_nc_u32_e32 v41, 1, v36
	v_add_nc_u32_e32 v40, 1, v39
	v_cndmask_b32_e64 v29, v29, v31, s5
	v_cndmask_b32_e64 v28, v28, v30, s5
	;; [unrolled: 1-line block ×6, first 2 shown]
	s_waitcnt lgkmcnt(0)
	v_cmp_lt_i64_e64 s0, v[26:27], v[24:25]
	v_cndmask_b32_e64 v11, v9, v11, s1
	v_cndmask_b32_e64 v10, v8, v10, s1
	v_cmp_ge_i32_e64 s1, v31, v38
	v_cndmask_b32_e64 v13, v13, v15, s2
	v_cndmask_b32_e64 v12, v12, v14, s2
	v_cmp_lt_i32_e64 s2, v30, v37
	v_and_b32_e32 v35, 0xf8, v35
	s_or_b32 s0, s1, s0
	v_cndmask_b32_e32 v3, v1, v3, vcc_lo
	v_cndmask_b32_e32 v2, v0, v2, vcc_lo
	s_and_b32 vcc_lo, s2, s0
	v_add_nc_u32_e32 v0, 0xffffff80, v35
	v_cndmask_b32_e32 v7, v25, v27, vcc_lo
	v_cndmask_b32_e32 v6, v24, v26, vcc_lo
	v_cmp_lt_i32_e32 vcc_lo, 0x7f, v35
	v_cndmask_b32_e64 v21, v21, v23, s4
	v_cndmask_b32_e64 v20, v20, v22, s4
	;; [unrolled: 1-line block ×4, first 2 shown]
	v_cndmask_b32_e32 v8, 0, v0, vcc_lo
	v_min_i32_e32 v0, 0x80, v35
	s_mov_b32 s0, exec_lo
	; wave barrier
	ds_write2_b64 v34, v[2:3], v[4:5] offset1:1
	ds_write2_b64 v34, v[10:11], v[12:13] offset0:2 offset1:3
	ds_write2_b64 v34, v[16:17], v[20:21] offset0:4 offset1:5
	;; [unrolled: 1-line block ×3, first 2 shown]
	; wave barrier
	v_cmpx_lt_i32_e64 v8, v0
	s_cbranch_execz .LBB188_132
; %bb.129:
	v_lshlrev_b32_e32 v1, 3, v35
	s_mov_b32 s1, 0
	v_add3_u32 v1, 0x400, v33, v1
	.p2align	6
.LBB188_130:                            ; =>This Inner Loop Header: Depth=1
	v_sub_nc_u32_e32 v2, v0, v8
	v_lshrrev_b32_e32 v2, 1, v2
	v_add_nc_u32_e32 v6, v2, v8
	v_not_b32_e32 v2, v6
	v_lshl_add_u32 v3, v6, 3, v33
	v_lshl_add_u32 v4, v2, 3, v1
	ds_read_b64 v[2:3], v3
	ds_read_b64 v[4:5], v4
	s_waitcnt lgkmcnt(0)
	v_cmp_lt_i64_e32 vcc_lo, v[4:5], v[2:3]
	v_add_nc_u32_e32 v2, 1, v6
	v_cndmask_b32_e32 v0, v0, v6, vcc_lo
	v_cndmask_b32_e32 v8, v2, v8, vcc_lo
	v_cmp_ge_i32_e32 vcc_lo, v8, v0
	s_or_b32 s1, vcc_lo, s1
	s_andn2_b32 exec_lo, exec_lo, s1
	s_cbranch_execnz .LBB188_130
; %bb.131:
	s_or_b32 exec_lo, exec_lo, s1
.LBB188_132:
	s_or_b32 exec_lo, exec_lo, s0
	v_add_nc_u32_e32 v0, 0x80, v35
	v_lshl_add_u32 v6, v8, 3, v33
	v_cmp_le_i32_e64 s0, 0x80, v8
                                        ; implicit-def: $vgpr4_vgpr5
	v_sub_nc_u32_e32 v9, v0, v8
	v_lshl_add_u32 v10, v9, 3, v33
	v_cmp_gt_i32_e64 s1, 0x100, v9
	ds_read_b64 v[0:1], v6
	ds_read_b64 v[2:3], v10
	s_waitcnt lgkmcnt(0)
	v_cmp_lt_i64_e32 vcc_lo, v[2:3], v[0:1]
	s_or_b32 s0, s0, vcc_lo
	s_and_b32 vcc_lo, s1, s0
	s_xor_b32 s0, vcc_lo, -1
	s_and_saveexec_b32 s1, s0
	s_xor_b32 s0, exec_lo, s1
; %bb.133:
	ds_read_b64 v[4:5], v6 offset:8
                                        ; implicit-def: $vgpr10
; %bb.134:
	s_or_saveexec_b32 s0, s0
	v_mov_b32_e32 v7, v3
	v_mov_b32_e32 v6, v2
	s_xor_b32 exec_lo, exec_lo, s0
	s_cbranch_execz .LBB188_136
; %bb.135:
	ds_read_b64 v[6:7], v10 offset:8
	s_waitcnt lgkmcnt(1)
	v_mov_b32_e32 v5, v1
	v_mov_b32_e32 v4, v0
.LBB188_136:
	s_or_b32 exec_lo, exec_lo, s0
	v_add_nc_u32_e32 v10, 1, v8
	v_add_nc_u32_e32 v11, 1, v9
	s_waitcnt lgkmcnt(0)
	v_cmp_lt_i64_e64 s0, v[6:7], v[4:5]
	v_cndmask_b32_e32 v13, v10, v8, vcc_lo
	v_cndmask_b32_e32 v12, v9, v11, vcc_lo
                                        ; implicit-def: $vgpr8_vgpr9
	v_cmp_le_i32_e64 s1, 0x80, v13
	v_cmp_gt_i32_e64 s2, 0x100, v12
	s_or_b32 s0, s1, s0
	s_and_b32 s0, s2, s0
	s_xor_b32 s1, s0, -1
	s_and_saveexec_b32 s2, s1
	s_xor_b32 s1, exec_lo, s2
; %bb.137:
	v_lshl_add_u32 v8, v13, 3, v33
	ds_read_b64 v[8:9], v8 offset:8
; %bb.138:
	s_or_saveexec_b32 s1, s1
	v_mov_b32_e32 v11, v7
	v_mov_b32_e32 v10, v6
	s_xor_b32 exec_lo, exec_lo, s1
	s_cbranch_execz .LBB188_140
; %bb.139:
	s_waitcnt lgkmcnt(0)
	v_lshl_add_u32 v8, v12, 3, v33
	ds_read_b64 v[10:11], v8 offset:8
	v_mov_b32_e32 v9, v5
	v_mov_b32_e32 v8, v4
.LBB188_140:
	s_or_b32 exec_lo, exec_lo, s1
	v_add_nc_u32_e32 v14, 1, v13
	v_add_nc_u32_e32 v15, 1, v12
	s_waitcnt lgkmcnt(0)
	v_cmp_lt_i64_e64 s1, v[10:11], v[8:9]
	v_cndmask_b32_e64 v17, v14, v13, s0
	v_cndmask_b32_e64 v16, v12, v15, s0
                                        ; implicit-def: $vgpr12_vgpr13
	v_cmp_le_i32_e64 s2, 0x80, v17
	v_cmp_gt_i32_e64 s3, 0x100, v16
	s_or_b32 s1, s2, s1
	s_and_b32 s1, s3, s1
	s_xor_b32 s2, s1, -1
	s_and_saveexec_b32 s3, s2
	s_xor_b32 s2, exec_lo, s3
; %bb.141:
	v_lshl_add_u32 v12, v17, 3, v33
	ds_read_b64 v[12:13], v12 offset:8
; %bb.142:
	s_or_saveexec_b32 s2, s2
	v_mov_b32_e32 v15, v11
	v_mov_b32_e32 v14, v10
	s_xor_b32 exec_lo, exec_lo, s2
	s_cbranch_execz .LBB188_144
; %bb.143:
	s_waitcnt lgkmcnt(0)
	v_lshl_add_u32 v12, v16, 3, v33
	ds_read_b64 v[14:15], v12 offset:8
	v_mov_b32_e32 v13, v9
	v_mov_b32_e32 v12, v8
.LBB188_144:
	s_or_b32 exec_lo, exec_lo, s2
	v_add_nc_u32_e32 v18, 1, v17
	v_add_nc_u32_e32 v19, 1, v16
	s_waitcnt lgkmcnt(0)
	v_cmp_lt_i64_e64 s2, v[14:15], v[12:13]
	v_cndmask_b32_e64 v21, v18, v17, s1
	v_cndmask_b32_e64 v20, v16, v19, s1
                                        ; implicit-def: $vgpr16_vgpr17
	v_cmp_le_i32_e64 s3, 0x80, v21
	v_cmp_gt_i32_e64 s4, 0x100, v20
	s_or_b32 s2, s3, s2
	s_and_b32 s2, s4, s2
	s_xor_b32 s3, s2, -1
	s_and_saveexec_b32 s4, s3
	s_xor_b32 s3, exec_lo, s4
; %bb.145:
	v_lshl_add_u32 v16, v21, 3, v33
	ds_read_b64 v[16:17], v16 offset:8
; %bb.146:
	s_or_saveexec_b32 s3, s3
	v_mov_b32_e32 v19, v15
	v_mov_b32_e32 v18, v14
	s_xor_b32 exec_lo, exec_lo, s3
	s_cbranch_execz .LBB188_148
; %bb.147:
	s_waitcnt lgkmcnt(0)
	v_lshl_add_u32 v16, v20, 3, v33
	ds_read_b64 v[18:19], v16 offset:8
	v_mov_b32_e32 v17, v13
	v_mov_b32_e32 v16, v12
.LBB188_148:
	s_or_b32 exec_lo, exec_lo, s3
	v_add_nc_u32_e32 v22, 1, v21
	v_add_nc_u32_e32 v23, 1, v20
	s_waitcnt lgkmcnt(0)
	v_cmp_lt_i64_e64 s3, v[18:19], v[16:17]
	v_cndmask_b32_e64 v25, v22, v21, s2
	v_cndmask_b32_e64 v24, v20, v23, s2
                                        ; implicit-def: $vgpr20_vgpr21
	v_cmp_le_i32_e64 s4, 0x80, v25
	v_cmp_gt_i32_e64 s5, 0x100, v24
	s_or_b32 s3, s4, s3
	s_and_b32 s3, s5, s3
	s_xor_b32 s4, s3, -1
	s_and_saveexec_b32 s5, s4
	s_xor_b32 s4, exec_lo, s5
; %bb.149:
	v_lshl_add_u32 v20, v25, 3, v33
	ds_read_b64 v[20:21], v20 offset:8
; %bb.150:
	s_or_saveexec_b32 s4, s4
	v_mov_b32_e32 v23, v19
	v_mov_b32_e32 v22, v18
	s_xor_b32 exec_lo, exec_lo, s4
	s_cbranch_execz .LBB188_152
; %bb.151:
	s_waitcnt lgkmcnt(0)
	v_lshl_add_u32 v20, v24, 3, v33
	ds_read_b64 v[22:23], v20 offset:8
	v_mov_b32_e32 v21, v17
	v_mov_b32_e32 v20, v16
.LBB188_152:
	s_or_b32 exec_lo, exec_lo, s4
	v_add_nc_u32_e32 v26, 1, v25
	v_add_nc_u32_e32 v27, 1, v24
	s_waitcnt lgkmcnt(0)
	v_cmp_lt_i64_e64 s4, v[22:23], v[20:21]
                                        ; implicit-def: $vgpr28_vgpr29
	v_cndmask_b32_e64 v25, v26, v25, s3
	v_cndmask_b32_e64 v24, v24, v27, s3
	v_cmp_le_i32_e64 s5, 0x80, v25
	v_cmp_gt_i32_e64 s6, 0x100, v24
	s_or_b32 s4, s5, s4
	s_and_b32 s4, s6, s4
	s_xor_b32 s5, s4, -1
	s_and_saveexec_b32 s6, s5
	s_xor_b32 s5, exec_lo, s6
; %bb.153:
	v_lshl_add_u32 v26, v25, 3, v33
	ds_read_b64 v[28:29], v26 offset:8
; %bb.154:
	s_or_saveexec_b32 s5, s5
	v_mov_b32_e32 v31, v23
	v_mov_b32_e32 v30, v22
	s_xor_b32 exec_lo, exec_lo, s5
	s_cbranch_execz .LBB188_156
; %bb.155:
	v_lshl_add_u32 v26, v24, 3, v33
	s_waitcnt lgkmcnt(0)
	v_mov_b32_e32 v29, v21
	v_mov_b32_e32 v28, v20
	ds_read_b64 v[30:31], v26 offset:8
.LBB188_156:
	s_or_b32 exec_lo, exec_lo, s5
	v_add_nc_u32_e32 v26, 1, v25
	v_add_nc_u32_e32 v27, 1, v24
	s_waitcnt lgkmcnt(0)
	v_cmp_lt_i64_e64 s5, v[30:31], v[28:29]
	v_cndmask_b32_e64 v36, v26, v25, s4
	v_cndmask_b32_e64 v37, v24, v27, s4
                                        ; implicit-def: $vgpr24_vgpr25
	v_cmp_le_i32_e64 s6, 0x80, v36
	v_cmp_gt_i32_e64 s7, 0x100, v37
	s_or_b32 s5, s6, s5
	s_and_b32 s5, s7, s5
	s_xor_b32 s6, s5, -1
	s_and_saveexec_b32 s7, s6
	s_xor_b32 s6, exec_lo, s7
; %bb.157:
	v_lshl_add_u32 v24, v36, 3, v33
	ds_read_b64 v[24:25], v24 offset:8
; %bb.158:
	s_or_saveexec_b32 s6, s6
	v_mov_b32_e32 v26, v30
	v_mov_b32_e32 v27, v31
	s_xor_b32 exec_lo, exec_lo, s6
	s_cbranch_execz .LBB188_160
; %bb.159:
	s_waitcnt lgkmcnt(0)
	v_lshl_add_u32 v24, v37, 3, v33
	ds_read_b64 v[26:27], v24 offset:8
	v_mov_b32_e32 v24, v28
	v_mov_b32_e32 v25, v29
.LBB188_160:
	s_or_b32 exec_lo, exec_lo, s6
	v_add_nc_u32_e32 v39, 1, v36
	v_add_nc_u32_e32 v38, 1, v37
	v_cndmask_b32_e64 v29, v29, v31, s5
	v_cndmask_b32_e64 v28, v28, v30, s5
	;; [unrolled: 1-line block ×6, first 2 shown]
	s_waitcnt lgkmcnt(0)
	v_cmp_lt_i64_e64 s1, v[26:27], v[24:25]
	v_cndmask_b32_e64 v13, v13, v15, s2
	v_cndmask_b32_e64 v12, v12, v14, s2
	v_cmp_le_i32_e64 s2, 0x80, v31
	v_cndmask_b32_e64 v5, v5, v7, s0
	v_cndmask_b32_e64 v4, v4, v6, s0
	v_cmp_gt_i32_e64 s0, 0x100, v30
	v_cndmask_b32_e32 v3, v1, v3, vcc_lo
	s_or_b32 s1, s2, s1
	v_cndmask_b32_e32 v2, v0, v2, vcc_lo
	v_or_b32_e32 v0, 0xffffff00, v35
	s_and_b32 vcc_lo, s0, s1
	v_cndmask_b32_e64 v21, v21, v23, s4
	v_cndmask_b32_e32 v7, v25, v27, vcc_lo
	v_cndmask_b32_e32 v6, v24, v26, vcc_lo
	v_cmp_lt_i32_e32 vcc_lo, 0xff, v35
	v_cndmask_b32_e64 v20, v20, v22, s4
	v_cndmask_b32_e64 v17, v17, v19, s3
	;; [unrolled: 1-line block ×3, first 2 shown]
	s_mov_b32 s0, exec_lo
	v_cndmask_b32_e32 v0, 0, v0, vcc_lo
	; wave barrier
	ds_write2_b64 v34, v[2:3], v[4:5] offset1:1
	ds_write2_b64 v34, v[8:9], v[12:13] offset0:2 offset1:3
	ds_write2_b64 v34, v[16:17], v[20:21] offset0:4 offset1:5
	ds_write2_b64 v34, v[28:29], v[6:7] offset0:6 offset1:7
	; wave barrier
	v_cmpx_lt_i32_e64 v0, v35
	s_cbranch_execz .LBB188_164
; %bb.161:
	v_lshlrev_b32_e32 v1, 3, v35
	v_mov_b32_e32 v2, v35
	s_mov_b32 s1, 0
	v_add3_u32 v1, 0x800, v33, v1
	.p2align	6
.LBB188_162:                            ; =>This Inner Loop Header: Depth=1
	v_sub_nc_u32_e32 v3, v2, v0
	v_lshrrev_b32_e32 v3, 1, v3
	v_add_nc_u32_e32 v7, v3, v0
	v_not_b32_e32 v3, v7
	v_lshl_add_u32 v4, v7, 3, v33
	v_lshl_add_u32 v5, v3, 3, v1
	ds_read_b64 v[3:4], v4
	ds_read_b64 v[5:6], v5
	s_waitcnt lgkmcnt(0)
	v_cmp_lt_i64_e32 vcc_lo, v[5:6], v[3:4]
	v_add_nc_u32_e32 v3, 1, v7
	v_cndmask_b32_e32 v2, v2, v7, vcc_lo
	v_cndmask_b32_e32 v0, v3, v0, vcc_lo
	v_cmp_ge_i32_e32 vcc_lo, v0, v2
	s_or_b32 s1, vcc_lo, s1
	s_andn2_b32 exec_lo, exec_lo, s1
	s_cbranch_execnz .LBB188_162
; %bb.163:
	s_or_b32 exec_lo, exec_lo, s1
.LBB188_164:
	s_or_b32 exec_lo, exec_lo, s0
	v_add_nc_u32_e32 v1, 0x100, v35
	v_lshl_add_u32 v8, v0, 3, v33
	v_cmp_le_i32_e64 s0, 0x100, v0
                                        ; implicit-def: $vgpr6_vgpr7
	v_sub_nc_u32_e32 v1, v1, v0
	v_lshl_add_u32 v10, v1, 3, v33
	v_cmp_gt_i32_e64 s1, 0x200, v1
	ds_read_b64 v[2:3], v8
	ds_read_b64 v[4:5], v10
	s_waitcnt lgkmcnt(0)
	v_cmp_lt_i64_e32 vcc_lo, v[4:5], v[2:3]
	s_or_b32 s0, s0, vcc_lo
	s_and_b32 vcc_lo, s1, s0
	s_xor_b32 s0, vcc_lo, -1
	s_and_saveexec_b32 s1, s0
	s_xor_b32 s0, exec_lo, s1
; %bb.165:
	ds_read_b64 v[6:7], v8 offset:8
                                        ; implicit-def: $vgpr10
; %bb.166:
	s_or_saveexec_b32 s0, s0
	v_mov_b32_e32 v9, v5
	v_mov_b32_e32 v8, v4
	s_xor_b32 exec_lo, exec_lo, s0
	s_cbranch_execz .LBB188_168
; %bb.167:
	ds_read_b64 v[8:9], v10 offset:8
	s_waitcnt lgkmcnt(1)
	v_mov_b32_e32 v7, v3
	v_mov_b32_e32 v6, v2
.LBB188_168:
	s_or_b32 exec_lo, exec_lo, s0
	v_add_nc_u32_e32 v10, 1, v0
	v_add_nc_u32_e32 v11, 1, v1
	s_waitcnt lgkmcnt(0)
	v_cmp_lt_i64_e64 s0, v[8:9], v[6:7]
	v_cndmask_b32_e32 v14, v10, v0, vcc_lo
	v_cndmask_b32_e32 v0, v1, v11, vcc_lo
                                        ; implicit-def: $vgpr10_vgpr11
	v_cmp_le_i32_e64 s1, 0x100, v14
	v_cmp_gt_i32_e64 s2, 0x200, v0
	s_or_b32 s0, s1, s0
	s_and_b32 s0, s2, s0
	s_xor_b32 s1, s0, -1
	s_and_saveexec_b32 s2, s1
	s_xor_b32 s1, exec_lo, s2
; %bb.169:
	v_lshl_add_u32 v1, v14, 3, v33
	ds_read_b64 v[10:11], v1 offset:8
; %bb.170:
	s_or_saveexec_b32 s1, s1
	v_mov_b32_e32 v13, v9
	v_mov_b32_e32 v12, v8
	s_xor_b32 exec_lo, exec_lo, s1
	s_cbranch_execz .LBB188_172
; %bb.171:
	v_lshl_add_u32 v1, v0, 3, v33
	s_waitcnt lgkmcnt(0)
	v_mov_b32_e32 v11, v7
	v_mov_b32_e32 v10, v6
	ds_read_b64 v[12:13], v1 offset:8
.LBB188_172:
	s_or_b32 exec_lo, exec_lo, s1
	v_add_nc_u32_e32 v1, 1, v14
	v_add_nc_u32_e32 v15, 1, v0
	s_waitcnt lgkmcnt(0)
	v_cmp_lt_i64_e64 s1, v[12:13], v[10:11]
	v_cndmask_b32_e64 v1, v1, v14, s0
	v_cndmask_b32_e64 v0, v0, v15, s0
                                        ; implicit-def: $vgpr14_vgpr15
	v_cmp_le_i32_e64 s2, 0x100, v1
	v_cmp_gt_i32_e64 s3, 0x200, v0
	s_or_b32 s1, s2, s1
	s_and_b32 s1, s3, s1
	s_xor_b32 s2, s1, -1
	s_and_saveexec_b32 s3, s2
	s_xor_b32 s2, exec_lo, s3
; %bb.173:
	v_lshl_add_u32 v14, v1, 3, v33
	ds_read_b64 v[14:15], v14 offset:8
; %bb.174:
	s_or_saveexec_b32 s2, s2
	v_mov_b32_e32 v17, v13
	v_mov_b32_e32 v16, v12
	s_xor_b32 exec_lo, exec_lo, s2
	s_cbranch_execz .LBB188_176
; %bb.175:
	s_waitcnt lgkmcnt(0)
	v_lshl_add_u32 v14, v0, 3, v33
	ds_read_b64 v[16:17], v14 offset:8
	v_mov_b32_e32 v15, v11
	v_mov_b32_e32 v14, v10
.LBB188_176:
	s_or_b32 exec_lo, exec_lo, s2
	v_add_nc_u32_e32 v18, 1, v1
	v_add_nc_u32_e32 v19, 1, v0
	s_waitcnt lgkmcnt(0)
	v_cmp_lt_i64_e64 s2, v[16:17], v[14:15]
	v_cndmask_b32_e64 v1, v18, v1, s1
	v_cndmask_b32_e64 v0, v0, v19, s1
                                        ; implicit-def: $vgpr18_vgpr19
	v_cmp_le_i32_e64 s3, 0x100, v1
	v_cmp_gt_i32_e64 s4, 0x200, v0
	s_or_b32 s2, s3, s2
	s_and_b32 s2, s4, s2
	s_xor_b32 s3, s2, -1
	s_and_saveexec_b32 s4, s3
	s_xor_b32 s3, exec_lo, s4
; %bb.177:
	v_lshl_add_u32 v18, v1, 3, v33
	ds_read_b64 v[18:19], v18 offset:8
; %bb.178:
	s_or_saveexec_b32 s3, s3
	v_mov_b32_e32 v21, v17
	v_mov_b32_e32 v20, v16
	s_xor_b32 exec_lo, exec_lo, s3
	s_cbranch_execz .LBB188_180
; %bb.179:
	s_waitcnt lgkmcnt(0)
	v_lshl_add_u32 v18, v0, 3, v33
	ds_read_b64 v[20:21], v18 offset:8
	v_mov_b32_e32 v19, v15
	v_mov_b32_e32 v18, v14
.LBB188_180:
	s_or_b32 exec_lo, exec_lo, s3
	v_add_nc_u32_e32 v22, 1, v1
	v_add_nc_u32_e32 v23, 1, v0
	s_waitcnt lgkmcnt(0)
	v_cmp_lt_i64_e64 s3, v[20:21], v[18:19]
	v_cndmask_b32_e64 v1, v22, v1, s2
	v_cndmask_b32_e64 v0, v0, v23, s2
                                        ; implicit-def: $vgpr22_vgpr23
	v_cmp_le_i32_e64 s4, 0x100, v1
	v_cmp_gt_i32_e64 s5, 0x200, v0
	s_or_b32 s3, s4, s3
	s_and_b32 s3, s5, s3
	s_xor_b32 s4, s3, -1
	s_and_saveexec_b32 s5, s4
	s_xor_b32 s4, exec_lo, s5
; %bb.181:
	v_lshl_add_u32 v22, v1, 3, v33
	ds_read_b64 v[22:23], v22 offset:8
; %bb.182:
	s_or_saveexec_b32 s4, s4
	v_mov_b32_e32 v25, v21
	v_mov_b32_e32 v24, v20
	s_xor_b32 exec_lo, exec_lo, s4
	s_cbranch_execz .LBB188_184
; %bb.183:
	s_waitcnt lgkmcnt(0)
	v_lshl_add_u32 v22, v0, 3, v33
	ds_read_b64 v[24:25], v22 offset:8
	v_mov_b32_e32 v23, v19
	v_mov_b32_e32 v22, v18
.LBB188_184:
	s_or_b32 exec_lo, exec_lo, s4
	v_add_nc_u32_e32 v26, 1, v1
	v_add_nc_u32_e32 v27, 1, v0
	s_waitcnt lgkmcnt(0)
	v_cmp_lt_i64_e64 s4, v[24:25], v[22:23]
                                        ; implicit-def: $vgpr28_vgpr29
	v_cndmask_b32_e64 v1, v26, v1, s3
	v_cndmask_b32_e64 v0, v0, v27, s3
	v_cmp_le_i32_e64 s5, 0x100, v1
	v_cmp_gt_i32_e64 s6, 0x200, v0
	s_or_b32 s4, s5, s4
	s_and_b32 s4, s6, s4
	s_xor_b32 s5, s4, -1
	s_and_saveexec_b32 s6, s5
	s_xor_b32 s5, exec_lo, s6
; %bb.185:
	v_lshl_add_u32 v26, v1, 3, v33
	ds_read_b64 v[28:29], v26 offset:8
; %bb.186:
	s_or_saveexec_b32 s5, s5
	v_mov_b32_e32 v27, v25
	v_mov_b32_e32 v26, v24
	s_xor_b32 exec_lo, exec_lo, s5
	s_cbranch_execz .LBB188_188
; %bb.187:
	v_lshl_add_u32 v26, v0, 3, v33
	s_waitcnt lgkmcnt(0)
	v_mov_b32_e32 v29, v23
	v_mov_b32_e32 v28, v22
	ds_read_b64 v[26:27], v26 offset:8
.LBB188_188:
	s_or_b32 exec_lo, exec_lo, s5
	v_add_nc_u32_e32 v30, 1, v1
	v_add_nc_u32_e32 v31, 1, v0
	s_waitcnt lgkmcnt(0)
	v_cmp_ge_i64_e64 s5, v[26:27], v[28:29]
                                        ; implicit-def: $vgpr35
	v_cndmask_b32_e64 v36, v30, v1, s4
	v_cndmask_b32_e64 v34, v0, v31, s4
                                        ; implicit-def: $vgpr30_vgpr31
	v_cmp_gt_i32_e64 s6, 0x100, v36
	v_cmp_le_i32_e64 s7, 0x200, v34
	s_and_b32 s5, s6, s5
	s_or_b32 s5, s7, s5
	s_and_saveexec_b32 s6, s5
	s_xor_b32 s5, exec_lo, s6
; %bb.189:
	v_lshl_add_u32 v0, v36, 3, v33
	v_add_nc_u32_e32 v35, 1, v36
                                        ; implicit-def: $vgpr33
                                        ; implicit-def: $vgpr36
	ds_read_b64 v[30:31], v0 offset:8
; %bb.190:
	s_or_saveexec_b32 s5, s5
	v_mov_b32_e32 v0, v28
	v_mov_b32_e32 v1, v29
	s_xor_b32 exec_lo, exec_lo, s5
	s_cbranch_execz .LBB188_192
; %bb.191:
	v_lshl_add_u32 v0, v34, 3, v33
	s_waitcnt lgkmcnt(0)
	v_mov_b32_e32 v31, v29
	v_add_nc_u32_e32 v34, 1, v34
	v_mov_b32_e32 v35, v36
	v_mov_b32_e32 v30, v28
	ds_read_b64 v[37:38], v0 offset:8
	v_mov_b32_e32 v0, v26
	v_mov_b32_e32 v1, v27
	s_waitcnt lgkmcnt(0)
	v_mov_b32_e32 v26, v37
	v_mov_b32_e32 v27, v38
.LBB188_192:
	s_or_b32 exec_lo, exec_lo, s5
	v_cndmask_b32_e64 v13, v11, v13, s1
	v_cndmask_b32_e64 v12, v10, v12, s1
	s_waitcnt lgkmcnt(0)
	v_cmp_lt_i64_e64 s1, v[26:27], v[30:31]
	v_cndmask_b32_e64 v15, v15, v17, s2
	v_cndmask_b32_e64 v14, v14, v16, s2
	v_cmp_le_i32_e64 s2, 0x100, v35
	v_cndmask_b32_e64 v21, v19, v21, s3
	v_cndmask_b32_e64 v20, v18, v20, s3
	v_cmp_gt_i32_e64 s3, 0x200, v34
	v_cndmask_b32_e64 v7, v7, v9, s0
	v_cndmask_b32_e64 v6, v6, v8, s0
	s_or_b32 s0, s2, s1
	v_cndmask_b32_e32 v5, v3, v5, vcc_lo
	v_cndmask_b32_e32 v4, v2, v4, vcc_lo
	v_lshlrev_b32_e32 v8, 3, v32
	s_and_b32 vcc_lo, s3, s0
	v_cndmask_b32_e64 v23, v23, v25, s4
	v_cndmask_b32_e64 v22, v22, v24, s4
	s_add_u32 s0, s10, s12
	v_cndmask_b32_e32 v3, v31, v27, vcc_lo
	v_cndmask_b32_e32 v2, v30, v26, vcc_lo
	s_addc_u32 s1, s11, s13
	global_store_dwordx4 v8, v[4:7], s[0:1]
	global_store_dwordx4 v8, v[12:15], s[0:1] offset:16
	global_store_dwordx4 v8, v[20:23], s[0:1] offset:32
	;; [unrolled: 1-line block ×3, first 2 shown]
	s_endpgm
	.section	.rodata,"a",@progbits
	.p2align	6, 0x0
	.amdhsa_kernel _Z9sort_keysILj256ELj64ELj8ExN10test_utils4lessEEvPKT2_PS2_T3_
		.amdhsa_group_segment_fixed_size 16416
		.amdhsa_private_segment_fixed_size 0
		.amdhsa_kernarg_size 20
		.amdhsa_user_sgpr_count 6
		.amdhsa_user_sgpr_private_segment_buffer 1
		.amdhsa_user_sgpr_dispatch_ptr 0
		.amdhsa_user_sgpr_queue_ptr 0
		.amdhsa_user_sgpr_kernarg_segment_ptr 1
		.amdhsa_user_sgpr_dispatch_id 0
		.amdhsa_user_sgpr_flat_scratch_init 0
		.amdhsa_user_sgpr_private_segment_size 0
		.amdhsa_wavefront_size32 1
		.amdhsa_uses_dynamic_stack 0
		.amdhsa_system_sgpr_private_segment_wavefront_offset 0
		.amdhsa_system_sgpr_workgroup_id_x 1
		.amdhsa_system_sgpr_workgroup_id_y 0
		.amdhsa_system_sgpr_workgroup_id_z 0
		.amdhsa_system_sgpr_workgroup_info 0
		.amdhsa_system_vgpr_workitem_id 0
		.amdhsa_next_free_vgpr 42
		.amdhsa_next_free_sgpr 14
		.amdhsa_reserve_vcc 1
		.amdhsa_reserve_flat_scratch 0
		.amdhsa_float_round_mode_32 0
		.amdhsa_float_round_mode_16_64 0
		.amdhsa_float_denorm_mode_32 3
		.amdhsa_float_denorm_mode_16_64 3
		.amdhsa_dx10_clamp 1
		.amdhsa_ieee_mode 1
		.amdhsa_fp16_overflow 0
		.amdhsa_workgroup_processor_mode 1
		.amdhsa_memory_ordered 1
		.amdhsa_forward_progress 1
		.amdhsa_shared_vgpr_count 0
		.amdhsa_exception_fp_ieee_invalid_op 0
		.amdhsa_exception_fp_denorm_src 0
		.amdhsa_exception_fp_ieee_div_zero 0
		.amdhsa_exception_fp_ieee_overflow 0
		.amdhsa_exception_fp_ieee_underflow 0
		.amdhsa_exception_fp_ieee_inexact 0
		.amdhsa_exception_int_div_zero 0
	.end_amdhsa_kernel
	.section	.text._Z9sort_keysILj256ELj64ELj8ExN10test_utils4lessEEvPKT2_PS2_T3_,"axG",@progbits,_Z9sort_keysILj256ELj64ELj8ExN10test_utils4lessEEvPKT2_PS2_T3_,comdat
.Lfunc_end188:
	.size	_Z9sort_keysILj256ELj64ELj8ExN10test_utils4lessEEvPKT2_PS2_T3_, .Lfunc_end188-_Z9sort_keysILj256ELj64ELj8ExN10test_utils4lessEEvPKT2_PS2_T3_
                                        ; -- End function
	.set _Z9sort_keysILj256ELj64ELj8ExN10test_utils4lessEEvPKT2_PS2_T3_.num_vgpr, 42
	.set _Z9sort_keysILj256ELj64ELj8ExN10test_utils4lessEEvPKT2_PS2_T3_.num_agpr, 0
	.set _Z9sort_keysILj256ELj64ELj8ExN10test_utils4lessEEvPKT2_PS2_T3_.numbered_sgpr, 14
	.set _Z9sort_keysILj256ELj64ELj8ExN10test_utils4lessEEvPKT2_PS2_T3_.num_named_barrier, 0
	.set _Z9sort_keysILj256ELj64ELj8ExN10test_utils4lessEEvPKT2_PS2_T3_.private_seg_size, 0
	.set _Z9sort_keysILj256ELj64ELj8ExN10test_utils4lessEEvPKT2_PS2_T3_.uses_vcc, 1
	.set _Z9sort_keysILj256ELj64ELj8ExN10test_utils4lessEEvPKT2_PS2_T3_.uses_flat_scratch, 0
	.set _Z9sort_keysILj256ELj64ELj8ExN10test_utils4lessEEvPKT2_PS2_T3_.has_dyn_sized_stack, 0
	.set _Z9sort_keysILj256ELj64ELj8ExN10test_utils4lessEEvPKT2_PS2_T3_.has_recursion, 0
	.set _Z9sort_keysILj256ELj64ELj8ExN10test_utils4lessEEvPKT2_PS2_T3_.has_indirect_call, 0
	.section	.AMDGPU.csdata,"",@progbits
; Kernel info:
; codeLenInByte = 9848
; TotalNumSgprs: 16
; NumVgprs: 42
; ScratchSize: 0
; MemoryBound: 0
; FloatMode: 240
; IeeeMode: 1
; LDSByteSize: 16416 bytes/workgroup (compile time only)
; SGPRBlocks: 0
; VGPRBlocks: 5
; NumSGPRsForWavesPerEU: 16
; NumVGPRsForWavesPerEU: 42
; Occupancy: 14
; WaveLimiterHint : 0
; COMPUTE_PGM_RSRC2:SCRATCH_EN: 0
; COMPUTE_PGM_RSRC2:USER_SGPR: 6
; COMPUTE_PGM_RSRC2:TRAP_HANDLER: 0
; COMPUTE_PGM_RSRC2:TGID_X_EN: 1
; COMPUTE_PGM_RSRC2:TGID_Y_EN: 0
; COMPUTE_PGM_RSRC2:TGID_Z_EN: 0
; COMPUTE_PGM_RSRC2:TIDIG_COMP_CNT: 0
	.section	.text._Z10sort_pairsILj256ELj64ELj8ExN10test_utils4lessEEvPKT2_PS2_T3_,"axG",@progbits,_Z10sort_pairsILj256ELj64ELj8ExN10test_utils4lessEEvPKT2_PS2_T3_,comdat
	.protected	_Z10sort_pairsILj256ELj64ELj8ExN10test_utils4lessEEvPKT2_PS2_T3_ ; -- Begin function _Z10sort_pairsILj256ELj64ELj8ExN10test_utils4lessEEvPKT2_PS2_T3_
	.globl	_Z10sort_pairsILj256ELj64ELj8ExN10test_utils4lessEEvPKT2_PS2_T3_
	.p2align	8
	.type	_Z10sort_pairsILj256ELj64ELj8ExN10test_utils4lessEEvPKT2_PS2_T3_,@function
_Z10sort_pairsILj256ELj64ELj8ExN10test_utils4lessEEvPKT2_PS2_T3_: ; @_Z10sort_pairsILj256ELj64ELj8ExN10test_utils4lessEEvPKT2_PS2_T3_
; %bb.0:
	s_load_dwordx4 s[8:11], s[4:5], 0x0
	s_mov_b32 s1, 0
	s_lshl_b32 s0, s6, 11
	v_lshlrev_b32_e32 v9, 6, v0
	s_lshl_b64 s[12:13], s[0:1], 3
	s_waitcnt lgkmcnt(0)
	s_add_u32 s0, s8, s12
	s_addc_u32 s1, s9, s13
	s_clause 0x3
	global_load_dwordx4 v[1:4], v9, s[0:1]
	global_load_dwordx4 v[13:16], v9, s[0:1] offset:16
	global_load_dwordx4 v[5:8], v9, s[0:1] offset:48
	;; [unrolled: 1-line block ×3, first 2 shown]
	s_mov_b32 s0, exec_lo
	s_waitcnt vmcnt(3)
	v_add_co_u32 v23, vcc_lo, v3, 1
	v_add_co_ci_u32_e64 v24, null, 0, v4, vcc_lo
	v_add_co_u32 v17, vcc_lo, v1, 1
	v_mov_b32_e32 v20, v4
	v_mov_b32_e32 v21, v23
	v_add_co_ci_u32_e64 v18, null, 0, v2, vcc_lo
	v_mov_b32_e32 v19, v3
	v_mov_b32_e32 v22, v24
	v_cmpx_lt_i64_e64 v[3:4], v[1:2]
	s_cbranch_execz .LBB189_2
; %bb.1:
	v_mov_b32_e32 v20, v2
	v_mov_b32_e32 v22, v18
	;; [unrolled: 1-line block ×8, first 2 shown]
.LBB189_2:
	s_or_b32 exec_lo, exec_lo, s0
	s_waitcnt vmcnt(2)
	v_add_co_u32 v25, vcc_lo, v15, 1
	v_add_co_ci_u32_e64 v26, null, 0, v16, vcc_lo
	v_add_co_u32 v31, vcc_lo, v13, 1
	v_mov_b32_e32 v3, v15
	v_mov_b32_e32 v23, v25
	v_add_co_ci_u32_e64 v32, null, 0, v14, vcc_lo
	v_mov_b32_e32 v4, v16
	v_mov_b32_e32 v24, v26
	s_mov_b32 s0, exec_lo
	v_cmpx_lt_i64_e64 v[15:16], v[13:14]
	s_cbranch_execz .LBB189_4
; %bb.3:
	v_mov_b32_e32 v3, v13
	v_mov_b32_e32 v23, v31
	;; [unrolled: 1-line block ×8, first 2 shown]
.LBB189_4:
	s_or_b32 exec_lo, exec_lo, s0
	s_waitcnt vmcnt(0)
	v_add_co_u32 v27, vcc_lo, v11, 1
	v_add_co_ci_u32_e64 v28, null, 0, v12, vcc_lo
	v_add_co_u32 v35, vcc_lo, v9, 1
	v_mov_b32_e32 v16, v12
	v_mov_b32_e32 v25, v27
	v_add_co_ci_u32_e64 v36, null, 0, v10, vcc_lo
	v_mov_b32_e32 v15, v11
	v_mov_b32_e32 v26, v28
	s_mov_b32 s0, exec_lo
	v_cmpx_lt_i64_e64 v[11:12], v[9:10]
	s_cbranch_execz .LBB189_6
; %bb.5:
	v_mov_b32_e32 v16, v10
	v_mov_b32_e32 v25, v35
	;; [unrolled: 1-line block ×8, first 2 shown]
.LBB189_6:
	s_or_b32 exec_lo, exec_lo, s0
	v_add_co_u32 v29, vcc_lo, v7, 1
	v_add_co_ci_u32_e64 v30, null, 0, v8, vcc_lo
	v_add_co_u32 v37, vcc_lo, v5, 1
	v_mov_b32_e32 v12, v8
	v_mov_b32_e32 v27, v29
	v_add_co_ci_u32_e64 v38, null, 0, v6, vcc_lo
	v_mov_b32_e32 v11, v7
	v_mov_b32_e32 v28, v30
	s_mov_b32 s0, exec_lo
	v_cmpx_lt_i64_e64 v[7:8], v[5:6]
	s_cbranch_execz .LBB189_8
; %bb.7:
	v_mov_b32_e32 v12, v6
	v_mov_b32_e32 v27, v37
	;; [unrolled: 1-line block ×8, first 2 shown]
.LBB189_8:
	s_or_b32 exec_lo, exec_lo, s0
	v_mov_b32_e32 v7, v13
	v_mov_b32_e32 v29, v31
	;; [unrolled: 1-line block ×4, first 2 shown]
	s_mov_b32 s0, exec_lo
	v_cmpx_lt_i64_e64 v[13:14], v[19:20]
	s_xor_b32 s0, exec_lo, s0
	s_cbranch_execz .LBB189_10
; %bb.9:
	v_mov_b32_e32 v7, v19
	v_mov_b32_e32 v30, v22
	v_mov_b32_e32 v8, v20
	v_mov_b32_e32 v20, v14
	v_mov_b32_e32 v29, v21
	v_mov_b32_e32 v21, v31
	v_mov_b32_e32 v19, v13
	v_mov_b32_e32 v22, v32
.LBB189_10:
	s_or_b32 exec_lo, exec_lo, s0
	v_mov_b32_e32 v14, v10
	v_mov_b32_e32 v33, v35
	v_mov_b32_e32 v13, v9
	v_mov_b32_e32 v34, v36
	s_mov_b32 s0, exec_lo
	v_cmpx_lt_i64_e64 v[9:10], v[3:4]
	s_cbranch_execz .LBB189_12
; %bb.11:
	v_mov_b32_e32 v14, v4
	v_mov_b32_e32 v34, v24
	v_mov_b32_e32 v13, v3
	v_mov_b32_e32 v3, v9
	v_mov_b32_e32 v33, v23
	v_mov_b32_e32 v23, v35
	v_mov_b32_e32 v4, v10
	v_mov_b32_e32 v24, v36
.LBB189_12:
	s_or_b32 exec_lo, exec_lo, s0
	v_mov_b32_e32 v10, v6
	v_mov_b32_e32 v35, v37
	v_mov_b32_e32 v9, v5
	v_mov_b32_e32 v36, v38
	s_mov_b32 s0, exec_lo
	v_cmpx_lt_i64_e64 v[5:6], v[15:16]
	;; [unrolled: 18-line block ×23, first 2 shown]
	s_cbranch_execz .LBB189_56
; %bb.55:
	v_mov_b32_e32 v32, v24
	v_mov_b32_e32 v16, v8
	;; [unrolled: 1-line block ×8, first 2 shown]
.LBB189_56:
	s_or_b32 exec_lo, exec_lo, s0
	v_mbcnt_lo_u32_b32 v30, -1, 0
	v_lshlrev_b32_e32 v49, 3, v0
	v_lshrrev_b32_e32 v36, 6, v0
	; wave barrier
	v_lshlrev_b32_e32 v52, 3, v30
	v_lshlrev_b32_e32 v30, 6, v30
	v_mul_u32_u24_e32 v50, 0x1008, v36
	s_mov_b32 s0, 0
	s_mov_b32 s1, exec_lo
	v_and_b32_e32 v29, 0xf0, v52
	v_and_b32_e32 v0, 8, v52
	v_mad_u32_u24 v51, 0x1008, v36, v30
	ds_write2_b64 v51, v[1:2], v[19:20] offset1:1
	ds_write2_b64 v51, v[33:34], v[21:22] offset0:2 offset1:3
	v_or_b32_e32 v54, 8, v29
	v_add_nc_u32_e32 v53, 16, v29
	v_lshlrev_b32_e32 v39, 3, v29
	ds_write2_b64 v51, v[27:28], v[23:24] offset0:4 offset1:5
	ds_write2_b64 v51, v[31:32], v[25:26] offset0:6 offset1:7
	v_sub_nc_u32_e32 v38, v54, v29
	v_sub_nc_u32_e32 v35, v53, v54
	v_mad_u32_u24 v1, 0x1008, v36, v39
	; wave barrier
	v_sub_nc_u32_e32 v37, v0, v35
	v_cmp_ge_i32_e32 vcc_lo, v0, v35
	v_min_i32_e32 v35, v0, v38
	v_cndmask_b32_e32 v30, 0, v37, vcc_lo
	v_cmpx_lt_i32_e64 v30, v35
	s_cbranch_execz .LBB189_60
; %bb.57:
	v_lshlrev_b32_e32 v2, 3, v54
	v_lshlrev_b32_e32 v19, 3, v0
	v_add3_u32 v2, v50, v2, v19
	.p2align	6
.LBB189_58:                             ; =>This Inner Loop Header: Depth=1
	v_sub_nc_u32_e32 v19, v35, v30
	v_lshrrev_b32_e32 v19, 1, v19
	v_add_nc_u32_e32 v23, v19, v30
	v_not_b32_e32 v19, v23
	v_lshl_add_u32 v20, v23, 3, v1
	v_lshl_add_u32 v21, v19, 3, v2
	ds_read_b64 v[19:20], v20
	ds_read_b64 v[21:22], v21
	s_waitcnt lgkmcnt(0)
	v_cmp_lt_i64_e32 vcc_lo, v[21:22], v[19:20]
	v_add_nc_u32_e32 v19, 1, v23
	v_cndmask_b32_e32 v35, v35, v23, vcc_lo
	v_cndmask_b32_e32 v30, v19, v30, vcc_lo
	v_cmp_ge_i32_e32 vcc_lo, v30, v35
	s_or_b32 s0, vcc_lo, s0
	s_andn2_b32 exec_lo, exec_lo, s0
	s_cbranch_execnz .LBB189_58
; %bb.59:
	s_or_b32 exec_lo, exec_lo, s0
.LBB189_60:
	s_or_b32 exec_lo, exec_lo, s1
	v_add_nc_u32_e32 v0, v54, v0
	v_lshl_add_u32 v23, v30, 3, v1
	v_add_nc_u32_e32 v55, v30, v29
	v_sub_nc_u32_e32 v2, v0, v30
                                        ; implicit-def: $vgpr0_vgpr1
	v_cmp_le_i32_e64 s0, v54, v55
	v_lshl_add_u32 v25, v2, 3, v50
	v_cmp_gt_i32_e64 s1, v53, v2
	ds_read_b64 v[19:20], v23
	ds_read_b64 v[21:22], v25
	s_waitcnt lgkmcnt(0)
	v_cmp_lt_i64_e32 vcc_lo, v[21:22], v[19:20]
	s_or_b32 s0, s0, vcc_lo
	s_and_b32 vcc_lo, s1, s0
	s_xor_b32 s0, vcc_lo, -1
	s_and_saveexec_b32 s1, s0
	s_xor_b32 s0, exec_lo, s1
; %bb.61:
	ds_read_b64 v[0:1], v23 offset:8
                                        ; implicit-def: $vgpr25
; %bb.62:
	s_or_saveexec_b32 s0, s0
	v_mov_b32_e32 v24, v22
	v_mov_b32_e32 v23, v21
	s_xor_b32 exec_lo, exec_lo, s0
	s_cbranch_execz .LBB189_64
; %bb.63:
	ds_read_b64 v[23:24], v25 offset:8
	s_waitcnt lgkmcnt(1)
	v_mov_b32_e32 v0, v19
	v_mov_b32_e32 v1, v20
.LBB189_64:
	s_or_b32 exec_lo, exec_lo, s0
	v_add_nc_u32_e32 v25, 1, v55
	v_add_nc_u32_e32 v26, 1, v2
	s_waitcnt lgkmcnt(0)
	v_cmp_lt_i64_e64 s0, v[23:24], v[0:1]
	v_cndmask_b32_e32 v56, v25, v55, vcc_lo
	v_cndmask_b32_e32 v57, v2, v26, vcc_lo
                                        ; implicit-def: $vgpr25_vgpr26
	v_cmp_ge_i32_e64 s1, v56, v54
	v_cmp_lt_i32_e64 s2, v57, v53
	s_or_b32 s0, s1, s0
	s_and_b32 s0, s2, s0
	s_xor_b32 s1, s0, -1
	s_and_saveexec_b32 s2, s1
	s_xor_b32 s1, exec_lo, s2
; %bb.65:
	v_lshl_add_u32 v25, v56, 3, v50
	ds_read_b64 v[25:26], v25 offset:8
; %bb.66:
	s_or_saveexec_b32 s1, s1
	v_mov_b32_e32 v28, v24
	v_mov_b32_e32 v27, v23
	s_xor_b32 exec_lo, exec_lo, s1
	s_cbranch_execz .LBB189_68
; %bb.67:
	s_waitcnt lgkmcnt(0)
	v_lshl_add_u32 v25, v57, 3, v50
	ds_read_b64 v[27:28], v25 offset:8
	v_mov_b32_e32 v26, v1
	v_mov_b32_e32 v25, v0
.LBB189_68:
	s_or_b32 exec_lo, exec_lo, s1
	v_add_nc_u32_e32 v29, 1, v56
	v_add_nc_u32_e32 v30, 1, v57
	s_waitcnt lgkmcnt(0)
	v_cmp_lt_i64_e64 s1, v[27:28], v[25:26]
	v_cndmask_b32_e64 v58, v29, v56, s0
	v_cndmask_b32_e64 v59, v57, v30, s0
                                        ; implicit-def: $vgpr29_vgpr30
	v_cmp_ge_i32_e64 s2, v58, v54
	v_cmp_lt_i32_e64 s3, v59, v53
	s_or_b32 s1, s2, s1
	s_and_b32 s1, s3, s1
	s_xor_b32 s2, s1, -1
	s_and_saveexec_b32 s3, s2
	s_xor_b32 s2, exec_lo, s3
; %bb.69:
	v_lshl_add_u32 v29, v58, 3, v50
	ds_read_b64 v[29:30], v29 offset:8
; %bb.70:
	s_or_saveexec_b32 s2, s2
	v_mov_b32_e32 v32, v28
	v_mov_b32_e32 v31, v27
	s_xor_b32 exec_lo, exec_lo, s2
	s_cbranch_execz .LBB189_72
; %bb.71:
	s_waitcnt lgkmcnt(0)
	v_lshl_add_u32 v29, v59, 3, v50
	ds_read_b64 v[31:32], v29 offset:8
	v_mov_b32_e32 v30, v26
	v_mov_b32_e32 v29, v25
.LBB189_72:
	s_or_b32 exec_lo, exec_lo, s2
	v_add_nc_u32_e32 v33, 1, v58
	v_add_nc_u32_e32 v34, 1, v59
	s_waitcnt lgkmcnt(0)
	v_cmp_lt_i64_e64 s2, v[31:32], v[29:30]
	v_cndmask_b32_e64 v60, v33, v58, s1
	v_cndmask_b32_e64 v61, v59, v34, s1
                                        ; implicit-def: $vgpr33_vgpr34
	v_cmp_ge_i32_e64 s3, v60, v54
	v_cmp_lt_i32_e64 s4, v61, v53
	s_or_b32 s2, s3, s2
	s_and_b32 s2, s4, s2
	s_xor_b32 s3, s2, -1
	s_and_saveexec_b32 s4, s3
	s_xor_b32 s3, exec_lo, s4
; %bb.73:
	v_lshl_add_u32 v33, v60, 3, v50
	ds_read_b64 v[33:34], v33 offset:8
; %bb.74:
	s_or_saveexec_b32 s3, s3
	v_mov_b32_e32 v36, v32
	v_mov_b32_e32 v35, v31
	s_xor_b32 exec_lo, exec_lo, s3
	s_cbranch_execz .LBB189_76
; %bb.75:
	s_waitcnt lgkmcnt(0)
	v_lshl_add_u32 v33, v61, 3, v50
	ds_read_b64 v[35:36], v33 offset:8
	v_mov_b32_e32 v34, v30
	v_mov_b32_e32 v33, v29
.LBB189_76:
	s_or_b32 exec_lo, exec_lo, s3
	v_add_nc_u32_e32 v37, 1, v60
	v_add_nc_u32_e32 v38, 1, v61
	s_waitcnt lgkmcnt(0)
	v_cmp_lt_i64_e64 s3, v[35:36], v[33:34]
                                        ; implicit-def: $vgpr41_vgpr42
	v_cndmask_b32_e64 v62, v37, v60, s2
	v_cndmask_b32_e64 v63, v61, v38, s2
	v_cmp_ge_i32_e64 s4, v62, v54
	v_cmp_lt_i32_e64 s5, v63, v53
	s_or_b32 s3, s4, s3
	s_and_b32 s3, s5, s3
	s_xor_b32 s4, s3, -1
	s_and_saveexec_b32 s5, s4
	s_xor_b32 s4, exec_lo, s5
; %bb.77:
	v_lshl_add_u32 v37, v62, 3, v50
	ds_read_b64 v[41:42], v37 offset:8
; %bb.78:
	s_or_saveexec_b32 s4, s4
	v_mov_b32_e32 v44, v36
	v_mov_b32_e32 v43, v35
	s_xor_b32 exec_lo, exec_lo, s4
	s_cbranch_execz .LBB189_80
; %bb.79:
	v_lshl_add_u32 v37, v63, 3, v50
	s_waitcnt lgkmcnt(0)
	v_mov_b32_e32 v42, v34
	v_mov_b32_e32 v41, v33
	ds_read_b64 v[43:44], v37 offset:8
.LBB189_80:
	s_or_b32 exec_lo, exec_lo, s4
	v_add_nc_u32_e32 v37, 1, v62
	v_add_nc_u32_e32 v38, 1, v63
	s_waitcnt lgkmcnt(0)
	v_cmp_lt_i64_e64 s4, v[43:44], v[41:42]
                                        ; implicit-def: $vgpr45_vgpr46
	v_cndmask_b32_e64 v64, v37, v62, s3
	v_cndmask_b32_e64 v65, v63, v38, s3
	v_cmp_ge_i32_e64 s5, v64, v54
	v_cmp_lt_i32_e64 s6, v65, v53
	s_or_b32 s4, s5, s4
	s_and_b32 s4, s6, s4
	s_xor_b32 s5, s4, -1
	s_and_saveexec_b32 s6, s5
	s_xor_b32 s5, exec_lo, s6
; %bb.81:
	v_lshl_add_u32 v37, v64, 3, v50
	ds_read_b64 v[45:46], v37 offset:8
; %bb.82:
	s_or_saveexec_b32 s5, s5
	v_mov_b32_e32 v48, v44
	v_mov_b32_e32 v47, v43
	s_xor_b32 exec_lo, exec_lo, s5
	s_cbranch_execz .LBB189_84
; %bb.83:
	v_lshl_add_u32 v37, v65, 3, v50
	s_waitcnt lgkmcnt(0)
	v_mov_b32_e32 v46, v42
	v_mov_b32_e32 v45, v41
	ds_read_b64 v[47:48], v37 offset:8
.LBB189_84:
	s_or_b32 exec_lo, exec_lo, s5
	v_add_nc_u32_e32 v37, 1, v64
	v_add_nc_u32_e32 v38, 1, v65
	s_waitcnt lgkmcnt(0)
	v_cmp_lt_i64_e64 s5, v[47:48], v[45:46]
	v_cndmask_b32_e64 v66, v37, v64, s4
	v_cndmask_b32_e64 v67, v65, v38, s4
                                        ; implicit-def: $vgpr37_vgpr38
	v_cmp_ge_i32_e64 s6, v66, v54
	v_cmp_lt_i32_e64 s7, v67, v53
	s_or_b32 s5, s6, s5
	s_and_b32 s5, s7, s5
	s_xor_b32 s6, s5, -1
	s_and_saveexec_b32 s7, s6
	s_xor_b32 s6, exec_lo, s7
; %bb.85:
	v_lshl_add_u32 v37, v66, 3, v50
	ds_read_b64 v[37:38], v37 offset:8
; %bb.86:
	s_or_saveexec_b32 s6, s6
	v_mov_b32_e32 v39, v47
	v_mov_b32_e32 v40, v48
	s_xor_b32 exec_lo, exec_lo, s6
	s_cbranch_execz .LBB189_88
; %bb.87:
	s_waitcnt lgkmcnt(0)
	v_lshl_add_u32 v37, v67, 3, v50
	ds_read_b64 v[39:40], v37 offset:8
	v_mov_b32_e32 v37, v45
	v_mov_b32_e32 v38, v46
.LBB189_88:
	s_or_b32 exec_lo, exec_lo, s6
	v_add_nc_u32_e32 v69, 1, v66
	v_add_nc_u32_e32 v68, 1, v67
	v_cndmask_b32_e64 v46, v46, v48, s5
	v_cndmask_b32_e64 v45, v45, v47, s5
	;; [unrolled: 1-line block ×8, first 2 shown]
	s_waitcnt lgkmcnt(0)
	v_cmp_lt_i64_e64 s1, v[39:40], v[37:38]
	v_cndmask_b32_e64 v30, v30, v32, s2
	v_cndmask_b32_e64 v29, v29, v31, s2
	;; [unrolled: 1-line block ×3, first 2 shown]
	v_cmp_ge_i32_e64 s2, v48, v54
	v_cndmask_b32_e64 v33, v33, v35, s3
	v_cndmask_b32_e64 v35, v62, v63, s3
	v_cmp_lt_i32_e64 s3, v47, v53
	v_cndmask_b32_e64 v28, v1, v24, s0
	v_cndmask_b32_e64 v27, v0, v23, s0
	;; [unrolled: 1-line block ×3, first 2 shown]
	s_or_b32 s0, s2, s1
	v_cndmask_b32_e32 v1, v55, v2, vcc_lo
	v_cndmask_b32_e64 v41, v41, v43, s4
	v_cndmask_b32_e64 v43, v64, v65, s4
	s_and_b32 s0, s3, s0
	v_cndmask_b32_e64 v66, v66, v67, s5
	v_cndmask_b32_e64 v24, v48, v47, s0
	; wave barrier
	ds_write2_b64 v51, v[17:18], v[3:4] offset1:1
	ds_write2_b64 v51, v[11:12], v[5:6] offset0:2 offset1:3
	ds_write2_b64 v51, v[13:14], v[7:8] offset0:4 offset1:5
	;; [unrolled: 1-line block ×3, first 2 shown]
	v_lshl_add_u32 v1, v1, 3, v50
	v_lshl_add_u32 v6, v35, 3, v50
	;; [unrolled: 1-line block ×5, first 2 shown]
	v_and_b32_e32 v23, 0xe0, v52
	v_lshl_add_u32 v10, v66, 3, v50
	v_lshl_add_u32 v3, v31, 3, v50
	v_lshl_add_u32 v11, v24, 3, v50
	; wave barrier
	ds_read_b64 v[4:5], v1
	ds_read_b64 v[8:9], v0
	;; [unrolled: 1-line block ×8, first 2 shown]
	v_or_b32_e32 v53, 16, v23
	v_add_nc_u32_e32 v48, 32, v23
	v_and_b32_e32 v16, 24, v52
	v_cndmask_b32_e32 v22, v20, v22, vcc_lo
	v_cndmask_b32_e32 v21, v19, v21, vcc_lo
	v_sub_nc_u32_e32 v19, v53, v23
	v_sub_nc_u32_e32 v17, v48, v53
	v_cndmask_b32_e64 v32, v38, v40, s0
	v_cndmask_b32_e64 v31, v37, v39, s0
	;; [unrolled: 1-line block ×3, first 2 shown]
	s_mov_b32 s1, 0
	v_sub_nc_u32_e32 v18, v16, v17
	v_cmp_ge_i32_e32 vcc_lo, v16, v17
	v_lshl_add_u32 v17, v23, 3, v50
	s_mov_b32 s0, exec_lo
	; wave barrier
	v_cndmask_b32_e32 v20, 0, v18, vcc_lo
	v_min_i32_e32 v18, v16, v19
	ds_write2_b64 v51, v[21:22], v[27:28] offset1:1
	ds_write2_b64 v51, v[25:26], v[29:30] offset0:2 offset1:3
	ds_write2_b64 v51, v[33:34], v[41:42] offset0:4 offset1:5
	ds_write2_b64 v51, v[45:46], v[31:32] offset0:6 offset1:7
	; wave barrier
	v_cmpx_lt_i32_e64 v20, v18
	s_cbranch_execz .LBB189_92
; %bb.89:
	v_lshlrev_b32_e32 v19, 3, v53
	v_lshlrev_b32_e32 v21, 3, v16
	v_add3_u32 v19, v50, v19, v21
	.p2align	6
.LBB189_90:                             ; =>This Inner Loop Header: Depth=1
	v_sub_nc_u32_e32 v21, v18, v20
	v_lshrrev_b32_e32 v21, 1, v21
	v_add_nc_u32_e32 v26, v21, v20
	v_not_b32_e32 v21, v26
	v_lshl_add_u32 v22, v26, 3, v17
	v_lshl_add_u32 v24, v21, 3, v19
	ds_read_b64 v[21:22], v22
	ds_read_b64 v[24:25], v24
	s_waitcnt lgkmcnt(0)
	v_cmp_lt_i64_e32 vcc_lo, v[24:25], v[21:22]
	v_add_nc_u32_e32 v21, 1, v26
	v_cndmask_b32_e32 v18, v18, v26, vcc_lo
	v_cndmask_b32_e32 v20, v21, v20, vcc_lo
	v_cmp_ge_i32_e32 vcc_lo, v20, v18
	s_or_b32 s1, vcc_lo, s1
	s_andn2_b32 exec_lo, exec_lo, s1
	s_cbranch_execnz .LBB189_90
; %bb.91:
	s_or_b32 exec_lo, exec_lo, s1
.LBB189_92:
	s_or_b32 exec_lo, exec_lo, s0
	v_add_nc_u32_e32 v16, v53, v16
	v_lshl_add_u32 v22, v20, 3, v17
	v_add_nc_u32_e32 v55, v20, v23
	v_sub_nc_u32_e32 v54, v16, v20
                                        ; implicit-def: $vgpr20_vgpr21
	v_cmp_le_i32_e64 s0, v53, v55
	v_lshl_add_u32 v24, v54, 3, v50
	v_cmp_gt_i32_e64 s1, v48, v54
	ds_read_b64 v[16:17], v22
	ds_read_b64 v[18:19], v24
	s_waitcnt lgkmcnt(0)
	v_cmp_lt_i64_e32 vcc_lo, v[18:19], v[16:17]
	s_or_b32 s0, s0, vcc_lo
	s_and_b32 vcc_lo, s1, s0
	s_xor_b32 s0, vcc_lo, -1
	s_and_saveexec_b32 s1, s0
	s_xor_b32 s0, exec_lo, s1
; %bb.93:
	ds_read_b64 v[20:21], v22 offset:8
                                        ; implicit-def: $vgpr24
; %bb.94:
	s_or_saveexec_b32 s0, s0
	v_mov_b32_e32 v23, v19
	v_mov_b32_e32 v22, v18
	s_xor_b32 exec_lo, exec_lo, s0
	s_cbranch_execz .LBB189_96
; %bb.95:
	ds_read_b64 v[22:23], v24 offset:8
	s_waitcnt lgkmcnt(1)
	v_mov_b32_e32 v21, v17
	v_mov_b32_e32 v20, v16
.LBB189_96:
	s_or_b32 exec_lo, exec_lo, s0
	v_add_nc_u32_e32 v24, 1, v55
	v_add_nc_u32_e32 v25, 1, v54
	s_waitcnt lgkmcnt(0)
	v_cmp_lt_i64_e64 s0, v[22:23], v[20:21]
	v_cndmask_b32_e32 v56, v24, v55, vcc_lo
	v_cndmask_b32_e32 v57, v54, v25, vcc_lo
                                        ; implicit-def: $vgpr24_vgpr25
	v_cmp_ge_i32_e64 s1, v56, v53
	v_cmp_lt_i32_e64 s2, v57, v48
	s_or_b32 s0, s1, s0
	s_and_b32 s0, s2, s0
	s_xor_b32 s1, s0, -1
	s_and_saveexec_b32 s2, s1
	s_xor_b32 s1, exec_lo, s2
; %bb.97:
	v_lshl_add_u32 v24, v56, 3, v50
	ds_read_b64 v[24:25], v24 offset:8
; %bb.98:
	s_or_saveexec_b32 s1, s1
	v_mov_b32_e32 v27, v23
	v_mov_b32_e32 v26, v22
	s_xor_b32 exec_lo, exec_lo, s1
	s_cbranch_execz .LBB189_100
; %bb.99:
	s_waitcnt lgkmcnt(0)
	v_lshl_add_u32 v24, v57, 3, v50
	ds_read_b64 v[26:27], v24 offset:8
	v_mov_b32_e32 v25, v21
	v_mov_b32_e32 v24, v20
.LBB189_100:
	s_or_b32 exec_lo, exec_lo, s1
	v_add_nc_u32_e32 v28, 1, v56
	v_add_nc_u32_e32 v29, 1, v57
	s_waitcnt lgkmcnt(0)
	v_cmp_lt_i64_e64 s1, v[26:27], v[24:25]
	v_cndmask_b32_e64 v58, v28, v56, s0
	v_cndmask_b32_e64 v59, v57, v29, s0
                                        ; implicit-def: $vgpr28_vgpr29
	v_cmp_ge_i32_e64 s2, v58, v53
	v_cmp_lt_i32_e64 s3, v59, v48
	s_or_b32 s1, s2, s1
	s_and_b32 s1, s3, s1
	s_xor_b32 s2, s1, -1
	s_and_saveexec_b32 s3, s2
	s_xor_b32 s2, exec_lo, s3
; %bb.101:
	v_lshl_add_u32 v28, v58, 3, v50
	ds_read_b64 v[28:29], v28 offset:8
; %bb.102:
	s_or_saveexec_b32 s2, s2
	v_mov_b32_e32 v31, v27
	v_mov_b32_e32 v30, v26
	s_xor_b32 exec_lo, exec_lo, s2
	s_cbranch_execz .LBB189_104
; %bb.103:
	s_waitcnt lgkmcnt(0)
	v_lshl_add_u32 v28, v59, 3, v50
	ds_read_b64 v[30:31], v28 offset:8
	v_mov_b32_e32 v29, v25
	v_mov_b32_e32 v28, v24
.LBB189_104:
	s_or_b32 exec_lo, exec_lo, s2
	v_add_nc_u32_e32 v32, 1, v58
	v_add_nc_u32_e32 v33, 1, v59
	s_waitcnt lgkmcnt(0)
	v_cmp_lt_i64_e64 s2, v[30:31], v[28:29]
	v_cndmask_b32_e64 v60, v32, v58, s1
	v_cndmask_b32_e64 v61, v59, v33, s1
                                        ; implicit-def: $vgpr32_vgpr33
	v_cmp_ge_i32_e64 s3, v60, v53
	v_cmp_lt_i32_e64 s4, v61, v48
	s_or_b32 s2, s3, s2
	s_and_b32 s2, s4, s2
	s_xor_b32 s3, s2, -1
	s_and_saveexec_b32 s4, s3
	s_xor_b32 s3, exec_lo, s4
; %bb.105:
	v_lshl_add_u32 v32, v60, 3, v50
	ds_read_b64 v[32:33], v32 offset:8
; %bb.106:
	s_or_saveexec_b32 s3, s3
	v_mov_b32_e32 v35, v31
	v_mov_b32_e32 v34, v30
	s_xor_b32 exec_lo, exec_lo, s3
	s_cbranch_execz .LBB189_108
; %bb.107:
	s_waitcnt lgkmcnt(0)
	v_lshl_add_u32 v32, v61, 3, v50
	ds_read_b64 v[34:35], v32 offset:8
	v_mov_b32_e32 v33, v29
	v_mov_b32_e32 v32, v28
.LBB189_108:
	s_or_b32 exec_lo, exec_lo, s3
	v_add_nc_u32_e32 v36, 1, v60
	v_add_nc_u32_e32 v37, 1, v61
	s_waitcnt lgkmcnt(0)
	v_cmp_lt_i64_e64 s3, v[34:35], v[32:33]
                                        ; implicit-def: $vgpr40_vgpr41
	v_cndmask_b32_e64 v62, v36, v60, s2
	v_cndmask_b32_e64 v63, v61, v37, s2
	v_cmp_ge_i32_e64 s4, v62, v53
	v_cmp_lt_i32_e64 s5, v63, v48
	s_or_b32 s3, s4, s3
	s_and_b32 s3, s5, s3
	s_xor_b32 s4, s3, -1
	s_and_saveexec_b32 s5, s4
	s_xor_b32 s4, exec_lo, s5
; %bb.109:
	v_lshl_add_u32 v36, v62, 3, v50
	ds_read_b64 v[40:41], v36 offset:8
; %bb.110:
	s_or_saveexec_b32 s4, s4
	v_mov_b32_e32 v43, v35
	v_mov_b32_e32 v42, v34
	s_xor_b32 exec_lo, exec_lo, s4
	s_cbranch_execz .LBB189_112
; %bb.111:
	v_lshl_add_u32 v36, v63, 3, v50
	s_waitcnt lgkmcnt(0)
	v_mov_b32_e32 v41, v33
	v_mov_b32_e32 v40, v32
	ds_read_b64 v[42:43], v36 offset:8
.LBB189_112:
	s_or_b32 exec_lo, exec_lo, s4
	v_add_nc_u32_e32 v36, 1, v62
	v_add_nc_u32_e32 v37, 1, v63
	s_waitcnt lgkmcnt(0)
	v_cmp_lt_i64_e64 s4, v[42:43], v[40:41]
                                        ; implicit-def: $vgpr44_vgpr45
	v_cndmask_b32_e64 v64, v36, v62, s3
	v_cndmask_b32_e64 v65, v63, v37, s3
	v_cmp_ge_i32_e64 s5, v64, v53
	v_cmp_lt_i32_e64 s6, v65, v48
	s_or_b32 s4, s5, s4
	s_and_b32 s4, s6, s4
	s_xor_b32 s5, s4, -1
	s_and_saveexec_b32 s6, s5
	s_xor_b32 s5, exec_lo, s6
; %bb.113:
	v_lshl_add_u32 v36, v64, 3, v50
	ds_read_b64 v[44:45], v36 offset:8
; %bb.114:
	s_or_saveexec_b32 s5, s5
	v_mov_b32_e32 v47, v43
	v_mov_b32_e32 v46, v42
	s_xor_b32 exec_lo, exec_lo, s5
	s_cbranch_execz .LBB189_116
; %bb.115:
	v_lshl_add_u32 v36, v65, 3, v50
	s_waitcnt lgkmcnt(0)
	v_mov_b32_e32 v45, v41
	v_mov_b32_e32 v44, v40
	ds_read_b64 v[46:47], v36 offset:8
.LBB189_116:
	s_or_b32 exec_lo, exec_lo, s5
	v_add_nc_u32_e32 v36, 1, v64
	v_add_nc_u32_e32 v37, 1, v65
	s_waitcnt lgkmcnt(0)
	v_cmp_lt_i64_e64 s5, v[46:47], v[44:45]
	v_cndmask_b32_e64 v66, v36, v64, s4
	v_cndmask_b32_e64 v67, v65, v37, s4
                                        ; implicit-def: $vgpr36_vgpr37
	v_cmp_ge_i32_e64 s6, v66, v53
	v_cmp_lt_i32_e64 s7, v67, v48
	s_or_b32 s5, s6, s5
	s_and_b32 s5, s7, s5
	s_xor_b32 s6, s5, -1
	s_and_saveexec_b32 s7, s6
	s_xor_b32 s6, exec_lo, s7
; %bb.117:
	v_lshl_add_u32 v36, v66, 3, v50
	ds_read_b64 v[36:37], v36 offset:8
; %bb.118:
	s_or_saveexec_b32 s6, s6
	v_mov_b32_e32 v38, v46
	v_mov_b32_e32 v39, v47
	s_xor_b32 exec_lo, exec_lo, s6
	s_cbranch_execz .LBB189_120
; %bb.119:
	s_waitcnt lgkmcnt(0)
	v_lshl_add_u32 v36, v67, 3, v50
	ds_read_b64 v[38:39], v36 offset:8
	v_mov_b32_e32 v36, v44
	v_mov_b32_e32 v37, v45
.LBB189_120:
	s_or_b32 exec_lo, exec_lo, s6
	v_add_nc_u32_e32 v69, 1, v66
	v_add_nc_u32_e32 v68, 1, v67
	v_cndmask_b32_e64 v45, v45, v47, s5
	v_cndmask_b32_e64 v44, v44, v46, s5
	;; [unrolled: 1-line block ×8, first 2 shown]
	s_waitcnt lgkmcnt(0)
	v_cmp_lt_i64_e64 s1, v[38:39], v[36:37]
	v_cndmask_b32_e64 v29, v29, v31, s2
	v_cndmask_b32_e64 v28, v28, v30, s2
	v_cndmask_b32_e64 v30, v60, v61, s2
	v_cmp_ge_i32_e64 s2, v47, v53
	v_cndmask_b32_e64 v32, v32, v34, s3
	v_cndmask_b32_e64 v34, v62, v63, s3
	v_cmp_lt_i32_e64 s3, v46, v48
	v_cndmask_b32_e64 v27, v21, v23, s0
	v_cndmask_b32_e64 v26, v20, v22, s0
	;; [unrolled: 1-line block ×3, first 2 shown]
	s_or_b32 s0, s2, s1
	v_cndmask_b32_e32 v21, v55, v54, vcc_lo
	v_cndmask_b32_e64 v40, v40, v42, s4
	v_cndmask_b32_e64 v42, v64, v65, s4
	s_and_b32 s0, s3, s0
	v_cndmask_b32_e64 v66, v66, v67, s5
	v_cndmask_b32_e64 v22, v47, v46, s0
	; wave barrier
	ds_write2_b64 v51, v[4:5], v[8:9] offset1:1
	ds_write2_b64 v51, v[0:1], v[2:3] offset0:2 offset1:3
	ds_write2_b64 v51, v[12:13], v[14:15] offset0:4 offset1:5
	;; [unrolled: 1-line block ×3, first 2 shown]
	v_lshl_add_u32 v0, v21, 3, v50
	v_lshl_add_u32 v6, v34, 3, v50
	v_lshl_add_u32 v1, v20, 3, v50
	v_lshl_add_u32 v7, v42, 3, v50
	v_lshl_add_u32 v2, v35, 3, v50
	v_and_b32_e32 v20, 0xc0, v52
	v_lshl_add_u32 v10, v66, 3, v50
	v_lshl_add_u32 v3, v30, 3, v50
	;; [unrolled: 1-line block ×3, first 2 shown]
	; wave barrier
	ds_read_b64 v[4:5], v0
	ds_read_b64 v[8:9], v1
	;; [unrolled: 1-line block ×8, first 2 shown]
	v_or_b32_e32 v53, 32, v20
	v_add_nc_u32_e32 v48, 64, v20
	v_and_b32_e32 v21, 56, v52
	v_cndmask_b32_e32 v19, v17, v19, vcc_lo
	v_cndmask_b32_e32 v18, v16, v18, vcc_lo
	v_sub_nc_u32_e32 v17, v53, v20
	v_sub_nc_u32_e32 v22, v48, v53
	v_cndmask_b32_e64 v31, v37, v39, s0
	v_cndmask_b32_e64 v30, v36, v38, s0
	v_cndmask_b32_e64 v41, v41, v43, s4
	v_min_i32_e32 v17, v21, v17
	v_sub_nc_u32_e32 v16, v21, v22
	v_cmp_ge_i32_e32 vcc_lo, v21, v22
	s_mov_b32 s1, 0
	s_mov_b32 s0, exec_lo
	; wave barrier
	v_cndmask_b32_e32 v22, 0, v16, vcc_lo
	v_lshl_add_u32 v16, v20, 3, v50
	ds_write2_b64 v51, v[18:19], v[26:27] offset1:1
	ds_write2_b64 v51, v[24:25], v[28:29] offset0:2 offset1:3
	ds_write2_b64 v51, v[32:33], v[40:41] offset0:4 offset1:5
	;; [unrolled: 1-line block ×3, first 2 shown]
	; wave barrier
	v_cmpx_lt_i32_e64 v22, v17
	s_cbranch_execz .LBB189_124
; %bb.121:
	v_lshlrev_b32_e32 v18, 3, v53
	v_lshlrev_b32_e32 v19, 3, v21
	v_add3_u32 v18, v50, v18, v19
	.p2align	6
.LBB189_122:                            ; =>This Inner Loop Header: Depth=1
	v_sub_nc_u32_e32 v19, v17, v22
	v_lshrrev_b32_e32 v19, 1, v19
	v_add_nc_u32_e32 v19, v19, v22
	v_not_b32_e32 v23, v19
	v_lshl_add_u32 v24, v19, 3, v16
	v_lshl_add_u32 v25, v23, 3, v18
	ds_read_b64 v[23:24], v24
	ds_read_b64 v[25:26], v25
	s_waitcnt lgkmcnt(0)
	v_cmp_lt_i64_e32 vcc_lo, v[25:26], v[23:24]
	v_add_nc_u32_e32 v23, 1, v19
	v_cndmask_b32_e32 v17, v17, v19, vcc_lo
	v_cndmask_b32_e32 v22, v23, v22, vcc_lo
	v_cmp_ge_i32_e32 vcc_lo, v22, v17
	s_or_b32 s1, vcc_lo, s1
	s_andn2_b32 exec_lo, exec_lo, s1
	s_cbranch_execnz .LBB189_122
; %bb.123:
	s_or_b32 exec_lo, exec_lo, s1
.LBB189_124:
	s_or_b32 exec_lo, exec_lo, s0
	v_add_nc_u32_e32 v17, v53, v21
	v_lshl_add_u32 v23, v22, 3, v16
	v_add_nc_u32_e32 v55, v22, v20
                                        ; implicit-def: $vgpr20_vgpr21
	v_sub_nc_u32_e32 v54, v17, v22
	v_cmp_le_i32_e64 s0, v53, v55
	v_lshl_add_u32 v24, v54, 3, v50
	v_cmp_gt_i32_e64 s1, v48, v54
	ds_read_b64 v[16:17], v23
	ds_read_b64 v[18:19], v24
	s_waitcnt lgkmcnt(0)
	v_cmp_lt_i64_e32 vcc_lo, v[18:19], v[16:17]
	s_or_b32 s0, s0, vcc_lo
	s_and_b32 vcc_lo, s1, s0
	s_xor_b32 s0, vcc_lo, -1
	s_and_saveexec_b32 s1, s0
	s_xor_b32 s0, exec_lo, s1
; %bb.125:
	ds_read_b64 v[20:21], v23 offset:8
                                        ; implicit-def: $vgpr24
; %bb.126:
	s_or_saveexec_b32 s0, s0
	v_mov_b32_e32 v23, v19
	v_mov_b32_e32 v22, v18
	s_xor_b32 exec_lo, exec_lo, s0
	s_cbranch_execz .LBB189_128
; %bb.127:
	ds_read_b64 v[22:23], v24 offset:8
	s_waitcnt lgkmcnt(1)
	v_mov_b32_e32 v21, v17
	v_mov_b32_e32 v20, v16
.LBB189_128:
	s_or_b32 exec_lo, exec_lo, s0
	v_add_nc_u32_e32 v24, 1, v55
	v_add_nc_u32_e32 v25, 1, v54
	s_waitcnt lgkmcnt(0)
	v_cmp_lt_i64_e64 s0, v[22:23], v[20:21]
	v_cndmask_b32_e32 v56, v24, v55, vcc_lo
	v_cndmask_b32_e32 v57, v54, v25, vcc_lo
                                        ; implicit-def: $vgpr24_vgpr25
	v_cmp_ge_i32_e64 s1, v56, v53
	v_cmp_lt_i32_e64 s2, v57, v48
	s_or_b32 s0, s1, s0
	s_and_b32 s0, s2, s0
	s_xor_b32 s1, s0, -1
	s_and_saveexec_b32 s2, s1
	s_xor_b32 s1, exec_lo, s2
; %bb.129:
	v_lshl_add_u32 v24, v56, 3, v50
	ds_read_b64 v[24:25], v24 offset:8
; %bb.130:
	s_or_saveexec_b32 s1, s1
	v_mov_b32_e32 v27, v23
	v_mov_b32_e32 v26, v22
	s_xor_b32 exec_lo, exec_lo, s1
	s_cbranch_execz .LBB189_132
; %bb.131:
	s_waitcnt lgkmcnt(0)
	v_lshl_add_u32 v24, v57, 3, v50
	ds_read_b64 v[26:27], v24 offset:8
	v_mov_b32_e32 v25, v21
	v_mov_b32_e32 v24, v20
.LBB189_132:
	s_or_b32 exec_lo, exec_lo, s1
	v_add_nc_u32_e32 v28, 1, v56
	v_add_nc_u32_e32 v29, 1, v57
	s_waitcnt lgkmcnt(0)
	v_cmp_lt_i64_e64 s1, v[26:27], v[24:25]
	v_cndmask_b32_e64 v58, v28, v56, s0
	v_cndmask_b32_e64 v59, v57, v29, s0
                                        ; implicit-def: $vgpr28_vgpr29
	v_cmp_ge_i32_e64 s2, v58, v53
	v_cmp_lt_i32_e64 s3, v59, v48
	s_or_b32 s1, s2, s1
	s_and_b32 s1, s3, s1
	s_xor_b32 s2, s1, -1
	s_and_saveexec_b32 s3, s2
	s_xor_b32 s2, exec_lo, s3
; %bb.133:
	v_lshl_add_u32 v28, v58, 3, v50
	ds_read_b64 v[28:29], v28 offset:8
; %bb.134:
	s_or_saveexec_b32 s2, s2
	v_mov_b32_e32 v31, v27
	v_mov_b32_e32 v30, v26
	s_xor_b32 exec_lo, exec_lo, s2
	s_cbranch_execz .LBB189_136
; %bb.135:
	s_waitcnt lgkmcnt(0)
	v_lshl_add_u32 v28, v59, 3, v50
	ds_read_b64 v[30:31], v28 offset:8
	v_mov_b32_e32 v29, v25
	v_mov_b32_e32 v28, v24
.LBB189_136:
	s_or_b32 exec_lo, exec_lo, s2
	v_add_nc_u32_e32 v32, 1, v58
	v_add_nc_u32_e32 v33, 1, v59
	s_waitcnt lgkmcnt(0)
	v_cmp_lt_i64_e64 s2, v[30:31], v[28:29]
	v_cndmask_b32_e64 v60, v32, v58, s1
	v_cndmask_b32_e64 v61, v59, v33, s1
                                        ; implicit-def: $vgpr32_vgpr33
	v_cmp_ge_i32_e64 s3, v60, v53
	v_cmp_lt_i32_e64 s4, v61, v48
	s_or_b32 s2, s3, s2
	s_and_b32 s2, s4, s2
	s_xor_b32 s3, s2, -1
	s_and_saveexec_b32 s4, s3
	s_xor_b32 s3, exec_lo, s4
; %bb.137:
	v_lshl_add_u32 v32, v60, 3, v50
	ds_read_b64 v[32:33], v32 offset:8
; %bb.138:
	s_or_saveexec_b32 s3, s3
	v_mov_b32_e32 v35, v31
	v_mov_b32_e32 v34, v30
	s_xor_b32 exec_lo, exec_lo, s3
	s_cbranch_execz .LBB189_140
; %bb.139:
	s_waitcnt lgkmcnt(0)
	v_lshl_add_u32 v32, v61, 3, v50
	ds_read_b64 v[34:35], v32 offset:8
	v_mov_b32_e32 v33, v29
	v_mov_b32_e32 v32, v28
.LBB189_140:
	s_or_b32 exec_lo, exec_lo, s3
	v_add_nc_u32_e32 v36, 1, v60
	v_add_nc_u32_e32 v37, 1, v61
	s_waitcnt lgkmcnt(0)
	v_cmp_lt_i64_e64 s3, v[34:35], v[32:33]
                                        ; implicit-def: $vgpr40_vgpr41
	v_cndmask_b32_e64 v62, v36, v60, s2
	v_cndmask_b32_e64 v63, v61, v37, s2
	v_cmp_ge_i32_e64 s4, v62, v53
	v_cmp_lt_i32_e64 s5, v63, v48
	s_or_b32 s3, s4, s3
	s_and_b32 s3, s5, s3
	s_xor_b32 s4, s3, -1
	s_and_saveexec_b32 s5, s4
	s_xor_b32 s4, exec_lo, s5
; %bb.141:
	v_lshl_add_u32 v36, v62, 3, v50
	ds_read_b64 v[40:41], v36 offset:8
; %bb.142:
	s_or_saveexec_b32 s4, s4
	v_mov_b32_e32 v43, v35
	v_mov_b32_e32 v42, v34
	s_xor_b32 exec_lo, exec_lo, s4
	s_cbranch_execz .LBB189_144
; %bb.143:
	v_lshl_add_u32 v36, v63, 3, v50
	s_waitcnt lgkmcnt(0)
	v_mov_b32_e32 v41, v33
	v_mov_b32_e32 v40, v32
	ds_read_b64 v[42:43], v36 offset:8
.LBB189_144:
	s_or_b32 exec_lo, exec_lo, s4
	v_add_nc_u32_e32 v36, 1, v62
	v_add_nc_u32_e32 v37, 1, v63
	s_waitcnt lgkmcnt(0)
	v_cmp_lt_i64_e64 s4, v[42:43], v[40:41]
                                        ; implicit-def: $vgpr44_vgpr45
	v_cndmask_b32_e64 v64, v36, v62, s3
	v_cndmask_b32_e64 v65, v63, v37, s3
	v_cmp_ge_i32_e64 s5, v64, v53
	v_cmp_lt_i32_e64 s6, v65, v48
	s_or_b32 s4, s5, s4
	s_and_b32 s4, s6, s4
	s_xor_b32 s5, s4, -1
	s_and_saveexec_b32 s6, s5
	s_xor_b32 s5, exec_lo, s6
; %bb.145:
	v_lshl_add_u32 v36, v64, 3, v50
	ds_read_b64 v[44:45], v36 offset:8
; %bb.146:
	s_or_saveexec_b32 s5, s5
	v_mov_b32_e32 v47, v43
	v_mov_b32_e32 v46, v42
	s_xor_b32 exec_lo, exec_lo, s5
	s_cbranch_execz .LBB189_148
; %bb.147:
	v_lshl_add_u32 v36, v65, 3, v50
	s_waitcnt lgkmcnt(0)
	v_mov_b32_e32 v45, v41
	v_mov_b32_e32 v44, v40
	ds_read_b64 v[46:47], v36 offset:8
.LBB189_148:
	s_or_b32 exec_lo, exec_lo, s5
	v_add_nc_u32_e32 v36, 1, v64
	v_add_nc_u32_e32 v37, 1, v65
	s_waitcnt lgkmcnt(0)
	v_cmp_lt_i64_e64 s5, v[46:47], v[44:45]
	v_cndmask_b32_e64 v66, v36, v64, s4
	v_cndmask_b32_e64 v67, v65, v37, s4
                                        ; implicit-def: $vgpr36_vgpr37
	v_cmp_ge_i32_e64 s6, v66, v53
	v_cmp_lt_i32_e64 s7, v67, v48
	s_or_b32 s5, s6, s5
	s_and_b32 s5, s7, s5
	s_xor_b32 s6, s5, -1
	s_and_saveexec_b32 s7, s6
	s_xor_b32 s6, exec_lo, s7
; %bb.149:
	v_lshl_add_u32 v36, v66, 3, v50
	ds_read_b64 v[36:37], v36 offset:8
; %bb.150:
	s_or_saveexec_b32 s6, s6
	v_mov_b32_e32 v38, v46
	v_mov_b32_e32 v39, v47
	s_xor_b32 exec_lo, exec_lo, s6
	s_cbranch_execz .LBB189_152
; %bb.151:
	s_waitcnt lgkmcnt(0)
	v_lshl_add_u32 v36, v67, 3, v50
	ds_read_b64 v[38:39], v36 offset:8
	v_mov_b32_e32 v36, v44
	v_mov_b32_e32 v37, v45
.LBB189_152:
	s_or_b32 exec_lo, exec_lo, s6
	v_add_nc_u32_e32 v69, 1, v66
	v_add_nc_u32_e32 v68, 1, v67
	v_cndmask_b32_e64 v45, v45, v47, s5
	v_cndmask_b32_e64 v44, v44, v46, s5
	;; [unrolled: 1-line block ×8, first 2 shown]
	s_waitcnt lgkmcnt(0)
	v_cmp_lt_i64_e64 s1, v[38:39], v[36:37]
	v_cndmask_b32_e64 v29, v29, v31, s2
	v_cndmask_b32_e64 v28, v28, v30, s2
	;; [unrolled: 1-line block ×3, first 2 shown]
	v_cmp_ge_i32_e64 s2, v47, v53
	v_cndmask_b32_e64 v32, v32, v34, s3
	v_cndmask_b32_e64 v34, v62, v63, s3
	v_cmp_lt_i32_e64 s3, v46, v48
	v_cndmask_b32_e64 v27, v21, v23, s0
	v_cndmask_b32_e64 v26, v20, v22, s0
	;; [unrolled: 1-line block ×3, first 2 shown]
	s_or_b32 s0, s2, s1
	v_cndmask_b32_e32 v21, v55, v54, vcc_lo
	v_cndmask_b32_e64 v40, v40, v42, s4
	v_cndmask_b32_e64 v42, v64, v65, s4
	s_and_b32 s0, s3, s0
	v_cndmask_b32_e64 v66, v66, v67, s5
	v_cndmask_b32_e64 v22, v47, v46, s0
	; wave barrier
	ds_write2_b64 v51, v[4:5], v[8:9] offset1:1
	ds_write2_b64 v51, v[0:1], v[2:3] offset0:2 offset1:3
	ds_write2_b64 v51, v[12:13], v[14:15] offset0:4 offset1:5
	;; [unrolled: 1-line block ×3, first 2 shown]
	v_lshl_add_u32 v0, v21, 3, v50
	v_lshl_add_u32 v6, v34, 3, v50
	;; [unrolled: 1-line block ×5, first 2 shown]
	v_and_b32_e32 v20, 0x80, v52
	v_lshl_add_u32 v10, v66, 3, v50
	v_lshl_add_u32 v3, v30, 3, v50
	;; [unrolled: 1-line block ×3, first 2 shown]
	; wave barrier
	ds_read_b64 v[4:5], v0
	ds_read_b64 v[8:9], v1
	;; [unrolled: 1-line block ×8, first 2 shown]
	v_or_b32_e32 v53, 64, v20
	v_add_nc_u32_e32 v48, 0x80, v20
	v_and_b32_e32 v21, 0x78, v52
	v_cndmask_b32_e32 v19, v17, v19, vcc_lo
	v_cndmask_b32_e32 v18, v16, v18, vcc_lo
	v_sub_nc_u32_e32 v17, v53, v20
	v_sub_nc_u32_e32 v22, v48, v53
	v_cndmask_b32_e64 v31, v37, v39, s0
	v_cndmask_b32_e64 v30, v36, v38, s0
	;; [unrolled: 1-line block ×3, first 2 shown]
	v_min_i32_e32 v17, v21, v17
	v_sub_nc_u32_e32 v16, v21, v22
	v_cmp_ge_i32_e32 vcc_lo, v21, v22
	s_mov_b32 s1, 0
	s_mov_b32 s0, exec_lo
	; wave barrier
	v_cndmask_b32_e32 v22, 0, v16, vcc_lo
	v_lshl_add_u32 v16, v20, 3, v50
	ds_write2_b64 v51, v[18:19], v[26:27] offset1:1
	ds_write2_b64 v51, v[24:25], v[28:29] offset0:2 offset1:3
	ds_write2_b64 v51, v[32:33], v[40:41] offset0:4 offset1:5
	;; [unrolled: 1-line block ×3, first 2 shown]
	; wave barrier
	v_cmpx_lt_i32_e64 v22, v17
	s_cbranch_execz .LBB189_156
; %bb.153:
	v_lshlrev_b32_e32 v18, 3, v53
	v_lshlrev_b32_e32 v19, 3, v21
	v_add3_u32 v18, v50, v18, v19
	.p2align	6
.LBB189_154:                            ; =>This Inner Loop Header: Depth=1
	v_sub_nc_u32_e32 v19, v17, v22
	v_lshrrev_b32_e32 v19, 1, v19
	v_add_nc_u32_e32 v19, v19, v22
	v_not_b32_e32 v23, v19
	v_lshl_add_u32 v24, v19, 3, v16
	v_lshl_add_u32 v25, v23, 3, v18
	ds_read_b64 v[23:24], v24
	ds_read_b64 v[25:26], v25
	s_waitcnt lgkmcnt(0)
	v_cmp_lt_i64_e32 vcc_lo, v[25:26], v[23:24]
	v_add_nc_u32_e32 v23, 1, v19
	v_cndmask_b32_e32 v17, v17, v19, vcc_lo
	v_cndmask_b32_e32 v22, v23, v22, vcc_lo
	v_cmp_ge_i32_e32 vcc_lo, v22, v17
	s_or_b32 s1, vcc_lo, s1
	s_andn2_b32 exec_lo, exec_lo, s1
	s_cbranch_execnz .LBB189_154
; %bb.155:
	s_or_b32 exec_lo, exec_lo, s1
.LBB189_156:
	s_or_b32 exec_lo, exec_lo, s0
	v_add_nc_u32_e32 v17, v53, v21
	v_lshl_add_u32 v23, v22, 3, v16
	v_add_nc_u32_e32 v55, v22, v20
                                        ; implicit-def: $vgpr20_vgpr21
	v_sub_nc_u32_e32 v54, v17, v22
	v_cmp_le_i32_e64 s0, v53, v55
	v_lshl_add_u32 v24, v54, 3, v50
	v_cmp_gt_i32_e64 s1, v48, v54
	ds_read_b64 v[16:17], v23
	ds_read_b64 v[18:19], v24
	s_waitcnt lgkmcnt(0)
	v_cmp_lt_i64_e32 vcc_lo, v[18:19], v[16:17]
	s_or_b32 s0, s0, vcc_lo
	s_and_b32 vcc_lo, s1, s0
	s_xor_b32 s0, vcc_lo, -1
	s_and_saveexec_b32 s1, s0
	s_xor_b32 s0, exec_lo, s1
; %bb.157:
	ds_read_b64 v[20:21], v23 offset:8
                                        ; implicit-def: $vgpr24
; %bb.158:
	s_or_saveexec_b32 s0, s0
	v_mov_b32_e32 v23, v19
	v_mov_b32_e32 v22, v18
	s_xor_b32 exec_lo, exec_lo, s0
	s_cbranch_execz .LBB189_160
; %bb.159:
	ds_read_b64 v[22:23], v24 offset:8
	s_waitcnt lgkmcnt(1)
	v_mov_b32_e32 v21, v17
	v_mov_b32_e32 v20, v16
.LBB189_160:
	s_or_b32 exec_lo, exec_lo, s0
	v_add_nc_u32_e32 v24, 1, v55
	v_add_nc_u32_e32 v25, 1, v54
	s_waitcnt lgkmcnt(0)
	v_cmp_lt_i64_e64 s0, v[22:23], v[20:21]
	v_cndmask_b32_e32 v56, v24, v55, vcc_lo
	v_cndmask_b32_e32 v57, v54, v25, vcc_lo
                                        ; implicit-def: $vgpr24_vgpr25
	v_cmp_ge_i32_e64 s1, v56, v53
	v_cmp_lt_i32_e64 s2, v57, v48
	s_or_b32 s0, s1, s0
	s_and_b32 s0, s2, s0
	s_xor_b32 s1, s0, -1
	s_and_saveexec_b32 s2, s1
	s_xor_b32 s1, exec_lo, s2
; %bb.161:
	v_lshl_add_u32 v24, v56, 3, v50
	ds_read_b64 v[24:25], v24 offset:8
; %bb.162:
	s_or_saveexec_b32 s1, s1
	v_mov_b32_e32 v27, v23
	v_mov_b32_e32 v26, v22
	s_xor_b32 exec_lo, exec_lo, s1
	s_cbranch_execz .LBB189_164
; %bb.163:
	s_waitcnt lgkmcnt(0)
	v_lshl_add_u32 v24, v57, 3, v50
	ds_read_b64 v[26:27], v24 offset:8
	v_mov_b32_e32 v25, v21
	v_mov_b32_e32 v24, v20
.LBB189_164:
	s_or_b32 exec_lo, exec_lo, s1
	v_add_nc_u32_e32 v28, 1, v56
	v_add_nc_u32_e32 v29, 1, v57
	s_waitcnt lgkmcnt(0)
	v_cmp_lt_i64_e64 s1, v[26:27], v[24:25]
	v_cndmask_b32_e64 v58, v28, v56, s0
	v_cndmask_b32_e64 v59, v57, v29, s0
                                        ; implicit-def: $vgpr28_vgpr29
	v_cmp_ge_i32_e64 s2, v58, v53
	v_cmp_lt_i32_e64 s3, v59, v48
	s_or_b32 s1, s2, s1
	s_and_b32 s1, s3, s1
	s_xor_b32 s2, s1, -1
	s_and_saveexec_b32 s3, s2
	s_xor_b32 s2, exec_lo, s3
; %bb.165:
	v_lshl_add_u32 v28, v58, 3, v50
	ds_read_b64 v[28:29], v28 offset:8
; %bb.166:
	s_or_saveexec_b32 s2, s2
	v_mov_b32_e32 v31, v27
	v_mov_b32_e32 v30, v26
	s_xor_b32 exec_lo, exec_lo, s2
	s_cbranch_execz .LBB189_168
; %bb.167:
	s_waitcnt lgkmcnt(0)
	v_lshl_add_u32 v28, v59, 3, v50
	ds_read_b64 v[30:31], v28 offset:8
	v_mov_b32_e32 v29, v25
	v_mov_b32_e32 v28, v24
.LBB189_168:
	s_or_b32 exec_lo, exec_lo, s2
	v_add_nc_u32_e32 v32, 1, v58
	v_add_nc_u32_e32 v33, 1, v59
	s_waitcnt lgkmcnt(0)
	v_cmp_lt_i64_e64 s2, v[30:31], v[28:29]
	v_cndmask_b32_e64 v60, v32, v58, s1
	v_cndmask_b32_e64 v61, v59, v33, s1
                                        ; implicit-def: $vgpr32_vgpr33
	v_cmp_ge_i32_e64 s3, v60, v53
	v_cmp_lt_i32_e64 s4, v61, v48
	s_or_b32 s2, s3, s2
	s_and_b32 s2, s4, s2
	s_xor_b32 s3, s2, -1
	s_and_saveexec_b32 s4, s3
	s_xor_b32 s3, exec_lo, s4
; %bb.169:
	v_lshl_add_u32 v32, v60, 3, v50
	ds_read_b64 v[32:33], v32 offset:8
; %bb.170:
	s_or_saveexec_b32 s3, s3
	v_mov_b32_e32 v35, v31
	v_mov_b32_e32 v34, v30
	s_xor_b32 exec_lo, exec_lo, s3
	s_cbranch_execz .LBB189_172
; %bb.171:
	s_waitcnt lgkmcnt(0)
	v_lshl_add_u32 v32, v61, 3, v50
	ds_read_b64 v[34:35], v32 offset:8
	v_mov_b32_e32 v33, v29
	v_mov_b32_e32 v32, v28
.LBB189_172:
	s_or_b32 exec_lo, exec_lo, s3
	v_add_nc_u32_e32 v36, 1, v60
	v_add_nc_u32_e32 v37, 1, v61
	s_waitcnt lgkmcnt(0)
	v_cmp_lt_i64_e64 s3, v[34:35], v[32:33]
                                        ; implicit-def: $vgpr40_vgpr41
	v_cndmask_b32_e64 v62, v36, v60, s2
	v_cndmask_b32_e64 v63, v61, v37, s2
	v_cmp_ge_i32_e64 s4, v62, v53
	v_cmp_lt_i32_e64 s5, v63, v48
	s_or_b32 s3, s4, s3
	s_and_b32 s3, s5, s3
	s_xor_b32 s4, s3, -1
	s_and_saveexec_b32 s5, s4
	s_xor_b32 s4, exec_lo, s5
; %bb.173:
	v_lshl_add_u32 v36, v62, 3, v50
	ds_read_b64 v[40:41], v36 offset:8
; %bb.174:
	s_or_saveexec_b32 s4, s4
	v_mov_b32_e32 v43, v35
	v_mov_b32_e32 v42, v34
	s_xor_b32 exec_lo, exec_lo, s4
	s_cbranch_execz .LBB189_176
; %bb.175:
	v_lshl_add_u32 v36, v63, 3, v50
	s_waitcnt lgkmcnt(0)
	v_mov_b32_e32 v41, v33
	v_mov_b32_e32 v40, v32
	ds_read_b64 v[42:43], v36 offset:8
.LBB189_176:
	s_or_b32 exec_lo, exec_lo, s4
	v_add_nc_u32_e32 v36, 1, v62
	v_add_nc_u32_e32 v37, 1, v63
	s_waitcnt lgkmcnt(0)
	v_cmp_lt_i64_e64 s4, v[42:43], v[40:41]
                                        ; implicit-def: $vgpr44_vgpr45
	v_cndmask_b32_e64 v64, v36, v62, s3
	v_cndmask_b32_e64 v65, v63, v37, s3
	v_cmp_ge_i32_e64 s5, v64, v53
	v_cmp_lt_i32_e64 s6, v65, v48
	s_or_b32 s4, s5, s4
	s_and_b32 s4, s6, s4
	s_xor_b32 s5, s4, -1
	s_and_saveexec_b32 s6, s5
	s_xor_b32 s5, exec_lo, s6
; %bb.177:
	v_lshl_add_u32 v36, v64, 3, v50
	ds_read_b64 v[44:45], v36 offset:8
; %bb.178:
	s_or_saveexec_b32 s5, s5
	v_mov_b32_e32 v47, v43
	v_mov_b32_e32 v46, v42
	s_xor_b32 exec_lo, exec_lo, s5
	s_cbranch_execz .LBB189_180
; %bb.179:
	v_lshl_add_u32 v36, v65, 3, v50
	s_waitcnt lgkmcnt(0)
	v_mov_b32_e32 v45, v41
	v_mov_b32_e32 v44, v40
	ds_read_b64 v[46:47], v36 offset:8
.LBB189_180:
	s_or_b32 exec_lo, exec_lo, s5
	v_add_nc_u32_e32 v36, 1, v64
	v_add_nc_u32_e32 v37, 1, v65
	s_waitcnt lgkmcnt(0)
	v_cmp_lt_i64_e64 s5, v[46:47], v[44:45]
	v_cndmask_b32_e64 v66, v36, v64, s4
	v_cndmask_b32_e64 v67, v65, v37, s4
                                        ; implicit-def: $vgpr36_vgpr37
	v_cmp_ge_i32_e64 s6, v66, v53
	v_cmp_lt_i32_e64 s7, v67, v48
	s_or_b32 s5, s6, s5
	s_and_b32 s5, s7, s5
	s_xor_b32 s6, s5, -1
	s_and_saveexec_b32 s7, s6
	s_xor_b32 s6, exec_lo, s7
; %bb.181:
	v_lshl_add_u32 v36, v66, 3, v50
	ds_read_b64 v[36:37], v36 offset:8
; %bb.182:
	s_or_saveexec_b32 s6, s6
	v_mov_b32_e32 v38, v46
	v_mov_b32_e32 v39, v47
	s_xor_b32 exec_lo, exec_lo, s6
	s_cbranch_execz .LBB189_184
; %bb.183:
	s_waitcnt lgkmcnt(0)
	v_lshl_add_u32 v36, v67, 3, v50
	ds_read_b64 v[38:39], v36 offset:8
	v_mov_b32_e32 v36, v44
	v_mov_b32_e32 v37, v45
.LBB189_184:
	s_or_b32 exec_lo, exec_lo, s6
	v_add_nc_u32_e32 v69, 1, v66
	v_add_nc_u32_e32 v68, 1, v67
	v_cndmask_b32_e64 v45, v45, v47, s5
	v_cndmask_b32_e64 v44, v44, v46, s5
	;; [unrolled: 1-line block ×7, first 2 shown]
	s_waitcnt lgkmcnt(0)
	v_cmp_lt_i64_e64 s2, v[38:39], v[36:37]
	v_cndmask_b32_e64 v33, v33, v35, s3
	v_cndmask_b32_e64 v32, v32, v34, s3
	;; [unrolled: 1-line block ×3, first 2 shown]
	v_cmp_ge_i32_e64 s3, v47, v53
	v_cndmask_b32_e64 v41, v41, v43, s4
	v_cndmask_b32_e64 v40, v40, v42, s4
	;; [unrolled: 1-line block ×3, first 2 shown]
	v_cmp_lt_i32_e64 s4, v46, v48
	s_or_b32 s2, s3, s2
	v_cndmask_b32_e32 v43, v55, v54, vcc_lo
	v_cndmask_b32_e64 v35, v56, v57, s0
	v_cndmask_b32_e64 v66, v66, v67, s5
	s_and_b32 s2, s4, s2
	v_cndmask_b32_e64 v31, v58, v59, s1
	v_cndmask_b32_e64 v25, v25, v27, s1
	v_cndmask_b32_e64 v27, v37, v39, s2
	v_cndmask_b32_e64 v37, v47, v46, s2
	; wave barrier
	ds_write2_b64 v51, v[4:5], v[8:9] offset1:1
	ds_write2_b64 v51, v[0:1], v[2:3] offset0:2 offset1:3
	ds_write2_b64 v51, v[12:13], v[14:15] offset0:4 offset1:5
	;; [unrolled: 1-line block ×3, first 2 shown]
	v_lshl_add_u32 v0, v43, 3, v50
	v_lshl_add_u32 v8, v34, 3, v50
	;; [unrolled: 1-line block ×8, first 2 shown]
	; wave barrier
	ds_read_b64 v[4:5], v0
	ds_read_b64 v[6:7], v1
	;; [unrolled: 1-line block ×8, first 2 shown]
	v_and_b32_e32 v48, 0xf8, v52
	v_cndmask_b32_e64 v20, v20, v22, s0
	v_cndmask_b32_e32 v19, v17, v19, vcc_lo
	v_cndmask_b32_e32 v18, v16, v18, vcc_lo
	v_cndmask_b32_e64 v21, v21, v23, s0
	v_add_nc_u32_e32 v22, 0xffffff80, v48
	v_cmp_lt_i32_e32 vcc_lo, 0x7f, v48
	v_min_i32_e32 v16, 0x80, v48
	v_cndmask_b32_e64 v24, v24, v26, s1
	v_cndmask_b32_e64 v26, v36, v38, s2
	s_mov_b32 s0, exec_lo
	v_cndmask_b32_e32 v52, 0, v22, vcc_lo
	; wave barrier
	ds_write2_b64 v51, v[18:19], v[20:21] offset1:1
	ds_write2_b64 v51, v[24:25], v[28:29] offset0:2 offset1:3
	ds_write2_b64 v51, v[32:33], v[40:41] offset0:4 offset1:5
	;; [unrolled: 1-line block ×3, first 2 shown]
	; wave barrier
	v_cmpx_lt_i32_e64 v52, v16
	s_cbranch_execz .LBB189_188
; %bb.185:
	v_lshlrev_b32_e32 v17, 3, v48
	s_mov_b32 s1, 0
	v_add3_u32 v17, 0x400, v50, v17
	.p2align	6
.LBB189_186:                            ; =>This Inner Loop Header: Depth=1
	v_sub_nc_u32_e32 v18, v16, v52
	v_lshrrev_b32_e32 v18, 1, v18
	v_add_nc_u32_e32 v22, v18, v52
	v_not_b32_e32 v18, v22
	v_lshl_add_u32 v19, v22, 3, v50
	v_lshl_add_u32 v20, v18, 3, v17
	ds_read_b64 v[18:19], v19
	ds_read_b64 v[20:21], v20
	s_waitcnt lgkmcnt(0)
	v_cmp_lt_i64_e32 vcc_lo, v[20:21], v[18:19]
	v_add_nc_u32_e32 v18, 1, v22
	v_cndmask_b32_e32 v16, v16, v22, vcc_lo
	v_cndmask_b32_e32 v52, v18, v52, vcc_lo
	v_cmp_ge_i32_e32 vcc_lo, v52, v16
	s_or_b32 s1, vcc_lo, s1
	s_andn2_b32 exec_lo, exec_lo, s1
	s_cbranch_execnz .LBB189_186
; %bb.187:
	s_or_b32 exec_lo, exec_lo, s1
.LBB189_188:
	s_or_b32 exec_lo, exec_lo, s0
	v_add_nc_u32_e32 v16, 0x80, v48
	v_lshl_add_u32 v22, v52, 3, v50
	v_cmp_le_i32_e64 s0, 0x80, v52
                                        ; implicit-def: $vgpr20_vgpr21
	v_sub_nc_u32_e32 v53, v16, v52
	v_lshl_add_u32 v24, v53, 3, v50
	v_cmp_gt_i32_e64 s1, 0x100, v53
	ds_read_b64 v[16:17], v22
	ds_read_b64 v[18:19], v24
	s_waitcnt lgkmcnt(0)
	v_cmp_lt_i64_e32 vcc_lo, v[18:19], v[16:17]
	s_or_b32 s0, s0, vcc_lo
	s_and_b32 vcc_lo, s1, s0
	s_xor_b32 s0, vcc_lo, -1
	s_and_saveexec_b32 s1, s0
	s_xor_b32 s0, exec_lo, s1
; %bb.189:
	ds_read_b64 v[20:21], v22 offset:8
                                        ; implicit-def: $vgpr24
; %bb.190:
	s_or_saveexec_b32 s0, s0
	v_mov_b32_e32 v23, v19
	v_mov_b32_e32 v22, v18
	s_xor_b32 exec_lo, exec_lo, s0
	s_cbranch_execz .LBB189_192
; %bb.191:
	ds_read_b64 v[22:23], v24 offset:8
	s_waitcnt lgkmcnt(1)
	v_mov_b32_e32 v21, v17
	v_mov_b32_e32 v20, v16
.LBB189_192:
	s_or_b32 exec_lo, exec_lo, s0
	v_add_nc_u32_e32 v24, 1, v52
	v_add_nc_u32_e32 v25, 1, v53
	s_waitcnt lgkmcnt(0)
	v_cmp_lt_i64_e64 s0, v[22:23], v[20:21]
	v_cndmask_b32_e32 v54, v24, v52, vcc_lo
	v_cndmask_b32_e32 v55, v53, v25, vcc_lo
                                        ; implicit-def: $vgpr24_vgpr25
	v_cmp_le_i32_e64 s1, 0x80, v54
	v_cmp_gt_i32_e64 s2, 0x100, v55
	s_or_b32 s0, s1, s0
	s_and_b32 s0, s2, s0
	s_xor_b32 s1, s0, -1
	s_and_saveexec_b32 s2, s1
	s_xor_b32 s1, exec_lo, s2
; %bb.193:
	v_lshl_add_u32 v24, v54, 3, v50
	ds_read_b64 v[24:25], v24 offset:8
; %bb.194:
	s_or_saveexec_b32 s1, s1
	v_mov_b32_e32 v27, v23
	v_mov_b32_e32 v26, v22
	s_xor_b32 exec_lo, exec_lo, s1
	s_cbranch_execz .LBB189_196
; %bb.195:
	s_waitcnt lgkmcnt(0)
	v_lshl_add_u32 v24, v55, 3, v50
	ds_read_b64 v[26:27], v24 offset:8
	v_mov_b32_e32 v25, v21
	v_mov_b32_e32 v24, v20
.LBB189_196:
	s_or_b32 exec_lo, exec_lo, s1
	v_add_nc_u32_e32 v28, 1, v54
	v_add_nc_u32_e32 v29, 1, v55
	s_waitcnt lgkmcnt(0)
	v_cmp_lt_i64_e64 s1, v[26:27], v[24:25]
	v_cndmask_b32_e64 v56, v28, v54, s0
	v_cndmask_b32_e64 v57, v55, v29, s0
                                        ; implicit-def: $vgpr28_vgpr29
	v_cmp_le_i32_e64 s2, 0x80, v56
	v_cmp_gt_i32_e64 s3, 0x100, v57
	s_or_b32 s1, s2, s1
	s_and_b32 s1, s3, s1
	s_xor_b32 s2, s1, -1
	s_and_saveexec_b32 s3, s2
	s_xor_b32 s2, exec_lo, s3
; %bb.197:
	v_lshl_add_u32 v28, v56, 3, v50
	ds_read_b64 v[28:29], v28 offset:8
; %bb.198:
	s_or_saveexec_b32 s2, s2
	v_mov_b32_e32 v31, v27
	v_mov_b32_e32 v30, v26
	s_xor_b32 exec_lo, exec_lo, s2
	s_cbranch_execz .LBB189_200
; %bb.199:
	s_waitcnt lgkmcnt(0)
	v_lshl_add_u32 v28, v57, 3, v50
	ds_read_b64 v[30:31], v28 offset:8
	v_mov_b32_e32 v29, v25
	v_mov_b32_e32 v28, v24
.LBB189_200:
	s_or_b32 exec_lo, exec_lo, s2
	v_add_nc_u32_e32 v32, 1, v56
	v_add_nc_u32_e32 v33, 1, v57
	s_waitcnt lgkmcnt(0)
	v_cmp_lt_i64_e64 s2, v[30:31], v[28:29]
	v_cndmask_b32_e64 v58, v32, v56, s1
	v_cndmask_b32_e64 v59, v57, v33, s1
                                        ; implicit-def: $vgpr32_vgpr33
	v_cmp_le_i32_e64 s3, 0x80, v58
	v_cmp_gt_i32_e64 s4, 0x100, v59
	s_or_b32 s2, s3, s2
	s_and_b32 s2, s4, s2
	s_xor_b32 s3, s2, -1
	s_and_saveexec_b32 s4, s3
	s_xor_b32 s3, exec_lo, s4
; %bb.201:
	v_lshl_add_u32 v32, v58, 3, v50
	ds_read_b64 v[32:33], v32 offset:8
; %bb.202:
	s_or_saveexec_b32 s3, s3
	v_mov_b32_e32 v35, v31
	v_mov_b32_e32 v34, v30
	s_xor_b32 exec_lo, exec_lo, s3
	s_cbranch_execz .LBB189_204
; %bb.203:
	s_waitcnt lgkmcnt(0)
	v_lshl_add_u32 v32, v59, 3, v50
	ds_read_b64 v[34:35], v32 offset:8
	v_mov_b32_e32 v33, v29
	v_mov_b32_e32 v32, v28
.LBB189_204:
	s_or_b32 exec_lo, exec_lo, s3
	v_add_nc_u32_e32 v36, 1, v58
	v_add_nc_u32_e32 v37, 1, v59
	s_waitcnt lgkmcnt(0)
	v_cmp_lt_i64_e64 s3, v[34:35], v[32:33]
                                        ; implicit-def: $vgpr40_vgpr41
	v_cndmask_b32_e64 v60, v36, v58, s2
	v_cndmask_b32_e64 v61, v59, v37, s2
	v_cmp_le_i32_e64 s4, 0x80, v60
	v_cmp_gt_i32_e64 s5, 0x100, v61
	s_or_b32 s3, s4, s3
	s_and_b32 s3, s5, s3
	s_xor_b32 s4, s3, -1
	s_and_saveexec_b32 s5, s4
	s_xor_b32 s4, exec_lo, s5
; %bb.205:
	v_lshl_add_u32 v36, v60, 3, v50
	ds_read_b64 v[40:41], v36 offset:8
; %bb.206:
	s_or_saveexec_b32 s4, s4
	v_mov_b32_e32 v43, v35
	v_mov_b32_e32 v42, v34
	s_xor_b32 exec_lo, exec_lo, s4
	s_cbranch_execz .LBB189_208
; %bb.207:
	v_lshl_add_u32 v36, v61, 3, v50
	s_waitcnt lgkmcnt(0)
	v_mov_b32_e32 v41, v33
	v_mov_b32_e32 v40, v32
	ds_read_b64 v[42:43], v36 offset:8
.LBB189_208:
	s_or_b32 exec_lo, exec_lo, s4
	v_add_nc_u32_e32 v36, 1, v60
	v_add_nc_u32_e32 v37, 1, v61
	s_waitcnt lgkmcnt(0)
	v_cmp_lt_i64_e64 s4, v[42:43], v[40:41]
                                        ; implicit-def: $vgpr44_vgpr45
	v_cndmask_b32_e64 v62, v36, v60, s3
	v_cndmask_b32_e64 v63, v61, v37, s3
	v_cmp_le_i32_e64 s5, 0x80, v62
	v_cmp_gt_i32_e64 s6, 0x100, v63
	s_or_b32 s4, s5, s4
	s_and_b32 s4, s6, s4
	s_xor_b32 s5, s4, -1
	s_and_saveexec_b32 s6, s5
	s_xor_b32 s5, exec_lo, s6
; %bb.209:
	v_lshl_add_u32 v36, v62, 3, v50
	ds_read_b64 v[44:45], v36 offset:8
; %bb.210:
	s_or_saveexec_b32 s5, s5
	v_mov_b32_e32 v47, v43
	v_mov_b32_e32 v46, v42
	s_xor_b32 exec_lo, exec_lo, s5
	s_cbranch_execz .LBB189_212
; %bb.211:
	v_lshl_add_u32 v36, v63, 3, v50
	s_waitcnt lgkmcnt(0)
	v_mov_b32_e32 v45, v41
	v_mov_b32_e32 v44, v40
	ds_read_b64 v[46:47], v36 offset:8
.LBB189_212:
	s_or_b32 exec_lo, exec_lo, s5
	v_add_nc_u32_e32 v36, 1, v62
	v_add_nc_u32_e32 v37, 1, v63
	s_waitcnt lgkmcnt(0)
	v_cmp_lt_i64_e64 s5, v[46:47], v[44:45]
	v_cndmask_b32_e64 v64, v36, v62, s4
	v_cndmask_b32_e64 v65, v63, v37, s4
                                        ; implicit-def: $vgpr36_vgpr37
	v_cmp_le_i32_e64 s6, 0x80, v64
	v_cmp_gt_i32_e64 s7, 0x100, v65
	s_or_b32 s5, s6, s5
	s_and_b32 s5, s7, s5
	s_xor_b32 s6, s5, -1
	s_and_saveexec_b32 s7, s6
	s_xor_b32 s6, exec_lo, s7
; %bb.213:
	v_lshl_add_u32 v36, v64, 3, v50
	ds_read_b64 v[36:37], v36 offset:8
; %bb.214:
	s_or_saveexec_b32 s6, s6
	v_mov_b32_e32 v38, v46
	v_mov_b32_e32 v39, v47
	s_xor_b32 exec_lo, exec_lo, s6
	s_cbranch_execz .LBB189_216
; %bb.215:
	s_waitcnt lgkmcnt(0)
	v_lshl_add_u32 v36, v65, 3, v50
	ds_read_b64 v[38:39], v36 offset:8
	v_mov_b32_e32 v36, v44
	v_mov_b32_e32 v37, v45
.LBB189_216:
	s_or_b32 exec_lo, exec_lo, s6
	v_add_nc_u32_e32 v67, 1, v64
	v_add_nc_u32_e32 v66, 1, v65
	v_cndmask_b32_e64 v45, v45, v47, s5
	v_cndmask_b32_e64 v44, v44, v46, s5
	v_cndmask_b32_e64 v33, v33, v35, s3
	v_cndmask_b32_e64 v47, v67, v64, s5
	v_cndmask_b32_e64 v46, v65, v66, s5
	v_cndmask_b32_e64 v32, v32, v34, s3
	v_cndmask_b32_e64 v34, v60, v61, s3
	s_waitcnt lgkmcnt(0)
	v_cmp_lt_i64_e64 s3, v[38:39], v[36:37]
	v_cndmask_b32_e64 v41, v41, v43, s4
	v_cndmask_b32_e64 v40, v40, v42, s4
	;; [unrolled: 1-line block ×3, first 2 shown]
	v_cmp_le_i32_e64 s4, 0x80, v47
	v_cndmask_b32_e64 v29, v29, v31, s2
	v_cndmask_b32_e64 v28, v28, v30, s2
	;; [unrolled: 1-line block ×3, first 2 shown]
	v_cmp_gt_i32_e64 s2, 0x100, v46
	v_cndmask_b32_e32 v52, v52, v53, vcc_lo
	v_cndmask_b32_e64 v43, v54, v55, s0
	s_or_b32 s3, s4, s3
	v_cndmask_b32_e64 v35, v56, v57, s1
	s_and_b32 s2, s2, s3
	v_cndmask_b32_e64 v64, v64, v65, s5
	v_cndmask_b32_e64 v31, v37, v39, s2
	;; [unrolled: 1-line block ×3, first 2 shown]
	; wave barrier
	ds_write2_b64 v51, v[4:5], v[6:7] offset1:1
	ds_write2_b64 v51, v[0:1], v[2:3] offset0:2 offset1:3
	ds_write2_b64 v51, v[12:13], v[14:15] offset0:4 offset1:5
	;; [unrolled: 1-line block ×3, first 2 shown]
	v_lshl_add_u32 v0, v52, 3, v50
	v_lshl_add_u32 v1, v43, 3, v50
	;; [unrolled: 1-line block ×6, first 2 shown]
	; wave barrier
	v_lshl_add_u32 v30, v64, 3, v50
	v_lshl_add_u32 v34, v37, 3, v50
	ds_read_b64 v[12:13], v0
	ds_read_b64 v[14:15], v1
	;; [unrolled: 1-line block ×8, first 2 shown]
	v_cndmask_b32_e64 v20, v20, v22, s0
	v_or_b32_e32 v22, 0xffffff00, v48
	v_cndmask_b32_e32 v17, v17, v19, vcc_lo
	v_cndmask_b32_e32 v16, v16, v18, vcc_lo
	v_cmp_lt_i32_e32 vcc_lo, 0xff, v48
	v_cndmask_b32_e64 v21, v21, v23, s0
	v_cndmask_b32_e64 v25, v25, v27, s1
	;; [unrolled: 1-line block ×4, first 2 shown]
	v_cndmask_b32_e32 v52, 0, v22, vcc_lo
	s_mov_b32 s0, exec_lo
	; wave barrier
	ds_write2_b64 v51, v[16:17], v[20:21] offset1:1
	ds_write2_b64 v51, v[24:25], v[28:29] offset0:2 offset1:3
	ds_write2_b64 v51, v[32:33], v[40:41] offset0:4 offset1:5
	;; [unrolled: 1-line block ×3, first 2 shown]
	; wave barrier
	v_cmpx_lt_i32_e64 v52, v48
	s_cbranch_execz .LBB189_220
; %bb.217:
	v_lshlrev_b32_e32 v16, 3, v48
	v_mov_b32_e32 v17, v48
	s_mov_b32 s1, 0
	v_add3_u32 v16, 0x800, v50, v16
	.p2align	6
.LBB189_218:                            ; =>This Inner Loop Header: Depth=1
	v_sub_nc_u32_e32 v18, v17, v52
	v_lshrrev_b32_e32 v18, 1, v18
	v_add_nc_u32_e32 v22, v18, v52
	v_not_b32_e32 v18, v22
	v_lshl_add_u32 v19, v22, 3, v50
	v_lshl_add_u32 v20, v18, 3, v16
	ds_read_b64 v[18:19], v19
	ds_read_b64 v[20:21], v20
	s_waitcnt lgkmcnt(0)
	v_cmp_lt_i64_e32 vcc_lo, v[20:21], v[18:19]
	v_add_nc_u32_e32 v18, 1, v22
	v_cndmask_b32_e32 v17, v17, v22, vcc_lo
	v_cndmask_b32_e32 v52, v18, v52, vcc_lo
	v_cmp_ge_i32_e32 vcc_lo, v52, v17
	s_or_b32 s1, vcc_lo, s1
	s_andn2_b32 exec_lo, exec_lo, s1
	s_cbranch_execnz .LBB189_218
; %bb.219:
	s_or_b32 exec_lo, exec_lo, s1
.LBB189_220:
	s_or_b32 exec_lo, exec_lo, s0
	v_add_nc_u32_e32 v16, 0x100, v48
	v_lshl_add_u32 v22, v52, 3, v50
	v_cmp_le_i32_e64 s0, 0x100, v52
                                        ; implicit-def: $vgpr20_vgpr21
	v_sub_nc_u32_e32 v48, v16, v52
	v_lshl_add_u32 v24, v48, 3, v50
	v_cmp_gt_i32_e64 s1, 0x200, v48
	ds_read_b64 v[16:17], v22
	ds_read_b64 v[18:19], v24
	s_waitcnt lgkmcnt(0)
	v_cmp_lt_i64_e32 vcc_lo, v[18:19], v[16:17]
	s_or_b32 s0, s0, vcc_lo
	s_and_b32 vcc_lo, s1, s0
	s_xor_b32 s0, vcc_lo, -1
	s_and_saveexec_b32 s1, s0
	s_xor_b32 s0, exec_lo, s1
; %bb.221:
	ds_read_b64 v[20:21], v22 offset:8
                                        ; implicit-def: $vgpr24
; %bb.222:
	s_or_saveexec_b32 s0, s0
	v_mov_b32_e32 v23, v19
	v_mov_b32_e32 v22, v18
	s_xor_b32 exec_lo, exec_lo, s0
	s_cbranch_execz .LBB189_224
; %bb.223:
	ds_read_b64 v[22:23], v24 offset:8
	s_waitcnt lgkmcnt(1)
	v_mov_b32_e32 v21, v17
	v_mov_b32_e32 v20, v16
.LBB189_224:
	s_or_b32 exec_lo, exec_lo, s0
	v_add_nc_u32_e32 v24, 1, v52
	v_add_nc_u32_e32 v25, 1, v48
	s_waitcnt lgkmcnt(0)
	v_cmp_lt_i64_e64 s0, v[22:23], v[20:21]
	v_cndmask_b32_e32 v53, v24, v52, vcc_lo
	v_cndmask_b32_e32 v54, v48, v25, vcc_lo
                                        ; implicit-def: $vgpr24_vgpr25
	v_cmp_le_i32_e64 s1, 0x100, v53
	v_cmp_gt_i32_e64 s2, 0x200, v54
	s_or_b32 s0, s1, s0
	s_and_b32 s0, s2, s0
	s_xor_b32 s1, s0, -1
	s_and_saveexec_b32 s2, s1
	s_xor_b32 s1, exec_lo, s2
; %bb.225:
	v_lshl_add_u32 v24, v53, 3, v50
	ds_read_b64 v[24:25], v24 offset:8
; %bb.226:
	s_or_saveexec_b32 s1, s1
	v_mov_b32_e32 v27, v23
	v_mov_b32_e32 v26, v22
	s_xor_b32 exec_lo, exec_lo, s1
	s_cbranch_execz .LBB189_228
; %bb.227:
	s_waitcnt lgkmcnt(0)
	v_lshl_add_u32 v24, v54, 3, v50
	ds_read_b64 v[26:27], v24 offset:8
	v_mov_b32_e32 v25, v21
	v_mov_b32_e32 v24, v20
.LBB189_228:
	s_or_b32 exec_lo, exec_lo, s1
	v_add_nc_u32_e32 v28, 1, v53
	v_add_nc_u32_e32 v29, 1, v54
	s_waitcnt lgkmcnt(0)
	v_cmp_lt_i64_e64 s1, v[26:27], v[24:25]
	v_cndmask_b32_e64 v55, v28, v53, s0
	v_cndmask_b32_e64 v56, v54, v29, s0
                                        ; implicit-def: $vgpr28_vgpr29
	v_cmp_le_i32_e64 s2, 0x100, v55
	v_cmp_gt_i32_e64 s3, 0x200, v56
	s_or_b32 s1, s2, s1
	s_and_b32 s1, s3, s1
	s_xor_b32 s2, s1, -1
	s_and_saveexec_b32 s3, s2
	s_xor_b32 s2, exec_lo, s3
; %bb.229:
	v_lshl_add_u32 v28, v55, 3, v50
	ds_read_b64 v[28:29], v28 offset:8
; %bb.230:
	s_or_saveexec_b32 s2, s2
	v_mov_b32_e32 v31, v27
	v_mov_b32_e32 v30, v26
	s_xor_b32 exec_lo, exec_lo, s2
	s_cbranch_execz .LBB189_232
; %bb.231:
	s_waitcnt lgkmcnt(0)
	v_lshl_add_u32 v28, v56, 3, v50
	ds_read_b64 v[30:31], v28 offset:8
	v_mov_b32_e32 v29, v25
	v_mov_b32_e32 v28, v24
.LBB189_232:
	s_or_b32 exec_lo, exec_lo, s2
	v_add_nc_u32_e32 v32, 1, v55
	v_add_nc_u32_e32 v33, 1, v56
	s_waitcnt lgkmcnt(0)
	v_cmp_lt_i64_e64 s2, v[30:31], v[28:29]
	v_cndmask_b32_e64 v57, v32, v55, s1
	v_cndmask_b32_e64 v58, v56, v33, s1
                                        ; implicit-def: $vgpr32_vgpr33
	v_cmp_le_i32_e64 s3, 0x100, v57
	v_cmp_gt_i32_e64 s4, 0x200, v58
	s_or_b32 s2, s3, s2
	s_and_b32 s2, s4, s2
	s_xor_b32 s3, s2, -1
	s_and_saveexec_b32 s4, s3
	s_xor_b32 s3, exec_lo, s4
; %bb.233:
	v_lshl_add_u32 v32, v57, 3, v50
	ds_read_b64 v[32:33], v32 offset:8
; %bb.234:
	s_or_saveexec_b32 s3, s3
	v_mov_b32_e32 v35, v31
	v_mov_b32_e32 v34, v30
	s_xor_b32 exec_lo, exec_lo, s3
	s_cbranch_execz .LBB189_236
; %bb.235:
	s_waitcnt lgkmcnt(0)
	v_lshl_add_u32 v32, v58, 3, v50
	ds_read_b64 v[34:35], v32 offset:8
	v_mov_b32_e32 v33, v29
	v_mov_b32_e32 v32, v28
.LBB189_236:
	s_or_b32 exec_lo, exec_lo, s3
	v_add_nc_u32_e32 v36, 1, v57
	v_add_nc_u32_e32 v37, 1, v58
	s_waitcnt lgkmcnt(0)
	v_cmp_lt_i64_e64 s3, v[34:35], v[32:33]
                                        ; implicit-def: $vgpr38_vgpr39
	v_cndmask_b32_e64 v59, v36, v57, s2
	v_cndmask_b32_e64 v60, v58, v37, s2
	v_cmp_le_i32_e64 s4, 0x100, v59
	v_cmp_gt_i32_e64 s5, 0x200, v60
	s_or_b32 s3, s4, s3
	s_and_b32 s3, s5, s3
	s_xor_b32 s4, s3, -1
	s_and_saveexec_b32 s5, s4
	s_xor_b32 s4, exec_lo, s5
; %bb.237:
	v_lshl_add_u32 v36, v59, 3, v50
	ds_read_b64 v[38:39], v36 offset:8
; %bb.238:
	s_or_saveexec_b32 s4, s4
	v_mov_b32_e32 v43, v35
	v_mov_b32_e32 v42, v34
	s_xor_b32 exec_lo, exec_lo, s4
	s_cbranch_execz .LBB189_240
; %bb.239:
	v_lshl_add_u32 v36, v60, 3, v50
	s_waitcnt lgkmcnt(0)
	v_mov_b32_e32 v39, v33
	v_mov_b32_e32 v38, v32
	ds_read_b64 v[42:43], v36 offset:8
.LBB189_240:
	s_or_b32 exec_lo, exec_lo, s4
	v_add_nc_u32_e32 v36, 1, v59
	v_add_nc_u32_e32 v37, 1, v60
	s_waitcnt lgkmcnt(0)
	v_cmp_lt_i64_e64 s4, v[42:43], v[38:39]
                                        ; implicit-def: $vgpr46_vgpr47
	v_cndmask_b32_e64 v62, v36, v59, s3
	v_cndmask_b32_e64 v63, v60, v37, s3
	v_cmp_le_i32_e64 s5, 0x100, v62
	v_cmp_gt_i32_e64 s6, 0x200, v63
	s_or_b32 s4, s5, s4
	s_and_b32 s4, s6, s4
	s_xor_b32 s5, s4, -1
	s_and_saveexec_b32 s6, s5
	s_xor_b32 s5, exec_lo, s6
; %bb.241:
	v_lshl_add_u32 v36, v62, 3, v50
	ds_read_b64 v[46:47], v36 offset:8
; %bb.242:
	s_or_saveexec_b32 s5, s5
	v_mov_b32_e32 v36, v42
	v_mov_b32_e32 v37, v43
	s_xor_b32 exec_lo, exec_lo, s5
	s_cbranch_execz .LBB189_244
; %bb.243:
	v_lshl_add_u32 v36, v63, 3, v50
	s_waitcnt lgkmcnt(0)
	v_mov_b32_e32 v47, v39
	v_mov_b32_e32 v46, v38
	ds_read_b64 v[36:37], v36 offset:8
.LBB189_244:
	s_or_b32 exec_lo, exec_lo, s5
	v_add_nc_u32_e32 v40, 1, v62
	v_add_nc_u32_e32 v41, 1, v63
	s_waitcnt lgkmcnt(0)
	v_cmp_ge_i64_e64 s5, v[36:37], v[46:47]
                                        ; implicit-def: $vgpr44_vgpr45
                                        ; implicit-def: $vgpr64
	v_cndmask_b32_e64 v66, v40, v62, s4
	v_cndmask_b32_e64 v61, v63, v41, s4
	v_cmp_gt_i32_e64 s6, 0x100, v66
	v_cmp_le_i32_e64 s7, 0x200, v61
	s_and_b32 s5, s6, s5
	s_or_b32 s5, s7, s5
	s_and_saveexec_b32 s6, s5
	s_xor_b32 s5, exec_lo, s6
; %bb.245:
	v_lshl_add_u32 v40, v66, 3, v50
	v_add_nc_u32_e32 v64, 1, v66
	ds_read_b64 v[44:45], v40 offset:8
; %bb.246:
	s_or_saveexec_b32 s5, s5
	v_mov_b32_e32 v40, v46
	v_mov_b32_e32 v41, v47
	;; [unrolled: 1-line block ×3, first 2 shown]
	s_xor_b32 exec_lo, exec_lo, s5
	s_cbranch_execz .LBB189_248
; %bb.247:
	v_lshl_add_u32 v40, v61, 3, v50
	s_waitcnt lgkmcnt(0)
	v_add_nc_u32_e32 v44, 1, v61
	v_mov_b32_e32 v65, v61
	v_mov_b32_e32 v64, v66
	ds_read_b64 v[67:68], v40 offset:8
	v_mov_b32_e32 v41, v37
	v_mov_b32_e32 v40, v36
	;; [unrolled: 1-line block ×5, first 2 shown]
	s_waitcnt lgkmcnt(0)
	v_mov_b32_e32 v36, v67
	v_mov_b32_e32 v37, v68
.LBB189_248:
	s_or_b32 exec_lo, exec_lo, s5
	v_cndmask_b32_e64 v25, v25, v27, s1
	v_cndmask_b32_e64 v24, v24, v26, s1
	;; [unrolled: 1-line block ×3, first 2 shown]
	v_cndmask_b32_e32 v27, v52, v48, vcc_lo
	v_cndmask_b32_e64 v21, v21, v23, s0
	v_cndmask_b32_e64 v23, v55, v56, s1
	s_waitcnt lgkmcnt(0)
	v_cmp_lt_i64_e64 s1, v[36:37], v[44:45]
	v_cndmask_b32_e64 v20, v20, v22, s0
	v_cmp_le_i32_e64 s0, 0x100, v64
	; wave barrier
	ds_write2_b64 v51, v[12:13], v[14:15] offset1:1
	ds_write2_b64 v51, v[8:9], v[10:11] offset0:2 offset1:3
	ds_write2_b64 v51, v[4:5], v[6:7] offset0:4 offset1:5
	v_lshl_add_u32 v4, v27, 3, v50
	ds_write2_b64 v51, v[0:1], v[2:3] offset0:6 offset1:7
	v_lshl_add_u32 v2, v26, 3, v50
	v_cndmask_b32_e64 v22, v57, v58, s2
	v_cndmask_b32_e32 v17, v17, v19, vcc_lo
	v_cndmask_b32_e32 v16, v16, v18, vcc_lo
	v_cmp_gt_i32_e32 vcc_lo, 0x200, v61
	; wave barrier
	ds_read_b64 v[0:1], v4
	ds_read_b64 v[2:3], v2
	s_or_b32 s0, s0, s1
	v_lshl_add_u32 v4, v23, 3, v50
	v_cndmask_b32_e64 v19, v59, v60, s3
	v_lshl_add_u32 v6, v22, 3, v50
	v_cndmask_b32_e64 v18, v62, v63, s4
	s_and_b32 vcc_lo, vcc_lo, s0
	ds_read_b64 v[4:5], v4
	ds_read_b64 v[6:7], v6
	v_cndmask_b32_e32 v8, v64, v61, vcc_lo
	v_lshl_add_u32 v9, v19, 3, v50
	v_lshl_add_u32 v10, v18, 3, v50
	;; [unrolled: 1-line block ×3, first 2 shown]
	v_cndmask_b32_e32 v22, v45, v37, vcc_lo
	v_lshl_add_u32 v14, v8, 3, v50
	ds_read_b64 v[8:9], v9
	ds_read_b64 v[10:11], v10
	;; [unrolled: 1-line block ×4, first 2 shown]
	v_cndmask_b32_e32 v18, v44, v36, vcc_lo
	v_cndmask_b32_e64 v28, v28, v30, s2
	s_waitcnt lgkmcnt(7)
	v_add_co_u32 v0, vcc_lo, v0, v16
	v_add_co_ci_u32_e64 v1, null, v1, v17, vcc_lo
	s_waitcnt lgkmcnt(6)
	v_add_co_u32 v2, vcc_lo, v2, v20
	v_cndmask_b32_e64 v32, v32, v34, s3
	v_cndmask_b32_e64 v29, v29, v31, s2
	v_add_co_ci_u32_e64 v3, null, v3, v21, vcc_lo
	s_waitcnt lgkmcnt(5)
	v_add_co_u32 v4, vcc_lo, v4, v24
	v_cndmask_b32_e64 v38, v38, v42, s4
	v_cndmask_b32_e64 v33, v33, v35, s3
	v_add_co_ci_u32_e64 v5, null, v5, v25, vcc_lo
	s_waitcnt lgkmcnt(4)
	v_add_co_u32 v6, vcc_lo, v6, v28
	v_cndmask_b32_e64 v39, v39, v43, s4
	v_add_co_ci_u32_e64 v7, null, v7, v29, vcc_lo
	s_waitcnt lgkmcnt(3)
	v_add_co_u32 v8, vcc_lo, v8, v32
	v_add_co_ci_u32_e64 v9, null, v9, v33, vcc_lo
	s_waitcnt lgkmcnt(2)
	v_add_co_u32 v10, vcc_lo, v10, v38
	;; [unrolled: 3-line block ×3, first 2 shown]
	v_lshlrev_b32_e32 v16, 3, v49
	v_add_co_ci_u32_e64 v13, null, v13, v41, vcc_lo
	s_waitcnt lgkmcnt(0)
	v_add_co_u32 v14, vcc_lo, v14, v18
	s_add_u32 s0, s10, s12
	v_add_co_ci_u32_e64 v15, null, v15, v22, vcc_lo
	s_addc_u32 s1, s11, s13
	global_store_dwordx4 v16, v[0:3], s[0:1]
	global_store_dwordx4 v16, v[4:7], s[0:1] offset:16
	global_store_dwordx4 v16, v[8:11], s[0:1] offset:32
	;; [unrolled: 1-line block ×3, first 2 shown]
	s_endpgm
	.section	.rodata,"a",@progbits
	.p2align	6, 0x0
	.amdhsa_kernel _Z10sort_pairsILj256ELj64ELj8ExN10test_utils4lessEEvPKT2_PS2_T3_
		.amdhsa_group_segment_fixed_size 16416
		.amdhsa_private_segment_fixed_size 0
		.amdhsa_kernarg_size 20
		.amdhsa_user_sgpr_count 6
		.amdhsa_user_sgpr_private_segment_buffer 1
		.amdhsa_user_sgpr_dispatch_ptr 0
		.amdhsa_user_sgpr_queue_ptr 0
		.amdhsa_user_sgpr_kernarg_segment_ptr 1
		.amdhsa_user_sgpr_dispatch_id 0
		.amdhsa_user_sgpr_flat_scratch_init 0
		.amdhsa_user_sgpr_private_segment_size 0
		.amdhsa_wavefront_size32 1
		.amdhsa_uses_dynamic_stack 0
		.amdhsa_system_sgpr_private_segment_wavefront_offset 0
		.amdhsa_system_sgpr_workgroup_id_x 1
		.amdhsa_system_sgpr_workgroup_id_y 0
		.amdhsa_system_sgpr_workgroup_id_z 0
		.amdhsa_system_sgpr_workgroup_info 0
		.amdhsa_system_vgpr_workitem_id 0
		.amdhsa_next_free_vgpr 70
		.amdhsa_next_free_sgpr 14
		.amdhsa_reserve_vcc 1
		.amdhsa_reserve_flat_scratch 0
		.amdhsa_float_round_mode_32 0
		.amdhsa_float_round_mode_16_64 0
		.amdhsa_float_denorm_mode_32 3
		.amdhsa_float_denorm_mode_16_64 3
		.amdhsa_dx10_clamp 1
		.amdhsa_ieee_mode 1
		.amdhsa_fp16_overflow 0
		.amdhsa_workgroup_processor_mode 1
		.amdhsa_memory_ordered 1
		.amdhsa_forward_progress 1
		.amdhsa_shared_vgpr_count 0
		.amdhsa_exception_fp_ieee_invalid_op 0
		.amdhsa_exception_fp_denorm_src 0
		.amdhsa_exception_fp_ieee_div_zero 0
		.amdhsa_exception_fp_ieee_overflow 0
		.amdhsa_exception_fp_ieee_underflow 0
		.amdhsa_exception_fp_ieee_inexact 0
		.amdhsa_exception_int_div_zero 0
	.end_amdhsa_kernel
	.section	.text._Z10sort_pairsILj256ELj64ELj8ExN10test_utils4lessEEvPKT2_PS2_T3_,"axG",@progbits,_Z10sort_pairsILj256ELj64ELj8ExN10test_utils4lessEEvPKT2_PS2_T3_,comdat
.Lfunc_end189:
	.size	_Z10sort_pairsILj256ELj64ELj8ExN10test_utils4lessEEvPKT2_PS2_T3_, .Lfunc_end189-_Z10sort_pairsILj256ELj64ELj8ExN10test_utils4lessEEvPKT2_PS2_T3_
                                        ; -- End function
	.set _Z10sort_pairsILj256ELj64ELj8ExN10test_utils4lessEEvPKT2_PS2_T3_.num_vgpr, 70
	.set _Z10sort_pairsILj256ELj64ELj8ExN10test_utils4lessEEvPKT2_PS2_T3_.num_agpr, 0
	.set _Z10sort_pairsILj256ELj64ELj8ExN10test_utils4lessEEvPKT2_PS2_T3_.numbered_sgpr, 14
	.set _Z10sort_pairsILj256ELj64ELj8ExN10test_utils4lessEEvPKT2_PS2_T3_.num_named_barrier, 0
	.set _Z10sort_pairsILj256ELj64ELj8ExN10test_utils4lessEEvPKT2_PS2_T3_.private_seg_size, 0
	.set _Z10sort_pairsILj256ELj64ELj8ExN10test_utils4lessEEvPKT2_PS2_T3_.uses_vcc, 1
	.set _Z10sort_pairsILj256ELj64ELj8ExN10test_utils4lessEEvPKT2_PS2_T3_.uses_flat_scratch, 0
	.set _Z10sort_pairsILj256ELj64ELj8ExN10test_utils4lessEEvPKT2_PS2_T3_.has_dyn_sized_stack, 0
	.set _Z10sort_pairsILj256ELj64ELj8ExN10test_utils4lessEEvPKT2_PS2_T3_.has_recursion, 0
	.set _Z10sort_pairsILj256ELj64ELj8ExN10test_utils4lessEEvPKT2_PS2_T3_.has_indirect_call, 0
	.section	.AMDGPU.csdata,"",@progbits
; Kernel info:
; codeLenInByte = 12080
; TotalNumSgprs: 16
; NumVgprs: 70
; ScratchSize: 0
; MemoryBound: 1
; FloatMode: 240
; IeeeMode: 1
; LDSByteSize: 16416 bytes/workgroup (compile time only)
; SGPRBlocks: 0
; VGPRBlocks: 8
; NumSGPRsForWavesPerEU: 16
; NumVGPRsForWavesPerEU: 70
; Occupancy: 12
; WaveLimiterHint : 0
; COMPUTE_PGM_RSRC2:SCRATCH_EN: 0
; COMPUTE_PGM_RSRC2:USER_SGPR: 6
; COMPUTE_PGM_RSRC2:TRAP_HANDLER: 0
; COMPUTE_PGM_RSRC2:TGID_X_EN: 1
; COMPUTE_PGM_RSRC2:TGID_Y_EN: 0
; COMPUTE_PGM_RSRC2:TGID_Z_EN: 0
; COMPUTE_PGM_RSRC2:TIDIG_COMP_CNT: 0
	.section	.text._Z19sort_keys_segmentedILj256ELj64ELj8ExN10test_utils4lessEEvPKT2_PS2_PKjT3_,"axG",@progbits,_Z19sort_keys_segmentedILj256ELj64ELj8ExN10test_utils4lessEEvPKT2_PS2_PKjT3_,comdat
	.protected	_Z19sort_keys_segmentedILj256ELj64ELj8ExN10test_utils4lessEEvPKT2_PS2_PKjT3_ ; -- Begin function _Z19sort_keys_segmentedILj256ELj64ELj8ExN10test_utils4lessEEvPKT2_PS2_PKjT3_
	.globl	_Z19sort_keys_segmentedILj256ELj64ELj8ExN10test_utils4lessEEvPKT2_PS2_PKjT3_
	.p2align	8
	.type	_Z19sort_keys_segmentedILj256ELj64ELj8ExN10test_utils4lessEEvPKT2_PS2_PKjT3_,@function
_Z19sort_keys_segmentedILj256ELj64ELj8ExN10test_utils4lessEEvPKT2_PS2_PKjT3_: ; @_Z19sort_keys_segmentedILj256ELj64ELj8ExN10test_utils4lessEEvPKT2_PS2_PKjT3_
; %bb.0:
	s_clause 0x1
	s_load_dwordx2 s[0:1], s[4:5], 0x10
	s_load_dwordx4 s[16:19], s[4:5], 0x0
	v_lshrrev_b32_e32 v24, 6, v0
	v_mov_b32_e32 v1, 0
	v_lshl_or_b32 v0, s6, 2, v24
	v_lshlrev_b64 v[2:3], 2, v[0:1]
	v_lshlrev_b32_e32 v0, 9, v0
	v_lshlrev_b64 v[0:1], 3, v[0:1]
	s_waitcnt lgkmcnt(0)
	v_add_co_u32 v2, vcc_lo, s0, v2
	v_add_co_ci_u32_e64 v3, null, s1, v3, vcc_lo
	v_add_co_u32 v4, vcc_lo, s16, v0
	v_add_co_ci_u32_e64 v5, null, s17, v1, vcc_lo
	global_load_dword v34, v[2:3], off
	v_mbcnt_lo_u32_b32 v2, -1, 0
	v_lshlrev_b32_e32 v3, 6, v2
	v_lshlrev_b32_e32 v37, 3, v2
	v_add_co_u32 v4, vcc_lo, v4, v3
	v_add_co_ci_u32_e64 v5, null, 0, v5, vcc_lo
                                        ; implicit-def: $vgpr2_vgpr3
	s_waitcnt vmcnt(0)
	v_cmp_lt_u32_e32 vcc_lo, v37, v34
	s_and_saveexec_b32 s0, vcc_lo
	s_cbranch_execz .LBB190_2
; %bb.1:
	global_load_dwordx2 v[2:3], v[4:5], off
.LBB190_2:
	s_or_b32 exec_lo, exec_lo, s0
	v_or_b32_e32 v10, 1, v37
                                        ; implicit-def: $vgpr6_vgpr7
	v_cmp_lt_u32_e64 s0, v10, v34
	s_and_saveexec_b32 s1, s0
	s_cbranch_execz .LBB190_4
; %bb.3:
	global_load_dwordx2 v[6:7], v[4:5], off offset:8
.LBB190_4:
	s_or_b32 exec_lo, exec_lo, s1
	v_or_b32_e32 v11, 2, v37
                                        ; implicit-def: $vgpr8_vgpr9
	v_cmp_lt_u32_e64 s1, v11, v34
	s_and_saveexec_b32 s2, s1
	s_cbranch_execz .LBB190_6
; %bb.5:
	global_load_dwordx2 v[8:9], v[4:5], off offset:16
.LBB190_6:
	s_or_b32 exec_lo, exec_lo, s2
	v_or_b32_e32 v14, 3, v37
                                        ; implicit-def: $vgpr12_vgpr13
	v_cmp_lt_u32_e64 s2, v14, v34
	s_and_saveexec_b32 s3, s2
	s_cbranch_execz .LBB190_8
; %bb.7:
	global_load_dwordx2 v[12:13], v[4:5], off offset:24
.LBB190_8:
	s_or_b32 exec_lo, exec_lo, s3
	v_or_b32_e32 v15, 4, v37
                                        ; implicit-def: $vgpr16_vgpr17
	v_cmp_lt_u32_e64 s3, v15, v34
	s_and_saveexec_b32 s4, s3
	s_cbranch_execz .LBB190_10
; %bb.9:
	global_load_dwordx2 v[16:17], v[4:5], off offset:32
.LBB190_10:
	s_or_b32 exec_lo, exec_lo, s4
	v_or_b32_e32 v25, 5, v37
                                        ; implicit-def: $vgpr18_vgpr19
	v_cmp_lt_u32_e64 s4, v25, v34
	s_and_saveexec_b32 s5, s4
	s_cbranch_execz .LBB190_12
; %bb.11:
	global_load_dwordx2 v[18:19], v[4:5], off offset:40
.LBB190_12:
	s_or_b32 exec_lo, exec_lo, s5
	v_or_b32_e32 v26, 6, v37
                                        ; implicit-def: $vgpr20_vgpr21
	v_cmp_lt_u32_e64 s5, v26, v34
	s_and_saveexec_b32 s6, s5
	s_cbranch_execz .LBB190_14
; %bb.13:
	global_load_dwordx2 v[20:21], v[4:5], off offset:48
.LBB190_14:
	s_or_b32 exec_lo, exec_lo, s6
	v_or_b32_e32 v27, 7, v37
                                        ; implicit-def: $vgpr22_vgpr23
	v_cmp_lt_u32_e64 s6, v27, v34
	s_and_saveexec_b32 s7, s6
	s_cbranch_execz .LBB190_16
; %bb.15:
	global_load_dwordx2 v[22:23], v[4:5], off offset:56
.LBB190_16:
	s_or_b32 exec_lo, exec_lo, s7
	v_cmp_lt_i32_e64 s7, v10, v34
	v_cmp_lt_i32_e64 s8, v11, v34
	;; [unrolled: 1-line block ×3, first 2 shown]
	s_mov_b32 s10, exec_lo
	s_waitcnt vmcnt(0)
	v_cndmask_b32_e64 v11, 0x7fffffff, v7, s7
	v_cndmask_b32_e64 v10, -1, v6, s7
	v_cmp_lt_i32_e64 s7, v15, v34
	v_cndmask_b32_e64 v7, 0x7fffffff, v9, s8
	v_cndmask_b32_e64 v6, -1, v8, s8
	v_cndmask_b32_e64 v15, 0x7fffffff, v13, s9
	v_cndmask_b32_e64 v14, -1, v12, s9
	v_cndmask_b32_e64 v9, 0x7fffffff, v17, s7
	v_cmp_lt_i32_e64 s8, v25, v34
	v_cndmask_b32_e64 v8, -1, v16, s7
	v_cmp_lt_i32_e64 s7, v26, v34
	v_cmp_lt_i32_e64 s9, v27, v34
	v_cndmask_b32_e64 v17, 0x7fffffff, v19, s8
	v_cndmask_b32_e64 v16, -1, v18, s8
	v_cndmask_b32_e64 v13, 0x7fffffff, v21, s7
	v_cndmask_b32_e64 v12, -1, v20, s7
	;; [unrolled: 2-line block ×3, first 2 shown]
	v_cmpx_lt_i32_e64 v37, v34
	s_cbranch_execz .LBB190_18
; %bb.17:
	v_cmp_gt_i64_e64 s7, v[10:11], v[2:3]
	v_cmp_lt_i64_e64 s8, v[10:11], v[2:3]
	v_cmp_gt_i64_e64 s9, v[14:15], v[6:7]
	v_cndmask_b32_e64 v19, v3, v11, s7
	v_cndmask_b32_e64 v18, v2, v10, s7
	v_cmp_lt_i64_e64 s7, v[14:15], v[6:7]
	v_cndmask_b32_e64 v3, v3, v11, s8
	v_cndmask_b32_e64 v2, v2, v10, s8
	v_cmp_gt_i64_e64 s8, v[16:17], v[8:9]
	v_cndmask_b32_e64 v11, v7, v15, s9
	v_cndmask_b32_e64 v10, v6, v14, s9
	;; [unrolled: 1-line block ×3, first 2 shown]
	v_cmp_lt_i64_e64 s9, v[16:17], v[8:9]
	v_cndmask_b32_e64 v6, v6, v14, s7
	v_cmp_gt_i64_e64 s7, v[4:5], v[12:13]
	v_cndmask_b32_e64 v15, v9, v17, s8
	v_cndmask_b32_e64 v14, v8, v16, s8
	v_cmp_lt_i64_e64 s8, v[4:5], v[12:13]
	v_cndmask_b32_e64 v9, v9, v17, s9
	v_cndmask_b32_e64 v8, v8, v16, s9
	;; [unrolled: 1-line block ×4, first 2 shown]
	v_cmp_gt_i64_e64 s7, v[6:7], v[18:19]
	v_cndmask_b32_e64 v5, v13, v5, s8
	v_cmp_lt_i64_e64 s9, v[6:7], v[18:19]
	v_cndmask_b32_e64 v4, v12, v4, s8
	v_cmp_gt_i64_e64 s8, v[8:9], v[10:11]
	v_cndmask_b32_e64 v13, v19, v7, s7
	v_cndmask_b32_e64 v12, v18, v6, s7
	v_cmp_lt_i64_e64 s7, v[8:9], v[10:11]
	v_cndmask_b32_e64 v20, v18, v6, s9
	v_cndmask_b32_e64 v21, v19, v7, s9
	;; [unrolled: 1-line block ×4, first 2 shown]
	v_cmp_gt_i64_e64 s8, v[4:5], v[14:15]
	v_cndmask_b32_e64 v9, v11, v9, s7
	v_cmp_lt_i64_e64 s9, v[4:5], v[14:15]
	v_cndmask_b32_e64 v8, v10, v8, s7
	v_cmp_lt_i64_e64 s7, v[6:7], v[2:3]
	v_cndmask_b32_e64 v22, v14, v4, s8
	v_cndmask_b32_e64 v23, v15, v5, s8
	v_cmp_gt_i64_e64 s8, v[8:9], v[12:13]
	v_cndmask_b32_e64 v5, v15, v5, s9
	v_cndmask_b32_e64 v4, v14, v4, s9
	;; [unrolled: 1-line block ×6, first 2 shown]
	v_cmp_lt_i64_e64 s7, v[8:9], v[12:13]
	v_cndmask_b32_e64 v11, v13, v9, s8
	v_cndmask_b32_e64 v10, v12, v8, s8
	v_cmp_gt_i64_e64 s8, v[4:5], v[18:19]
	v_cmp_lt_i64_e64 s9, v[4:5], v[18:19]
	v_cndmask_b32_e64 v9, v13, v9, s7
	v_cndmask_b32_e64 v8, v12, v8, s7
	v_cmp_gt_i64_e64 s7, v[14:15], v[16:17]
	v_cndmask_b32_e64 v13, v19, v5, s8
	v_cndmask_b32_e64 v12, v18, v4, s8
	;; [unrolled: 1-line block ×3, first 2 shown]
	v_cmp_gt_i64_e64 s8, v[8:9], v[6:7]
	v_cndmask_b32_e64 v4, v18, v4, s9
	v_cndmask_b32_e64 v15, v17, v23, s7
	;; [unrolled: 1-line block ×5, first 2 shown]
	v_cmp_lt_i64_e64 s7, v[8:9], v[6:7]
	v_cndmask_b32_e64 v19, v7, v9, s8
	v_cmp_gt_i64_e64 s9, v[4:5], v[10:11]
	v_cndmask_b32_e64 v18, v6, v8, s8
	v_cmp_lt_i64_e64 s8, v[4:5], v[10:11]
	v_cndmask_b32_e64 v7, v7, v9, s7
	v_cndmask_b32_e64 v6, v6, v8, s7
	v_cmp_gt_i64_e64 s7, v[16:17], v[12:13]
	v_cndmask_b32_e64 v9, v11, v5, s9
	v_cndmask_b32_e64 v8, v10, v4, s9
	v_cndmask_b32_e64 v5, v11, v5, s8
	v_cndmask_b32_e64 v4, v10, v4, s8
	v_cmp_lt_i64_e64 s8, v[16:17], v[12:13]
	v_cndmask_b32_e64 v11, v13, v17, s7
	v_cmp_gt_i64_e64 s9, v[6:7], v[2:3]
	v_cndmask_b32_e64 v10, v12, v16, s7
	v_cmp_lt_i64_e64 s7, v[6:7], v[2:3]
	v_cndmask_b32_e64 v13, v13, v17, s8
	v_cndmask_b32_e64 v12, v12, v16, s8
	v_cmp_gt_i64_e64 s8, v[4:5], v[18:19]
	v_cndmask_b32_e64 v17, v3, v7, s9
	v_cndmask_b32_e64 v16, v2, v6, s9
	v_cndmask_b32_e64 v7, v3, v7, s7
	v_cndmask_b32_e64 v6, v2, v6, s7
	;; [unrolled: 12-line block ×4, first 2 shown]
	v_cmp_lt_i64_e64 s7, v[8:9], v[2:3]
	v_cndmask_b32_e64 v21, v3, v9, s8
	v_cndmask_b32_e64 v20, v2, v8, s8
	v_cmp_lt_i64_e64 s8, v[10:11], v[18:19]
	v_cmp_gt_i64_e64 s9, v[10:11], v[18:19]
	v_cndmask_b32_e64 v9, v3, v9, s7
	v_cndmask_b32_e64 v8, v2, v8, s7
	v_cmp_lt_i64_e64 s7, v[4:5], v[6:7]
	v_cndmask_b32_e64 v5, v19, v11, s8
	v_cndmask_b32_e64 v4, v18, v10, s8
	v_cmp_lt_i64_e64 s8, v[16:17], v[6:7]
	v_cndmask_b32_e64 v25, v18, v10, s9
	v_cndmask_b32_e64 v26, v19, v11, s9
	;; [unrolled: 1-line block ×3, first 2 shown]
	v_cmp_gt_i64_e64 s9, v[16:17], v[6:7]
	v_cndmask_b32_e64 v11, v17, v7, s7
	v_cmp_gt_i64_e64 s7, v[8:9], v[14:15]
	v_cndmask_b32_e64 v3, v7, v17, s8
	v_cndmask_b32_e64 v2, v6, v16, s8
	v_cmp_lt_i64_e64 s8, v[8:9], v[14:15]
	v_cndmask_b32_e64 v7, v7, v17, s9
	v_cndmask_b32_e64 v6, v6, v16, s9
	;; [unrolled: 1-line block ×4, first 2 shown]
	v_cmp_gt_i64_e64 s7, v[4:5], v[20:21]
	v_cndmask_b32_e64 v9, v15, v9, s8
	v_cmp_lt_i64_e64 s9, v[4:5], v[20:21]
	v_cndmask_b32_e64 v8, v14, v8, s8
	v_cmp_gt_i64_e64 s8, v[18:19], v[12:13]
	v_cndmask_b32_e64 v23, v21, v5, s7
	v_cndmask_b32_e64 v22, v20, v4, s7
	v_cmp_gt_i64_e64 s7, v[8:9], v[6:7]
	v_cndmask_b32_e64 v15, v21, v5, s9
	v_cndmask_b32_e64 v14, v20, v4, s9
	v_cmp_lt_i64_e64 s9, v[8:9], v[6:7]
	v_cndmask_b32_e64 v19, v26, v13, s8
	v_cndmask_b32_e64 v18, v25, v12, s8
	;; [unrolled: 1-line block ×4, first 2 shown]
	v_cmp_gt_i64_e64 s7, v[14:15], v[16:17]
	v_cndmask_b32_e64 v5, v13, v26, s8
	v_cndmask_b32_e64 v4, v12, v25, s8
	;; [unrolled: 1-line block ×4, first 2 shown]
	v_cmp_lt_i64_e64 s8, v[14:15], v[16:17]
	v_cndmask_b32_e64 v9, v17, v15, s7
	v_cmp_gt_i64_e64 s9, v[18:19], v[22:23]
	v_cndmask_b32_e64 v8, v16, v14, s7
	v_cmp_lt_i64_e64 s7, v[18:19], v[22:23]
	v_cndmask_b32_e64 v15, v17, v15, s8
	v_cndmask_b32_e64 v14, v16, v14, s8
	;; [unrolled: 1-line block ×6, first 2 shown]
.LBB190_18:
	s_or_b32 exec_lo, exec_lo, s10
	v_and_b32_e32 v18, 0xf0, v37
	v_and_b32_e32 v20, 8, v37
	v_lshlrev_b32_e32 v35, 3, v37
	v_mul_u32_u24_e32 v36, 0x1008, v24
	v_min_i32_e32 v18, v34, v18
	; wave barrier
	v_mad_u32_u24 v38, 0x1008, v24, v35
	s_mov_b32 s9, 0
	s_mov_b32 s8, exec_lo
	v_add_nc_u32_e32 v19, 8, v18
	v_lshlrev_b32_e32 v23, 3, v18
	ds_write2_b64 v38, v[2:3], v[10:11] offset1:1
	ds_write2_b64 v38, v[6:7], v[14:15] offset0:2 offset1:3
	ds_write2_b64 v38, v[8:9], v[16:17] offset0:4 offset1:5
	;; [unrolled: 1-line block ×3, first 2 shown]
	v_min_i32_e32 v42, v34, v19
	v_mad_u32_u24 v2, 0x1008, v24, v23
	; wave barrier
	v_add_nc_u32_e32 v19, 8, v42
	v_sub_nc_u32_e32 v22, v42, v18
	v_min_i32_e32 v40, v34, v19
	v_min_i32_e32 v19, v34, v20
	v_sub_nc_u32_e32 v20, v40, v42
	v_sub_nc_u32_e32 v21, v19, v20
	v_cmp_ge_i32_e64 s7, v19, v20
	v_cndmask_b32_e64 v20, 0, v21, s7
	v_min_i32_e32 v21, v19, v22
	v_cmpx_lt_i32_e64 v20, v21
	s_cbranch_execz .LBB190_22
; %bb.19:
	v_lshlrev_b32_e32 v3, 3, v42
	v_lshlrev_b32_e32 v4, 3, v19
	v_add3_u32 v3, v36, v3, v4
	.p2align	6
.LBB190_20:                             ; =>This Inner Loop Header: Depth=1
	v_sub_nc_u32_e32 v4, v21, v20
	v_lshrrev_b32_e32 v4, 1, v4
	v_add_nc_u32_e32 v8, v4, v20
	v_not_b32_e32 v4, v8
	v_lshl_add_u32 v5, v8, 3, v2
	v_lshl_add_u32 v6, v4, 3, v3
	ds_read_b64 v[4:5], v5
	ds_read_b64 v[6:7], v6
	s_waitcnt lgkmcnt(0)
	v_cmp_lt_i64_e64 s7, v[6:7], v[4:5]
	v_add_nc_u32_e32 v4, 1, v8
	v_cndmask_b32_e64 v21, v21, v8, s7
	v_cndmask_b32_e64 v20, v4, v20, s7
	v_cmp_ge_i32_e64 s7, v20, v21
	s_or_b32 s9, s7, s9
	s_andn2_b32 exec_lo, exec_lo, s9
	s_cbranch_execnz .LBB190_20
; %bb.21:
	s_or_b32 exec_lo, exec_lo, s9
.LBB190_22:
	s_or_b32 exec_lo, exec_lo, s8
	v_add_nc_u32_e32 v3, v42, v19
	v_lshl_add_u32 v8, v20, 3, v2
	v_add_nc_u32_e32 v11, v20, v18
                                        ; implicit-def: $vgpr6_vgpr7
	v_sub_nc_u32_e32 v10, v3, v20
	v_cmp_le_i32_e64 s8, v42, v11
	v_lshl_add_u32 v12, v10, 3, v36
	v_cmp_gt_i32_e64 s9, v40, v10
	ds_read_b64 v[2:3], v8
	ds_read_b64 v[4:5], v12
	s_waitcnt lgkmcnt(0)
	v_cmp_lt_i64_e64 s7, v[4:5], v[2:3]
	s_or_b32 s7, s8, s7
	s_and_b32 s7, s9, s7
	s_xor_b32 s8, s7, -1
	s_and_saveexec_b32 s9, s8
	s_xor_b32 s8, exec_lo, s9
; %bb.23:
	ds_read_b64 v[6:7], v8 offset:8
                                        ; implicit-def: $vgpr12
; %bb.24:
	s_or_saveexec_b32 s8, s8
	v_mov_b32_e32 v9, v5
	v_mov_b32_e32 v8, v4
	s_xor_b32 exec_lo, exec_lo, s8
	s_cbranch_execz .LBB190_26
; %bb.25:
	ds_read_b64 v[8:9], v12 offset:8
	s_waitcnt lgkmcnt(1)
	v_mov_b32_e32 v7, v3
	v_mov_b32_e32 v6, v2
.LBB190_26:
	s_or_b32 exec_lo, exec_lo, s8
	v_add_nc_u32_e32 v12, 1, v11
	v_add_nc_u32_e32 v13, 1, v10
	s_waitcnt lgkmcnt(0)
	v_cmp_lt_i64_e64 s8, v[8:9], v[6:7]
	v_cndmask_b32_e64 v15, v12, v11, s7
	v_cndmask_b32_e64 v14, v10, v13, s7
                                        ; implicit-def: $vgpr10_vgpr11
	v_cmp_ge_i32_e64 s9, v15, v42
	v_cmp_lt_i32_e64 s10, v14, v40
	s_or_b32 s8, s9, s8
	s_and_b32 s8, s10, s8
	s_xor_b32 s9, s8, -1
	s_and_saveexec_b32 s10, s9
	s_xor_b32 s9, exec_lo, s10
; %bb.27:
	v_lshl_add_u32 v10, v15, 3, v36
	ds_read_b64 v[10:11], v10 offset:8
; %bb.28:
	s_or_saveexec_b32 s9, s9
	v_mov_b32_e32 v13, v9
	v_mov_b32_e32 v12, v8
	s_xor_b32 exec_lo, exec_lo, s9
	s_cbranch_execz .LBB190_30
; %bb.29:
	s_waitcnt lgkmcnt(0)
	v_lshl_add_u32 v10, v14, 3, v36
	ds_read_b64 v[12:13], v10 offset:8
	v_mov_b32_e32 v11, v7
	v_mov_b32_e32 v10, v6
.LBB190_30:
	s_or_b32 exec_lo, exec_lo, s9
	v_add_nc_u32_e32 v16, 1, v15
	v_add_nc_u32_e32 v17, 1, v14
	s_waitcnt lgkmcnt(0)
	v_cmp_lt_i64_e64 s9, v[12:13], v[10:11]
	v_cndmask_b32_e64 v19, v16, v15, s8
	v_cndmask_b32_e64 v18, v14, v17, s8
                                        ; implicit-def: $vgpr14_vgpr15
	v_cmp_ge_i32_e64 s10, v19, v42
	v_cmp_lt_i32_e64 s11, v18, v40
	s_or_b32 s9, s10, s9
	s_and_b32 s9, s11, s9
	s_xor_b32 s10, s9, -1
	s_and_saveexec_b32 s11, s10
	s_xor_b32 s10, exec_lo, s11
; %bb.31:
	v_lshl_add_u32 v14, v19, 3, v36
	ds_read_b64 v[14:15], v14 offset:8
; %bb.32:
	s_or_saveexec_b32 s10, s10
	v_mov_b32_e32 v17, v13
	v_mov_b32_e32 v16, v12
	s_xor_b32 exec_lo, exec_lo, s10
	s_cbranch_execz .LBB190_34
; %bb.33:
	s_waitcnt lgkmcnt(0)
	v_lshl_add_u32 v14, v18, 3, v36
	ds_read_b64 v[16:17], v14 offset:8
	v_mov_b32_e32 v15, v11
	v_mov_b32_e32 v14, v10
.LBB190_34:
	s_or_b32 exec_lo, exec_lo, s10
	v_add_nc_u32_e32 v20, 1, v19
	v_add_nc_u32_e32 v21, 1, v18
	s_waitcnt lgkmcnt(0)
	v_cmp_lt_i64_e64 s10, v[16:17], v[14:15]
	v_cndmask_b32_e64 v23, v20, v19, s9
	v_cndmask_b32_e64 v22, v18, v21, s9
                                        ; implicit-def: $vgpr18_vgpr19
	v_cmp_ge_i32_e64 s11, v23, v42
	v_cmp_lt_i32_e64 s12, v22, v40
	s_or_b32 s10, s11, s10
	s_and_b32 s10, s12, s10
	s_xor_b32 s11, s10, -1
	s_and_saveexec_b32 s12, s11
	s_xor_b32 s11, exec_lo, s12
; %bb.35:
	v_lshl_add_u32 v18, v23, 3, v36
	ds_read_b64 v[18:19], v18 offset:8
; %bb.36:
	s_or_saveexec_b32 s11, s11
	v_mov_b32_e32 v21, v17
	v_mov_b32_e32 v20, v16
	s_xor_b32 exec_lo, exec_lo, s11
	s_cbranch_execz .LBB190_38
; %bb.37:
	s_waitcnt lgkmcnt(0)
	v_lshl_add_u32 v18, v22, 3, v36
	ds_read_b64 v[20:21], v18 offset:8
	v_mov_b32_e32 v19, v15
	v_mov_b32_e32 v18, v14
.LBB190_38:
	s_or_b32 exec_lo, exec_lo, s11
	v_add_nc_u32_e32 v24, 1, v23
	v_add_nc_u32_e32 v25, 1, v22
	s_waitcnt lgkmcnt(0)
	v_cmp_lt_i64_e64 s11, v[20:21], v[18:19]
	v_cndmask_b32_e64 v27, v24, v23, s10
	v_cndmask_b32_e64 v26, v22, v25, s10
                                        ; implicit-def: $vgpr22_vgpr23
	v_cmp_ge_i32_e64 s12, v27, v42
	v_cmp_lt_i32_e64 s13, v26, v40
	s_or_b32 s11, s12, s11
	s_and_b32 s11, s13, s11
	s_xor_b32 s12, s11, -1
	s_and_saveexec_b32 s13, s12
	s_xor_b32 s12, exec_lo, s13
; %bb.39:
	v_lshl_add_u32 v22, v27, 3, v36
	ds_read_b64 v[22:23], v22 offset:8
; %bb.40:
	s_or_saveexec_b32 s12, s12
	v_mov_b32_e32 v25, v21
	v_mov_b32_e32 v24, v20
	s_xor_b32 exec_lo, exec_lo, s12
	s_cbranch_execz .LBB190_42
; %bb.41:
	s_waitcnt lgkmcnt(0)
	v_lshl_add_u32 v22, v26, 3, v36
	ds_read_b64 v[24:25], v22 offset:8
	v_mov_b32_e32 v23, v19
	v_mov_b32_e32 v22, v18
.LBB190_42:
	s_or_b32 exec_lo, exec_lo, s12
	v_add_nc_u32_e32 v28, 1, v27
	v_add_nc_u32_e32 v30, 1, v26
	s_waitcnt lgkmcnt(0)
	v_cmp_lt_i64_e64 s12, v[24:25], v[22:23]
	v_cndmask_b32_e64 v29, v28, v27, s11
	v_cndmask_b32_e64 v28, v26, v30, s11
                                        ; implicit-def: $vgpr26_vgpr27
	v_cmp_ge_i32_e64 s13, v29, v42
	v_cmp_lt_i32_e64 s14, v28, v40
	s_or_b32 s12, s13, s12
	s_and_b32 s12, s14, s12
	s_xor_b32 s13, s12, -1
	s_and_saveexec_b32 s14, s13
	s_xor_b32 s13, exec_lo, s14
; %bb.43:
	v_lshl_add_u32 v26, v29, 3, v36
	ds_read_b64 v[26:27], v26 offset:8
; %bb.44:
	s_or_saveexec_b32 s13, s13
	v_mov_b32_e32 v31, v25
	v_mov_b32_e32 v30, v24
	s_xor_b32 exec_lo, exec_lo, s13
	s_cbranch_execz .LBB190_46
; %bb.45:
	s_waitcnt lgkmcnt(0)
	v_lshl_add_u32 v26, v28, 3, v36
	ds_read_b64 v[30:31], v26 offset:8
	v_mov_b32_e32 v27, v23
	v_mov_b32_e32 v26, v22
.LBB190_46:
	s_or_b32 exec_lo, exec_lo, s13
	v_add_nc_u32_e32 v32, 1, v29
	v_add_nc_u32_e32 v33, 1, v28
	s_waitcnt lgkmcnt(0)
	v_cmp_lt_i64_e64 s13, v[30:31], v[26:27]
	v_cndmask_b32_e64 v41, v32, v29, s12
	v_cndmask_b32_e64 v43, v28, v33, s12
                                        ; implicit-def: $vgpr28_vgpr29
	v_cmp_ge_i32_e64 s14, v41, v42
	v_cmp_lt_i32_e64 s15, v43, v40
	s_or_b32 s13, s14, s13
	s_and_b32 s13, s15, s13
	s_xor_b32 s14, s13, -1
	s_and_saveexec_b32 s15, s14
	s_xor_b32 s14, exec_lo, s15
; %bb.47:
	v_lshl_add_u32 v28, v41, 3, v36
	ds_read_b64 v[28:29], v28 offset:8
; %bb.48:
	s_or_saveexec_b32 s14, s14
	v_mov_b32_e32 v33, v31
	v_mov_b32_e32 v32, v30
	s_xor_b32 exec_lo, exec_lo, s14
	s_cbranch_execz .LBB190_50
; %bb.49:
	s_waitcnt lgkmcnt(0)
	v_lshl_add_u32 v28, v43, 3, v36
	ds_read_b64 v[32:33], v28 offset:8
	v_mov_b32_e32 v29, v27
	v_mov_b32_e32 v28, v26
.LBB190_50:
	s_or_b32 exec_lo, exec_lo, s14
	v_and_b32_e32 v39, 0xe0, v37
	v_cndmask_b32_e64 v30, v26, v30, s13
	v_cndmask_b32_e64 v19, v19, v21, s11
	v_add_nc_u32_e32 v44, 1, v41
	v_cndmask_b32_e64 v31, v27, v31, s13
	v_min_i32_e32 v26, v34, v39
	v_add_nc_u32_e32 v27, 1, v43
	v_cndmask_b32_e64 v11, v11, v13, s9
	v_cndmask_b32_e64 v13, v3, v5, s7
	;; [unrolled: 1-line block ×3, first 2 shown]
	v_add_nc_u32_e32 v21, 16, v26
	v_cndmask_b32_e64 v12, v2, v4, s7
	v_cndmask_b32_e64 v2, v44, v41, s13
	s_waitcnt lgkmcnt(0)
	v_cmp_lt_i64_e64 s7, v[32:33], v[28:29]
	v_and_b32_e32 v4, 24, v37
	v_min_i32_e32 v39, v34, v21
	v_cndmask_b32_e64 v9, v7, v9, s8
	v_cndmask_b32_e64 v8, v6, v8, s8
	v_cmp_ge_i32_e64 s8, v2, v42
	v_min_i32_e32 v2, v34, v4
	v_add_nc_u32_e32 v3, 16, v39
	v_cndmask_b32_e64 v15, v15, v17, s10
	v_cndmask_b32_e64 v14, v14, v16, s10
	s_or_b32 s7, s8, s7
	v_cndmask_b32_e64 v23, v23, v25, s12
	v_min_i32_e32 v41, v34, v3
	v_cndmask_b32_e64 v3, v43, v27, s13
	v_cndmask_b32_e64 v22, v22, v24, s12
	v_cndmask_b32_e64 v18, v18, v20, s11
	s_mov_b32 s8, exec_lo
	v_sub_nc_u32_e32 v4, v41, v39
	v_cmp_lt_i32_e64 s9, v3, v40
	v_sub_nc_u32_e32 v3, v39, v26
	; wave barrier
	v_sub_nc_u32_e32 v5, v2, v4
	s_and_b32 s7, s9, s7
	s_mov_b32 s9, 0
	v_cndmask_b32_e64 v17, v29, v33, s7
	v_cndmask_b32_e64 v16, v28, v32, s7
	v_cmp_ge_i32_e64 s7, v2, v4
	v_min_i32_e32 v4, v2, v3
	v_lshl_add_u32 v3, v26, 3, v36
	ds_write2_b64 v38, v[12:13], v[8:9] offset1:1
	ds_write2_b64 v38, v[10:11], v[14:15] offset0:2 offset1:3
	ds_write2_b64 v38, v[18:19], v[22:23] offset0:4 offset1:5
	;; [unrolled: 1-line block ×3, first 2 shown]
	v_cndmask_b32_e64 v6, 0, v5, s7
	; wave barrier
	v_cmpx_lt_i32_e64 v6, v4
	s_cbranch_execz .LBB190_54
; %bb.51:
	v_lshlrev_b32_e32 v5, 3, v39
	v_lshlrev_b32_e32 v7, 3, v2
	v_add3_u32 v5, v36, v5, v7
	.p2align	6
.LBB190_52:                             ; =>This Inner Loop Header: Depth=1
	v_sub_nc_u32_e32 v7, v4, v6
	v_lshrrev_b32_e32 v7, 1, v7
	v_add_nc_u32_e32 v11, v7, v6
	v_not_b32_e32 v7, v11
	v_lshl_add_u32 v8, v11, 3, v3
	v_lshl_add_u32 v9, v7, 3, v5
	ds_read_b64 v[7:8], v8
	ds_read_b64 v[9:10], v9
	s_waitcnt lgkmcnt(0)
	v_cmp_lt_i64_e64 s7, v[9:10], v[7:8]
	v_add_nc_u32_e32 v7, 1, v11
	v_cndmask_b32_e64 v4, v4, v11, s7
	v_cndmask_b32_e64 v6, v7, v6, s7
	v_cmp_ge_i32_e64 s7, v6, v4
	s_or_b32 s9, s7, s9
	s_andn2_b32 exec_lo, exec_lo, s9
	s_cbranch_execnz .LBB190_52
; %bb.53:
	s_or_b32 exec_lo, exec_lo, s9
.LBB190_54:
	s_or_b32 exec_lo, exec_lo, s8
	v_add_nc_u32_e32 v2, v39, v2
	v_lshl_add_u32 v8, v6, 3, v3
	v_add_nc_u32_e32 v11, v6, v26
	v_sub_nc_u32_e32 v10, v2, v6
                                        ; implicit-def: $vgpr6_vgpr7
	v_cmp_le_i32_e64 s8, v39, v11
	v_lshl_add_u32 v12, v10, 3, v36
	v_cmp_gt_i32_e64 s9, v41, v10
	ds_read_b64 v[2:3], v8
	ds_read_b64 v[4:5], v12
	s_waitcnt lgkmcnt(0)
	v_cmp_lt_i64_e64 s7, v[4:5], v[2:3]
	s_or_b32 s7, s8, s7
	s_and_b32 s7, s9, s7
	s_xor_b32 s8, s7, -1
	s_and_saveexec_b32 s9, s8
	s_xor_b32 s8, exec_lo, s9
; %bb.55:
	ds_read_b64 v[6:7], v8 offset:8
                                        ; implicit-def: $vgpr12
; %bb.56:
	s_or_saveexec_b32 s8, s8
	v_mov_b32_e32 v9, v5
	v_mov_b32_e32 v8, v4
	s_xor_b32 exec_lo, exec_lo, s8
	s_cbranch_execz .LBB190_58
; %bb.57:
	ds_read_b64 v[8:9], v12 offset:8
	s_waitcnt lgkmcnt(1)
	v_mov_b32_e32 v7, v3
	v_mov_b32_e32 v6, v2
.LBB190_58:
	s_or_b32 exec_lo, exec_lo, s8
	v_add_nc_u32_e32 v12, 1, v11
	v_add_nc_u32_e32 v13, 1, v10
	s_waitcnt lgkmcnt(0)
	v_cmp_lt_i64_e64 s8, v[8:9], v[6:7]
	v_cndmask_b32_e64 v15, v12, v11, s7
	v_cndmask_b32_e64 v14, v10, v13, s7
                                        ; implicit-def: $vgpr10_vgpr11
	v_cmp_ge_i32_e64 s9, v15, v39
	v_cmp_lt_i32_e64 s10, v14, v41
	s_or_b32 s8, s9, s8
	s_and_b32 s8, s10, s8
	s_xor_b32 s9, s8, -1
	s_and_saveexec_b32 s10, s9
	s_xor_b32 s9, exec_lo, s10
; %bb.59:
	v_lshl_add_u32 v10, v15, 3, v36
	ds_read_b64 v[10:11], v10 offset:8
; %bb.60:
	s_or_saveexec_b32 s9, s9
	v_mov_b32_e32 v13, v9
	v_mov_b32_e32 v12, v8
	s_xor_b32 exec_lo, exec_lo, s9
	s_cbranch_execz .LBB190_62
; %bb.61:
	s_waitcnt lgkmcnt(0)
	v_lshl_add_u32 v10, v14, 3, v36
	ds_read_b64 v[12:13], v10 offset:8
	v_mov_b32_e32 v11, v7
	v_mov_b32_e32 v10, v6
.LBB190_62:
	s_or_b32 exec_lo, exec_lo, s9
	v_add_nc_u32_e32 v16, 1, v15
	v_add_nc_u32_e32 v17, 1, v14
	s_waitcnt lgkmcnt(0)
	v_cmp_lt_i64_e64 s9, v[12:13], v[10:11]
	v_cndmask_b32_e64 v19, v16, v15, s8
	v_cndmask_b32_e64 v18, v14, v17, s8
                                        ; implicit-def: $vgpr14_vgpr15
	v_cmp_ge_i32_e64 s10, v19, v39
	v_cmp_lt_i32_e64 s11, v18, v41
	s_or_b32 s9, s10, s9
	s_and_b32 s9, s11, s9
	s_xor_b32 s10, s9, -1
	s_and_saveexec_b32 s11, s10
	s_xor_b32 s10, exec_lo, s11
; %bb.63:
	v_lshl_add_u32 v14, v19, 3, v36
	ds_read_b64 v[14:15], v14 offset:8
; %bb.64:
	s_or_saveexec_b32 s10, s10
	v_mov_b32_e32 v17, v13
	v_mov_b32_e32 v16, v12
	s_xor_b32 exec_lo, exec_lo, s10
	s_cbranch_execz .LBB190_66
; %bb.65:
	s_waitcnt lgkmcnt(0)
	v_lshl_add_u32 v14, v18, 3, v36
	ds_read_b64 v[16:17], v14 offset:8
	v_mov_b32_e32 v15, v11
	v_mov_b32_e32 v14, v10
.LBB190_66:
	s_or_b32 exec_lo, exec_lo, s10
	v_add_nc_u32_e32 v20, 1, v19
	v_add_nc_u32_e32 v21, 1, v18
	s_waitcnt lgkmcnt(0)
	v_cmp_lt_i64_e64 s10, v[16:17], v[14:15]
	v_cndmask_b32_e64 v23, v20, v19, s9
	v_cndmask_b32_e64 v22, v18, v21, s9
                                        ; implicit-def: $vgpr18_vgpr19
	v_cmp_ge_i32_e64 s11, v23, v39
	v_cmp_lt_i32_e64 s12, v22, v41
	s_or_b32 s10, s11, s10
	s_and_b32 s10, s12, s10
	s_xor_b32 s11, s10, -1
	s_and_saveexec_b32 s12, s11
	s_xor_b32 s11, exec_lo, s12
; %bb.67:
	v_lshl_add_u32 v18, v23, 3, v36
	ds_read_b64 v[18:19], v18 offset:8
; %bb.68:
	s_or_saveexec_b32 s11, s11
	v_mov_b32_e32 v21, v17
	v_mov_b32_e32 v20, v16
	s_xor_b32 exec_lo, exec_lo, s11
	s_cbranch_execz .LBB190_70
; %bb.69:
	s_waitcnt lgkmcnt(0)
	v_lshl_add_u32 v18, v22, 3, v36
	ds_read_b64 v[20:21], v18 offset:8
	v_mov_b32_e32 v19, v15
	v_mov_b32_e32 v18, v14
.LBB190_70:
	s_or_b32 exec_lo, exec_lo, s11
	v_add_nc_u32_e32 v24, 1, v23
	v_add_nc_u32_e32 v25, 1, v22
	s_waitcnt lgkmcnt(0)
	v_cmp_lt_i64_e64 s11, v[20:21], v[18:19]
	v_cndmask_b32_e64 v27, v24, v23, s10
	v_cndmask_b32_e64 v26, v22, v25, s10
                                        ; implicit-def: $vgpr22_vgpr23
	v_cmp_ge_i32_e64 s12, v27, v39
	v_cmp_lt_i32_e64 s13, v26, v41
	s_or_b32 s11, s12, s11
	s_and_b32 s11, s13, s11
	s_xor_b32 s12, s11, -1
	s_and_saveexec_b32 s13, s12
	s_xor_b32 s12, exec_lo, s13
; %bb.71:
	v_lshl_add_u32 v22, v27, 3, v36
	ds_read_b64 v[22:23], v22 offset:8
; %bb.72:
	s_or_saveexec_b32 s12, s12
	v_mov_b32_e32 v25, v21
	v_mov_b32_e32 v24, v20
	s_xor_b32 exec_lo, exec_lo, s12
	s_cbranch_execz .LBB190_74
; %bb.73:
	s_waitcnt lgkmcnt(0)
	v_lshl_add_u32 v22, v26, 3, v36
	ds_read_b64 v[24:25], v22 offset:8
	v_mov_b32_e32 v23, v19
	v_mov_b32_e32 v22, v18
.LBB190_74:
	s_or_b32 exec_lo, exec_lo, s12
	v_add_nc_u32_e32 v28, 1, v27
	v_add_nc_u32_e32 v30, 1, v26
	s_waitcnt lgkmcnt(0)
	v_cmp_lt_i64_e64 s12, v[24:25], v[22:23]
	v_cndmask_b32_e64 v29, v28, v27, s11
	v_cndmask_b32_e64 v28, v26, v30, s11
                                        ; implicit-def: $vgpr26_vgpr27
	v_cmp_ge_i32_e64 s13, v29, v39
	v_cmp_lt_i32_e64 s14, v28, v41
	s_or_b32 s12, s13, s12
	s_and_b32 s12, s14, s12
	s_xor_b32 s13, s12, -1
	s_and_saveexec_b32 s14, s13
	s_xor_b32 s13, exec_lo, s14
; %bb.75:
	v_lshl_add_u32 v26, v29, 3, v36
	ds_read_b64 v[26:27], v26 offset:8
; %bb.76:
	s_or_saveexec_b32 s13, s13
	v_mov_b32_e32 v31, v25
	v_mov_b32_e32 v30, v24
	s_xor_b32 exec_lo, exec_lo, s13
	s_cbranch_execz .LBB190_78
; %bb.77:
	s_waitcnt lgkmcnt(0)
	v_lshl_add_u32 v26, v28, 3, v36
	ds_read_b64 v[30:31], v26 offset:8
	v_mov_b32_e32 v27, v23
	v_mov_b32_e32 v26, v22
.LBB190_78:
	s_or_b32 exec_lo, exec_lo, s13
	v_add_nc_u32_e32 v32, 1, v29
	v_add_nc_u32_e32 v33, 1, v28
	s_waitcnt lgkmcnt(0)
	v_cmp_lt_i64_e64 s13, v[30:31], v[26:27]
	v_cndmask_b32_e64 v42, v32, v29, s12
	v_cndmask_b32_e64 v43, v28, v33, s12
                                        ; implicit-def: $vgpr28_vgpr29
	v_cmp_ge_i32_e64 s14, v42, v39
	v_cmp_lt_i32_e64 s15, v43, v41
	s_or_b32 s13, s14, s13
	s_and_b32 s13, s15, s13
	s_xor_b32 s14, s13, -1
	s_and_saveexec_b32 s15, s14
	s_xor_b32 s14, exec_lo, s15
; %bb.79:
	v_lshl_add_u32 v28, v42, 3, v36
	ds_read_b64 v[28:29], v28 offset:8
; %bb.80:
	s_or_saveexec_b32 s14, s14
	v_mov_b32_e32 v33, v31
	v_mov_b32_e32 v32, v30
	s_xor_b32 exec_lo, exec_lo, s14
	s_cbranch_execz .LBB190_82
; %bb.81:
	s_waitcnt lgkmcnt(0)
	v_lshl_add_u32 v28, v43, 3, v36
	ds_read_b64 v[32:33], v28 offset:8
	v_mov_b32_e32 v29, v27
	v_mov_b32_e32 v28, v26
.LBB190_82:
	s_or_b32 exec_lo, exec_lo, s14
	v_and_b32_e32 v40, 0xc0, v37
	v_cndmask_b32_e64 v30, v26, v30, s13
	v_cndmask_b32_e64 v19, v19, v21, s11
	v_add_nc_u32_e32 v44, 1, v42
	v_cndmask_b32_e64 v31, v27, v31, s13
	v_min_i32_e32 v26, v34, v40
	v_add_nc_u32_e32 v27, 1, v43
	v_cndmask_b32_e64 v11, v11, v13, s9
	v_cndmask_b32_e64 v13, v3, v5, s7
	v_cndmask_b32_e64 v10, v10, v12, s9
	v_add_nc_u32_e32 v21, 32, v26
	v_cndmask_b32_e64 v12, v2, v4, s7
	v_cndmask_b32_e64 v2, v44, v42, s13
	s_waitcnt lgkmcnt(0)
	v_cmp_lt_i64_e64 s7, v[32:33], v[28:29]
	v_and_b32_e32 v4, 56, v37
	v_min_i32_e32 v40, v34, v21
	v_cndmask_b32_e64 v9, v7, v9, s8
	v_cndmask_b32_e64 v8, v6, v8, s8
	v_cmp_ge_i32_e64 s8, v2, v39
	v_min_i32_e32 v2, v34, v4
	v_add_nc_u32_e32 v3, 32, v40
	v_cndmask_b32_e64 v15, v15, v17, s10
	v_cndmask_b32_e64 v14, v14, v16, s10
	s_or_b32 s7, s8, s7
	v_cndmask_b32_e64 v23, v23, v25, s12
	v_min_i32_e32 v42, v34, v3
	v_cndmask_b32_e64 v3, v43, v27, s13
	v_cndmask_b32_e64 v22, v22, v24, s12
	;; [unrolled: 1-line block ×3, first 2 shown]
	s_mov_b32 s8, exec_lo
	v_sub_nc_u32_e32 v4, v42, v40
	v_cmp_lt_i32_e64 s9, v3, v41
	v_sub_nc_u32_e32 v3, v40, v26
	; wave barrier
	v_sub_nc_u32_e32 v5, v2, v4
	s_and_b32 s7, s9, s7
	s_mov_b32 s9, 0
	v_cndmask_b32_e64 v17, v29, v33, s7
	v_cndmask_b32_e64 v16, v28, v32, s7
	v_cmp_ge_i32_e64 s7, v2, v4
	v_min_i32_e32 v4, v2, v3
	v_lshl_add_u32 v3, v26, 3, v36
	ds_write2_b64 v38, v[12:13], v[8:9] offset1:1
	ds_write2_b64 v38, v[10:11], v[14:15] offset0:2 offset1:3
	ds_write2_b64 v38, v[18:19], v[22:23] offset0:4 offset1:5
	;; [unrolled: 1-line block ×3, first 2 shown]
	v_cndmask_b32_e64 v6, 0, v5, s7
	; wave barrier
	v_cmpx_lt_i32_e64 v6, v4
	s_cbranch_execz .LBB190_86
; %bb.83:
	v_lshlrev_b32_e32 v5, 3, v40
	v_lshlrev_b32_e32 v7, 3, v2
	v_add3_u32 v5, v36, v5, v7
	.p2align	6
.LBB190_84:                             ; =>This Inner Loop Header: Depth=1
	v_sub_nc_u32_e32 v7, v4, v6
	v_lshrrev_b32_e32 v7, 1, v7
	v_add_nc_u32_e32 v11, v7, v6
	v_not_b32_e32 v7, v11
	v_lshl_add_u32 v8, v11, 3, v3
	v_lshl_add_u32 v9, v7, 3, v5
	ds_read_b64 v[7:8], v8
	ds_read_b64 v[9:10], v9
	s_waitcnt lgkmcnt(0)
	v_cmp_lt_i64_e64 s7, v[9:10], v[7:8]
	v_add_nc_u32_e32 v7, 1, v11
	v_cndmask_b32_e64 v4, v4, v11, s7
	v_cndmask_b32_e64 v6, v7, v6, s7
	v_cmp_ge_i32_e64 s7, v6, v4
	s_or_b32 s9, s7, s9
	s_andn2_b32 exec_lo, exec_lo, s9
	s_cbranch_execnz .LBB190_84
; %bb.85:
	s_or_b32 exec_lo, exec_lo, s9
.LBB190_86:
	s_or_b32 exec_lo, exec_lo, s8
	v_add_nc_u32_e32 v2, v40, v2
	v_lshl_add_u32 v8, v6, 3, v3
	v_add_nc_u32_e32 v11, v6, v26
	v_sub_nc_u32_e32 v10, v2, v6
                                        ; implicit-def: $vgpr6_vgpr7
	v_cmp_le_i32_e64 s8, v40, v11
	v_lshl_add_u32 v12, v10, 3, v36
	v_cmp_gt_i32_e64 s9, v42, v10
	ds_read_b64 v[2:3], v8
	ds_read_b64 v[4:5], v12
	s_waitcnt lgkmcnt(0)
	v_cmp_lt_i64_e64 s7, v[4:5], v[2:3]
	s_or_b32 s7, s8, s7
	s_and_b32 s7, s9, s7
	s_xor_b32 s8, s7, -1
	s_and_saveexec_b32 s9, s8
	s_xor_b32 s8, exec_lo, s9
; %bb.87:
	ds_read_b64 v[6:7], v8 offset:8
                                        ; implicit-def: $vgpr12
; %bb.88:
	s_or_saveexec_b32 s8, s8
	v_mov_b32_e32 v9, v5
	v_mov_b32_e32 v8, v4
	s_xor_b32 exec_lo, exec_lo, s8
	s_cbranch_execz .LBB190_90
; %bb.89:
	ds_read_b64 v[8:9], v12 offset:8
	s_waitcnt lgkmcnt(1)
	v_mov_b32_e32 v7, v3
	v_mov_b32_e32 v6, v2
.LBB190_90:
	s_or_b32 exec_lo, exec_lo, s8
	v_add_nc_u32_e32 v12, 1, v11
	v_add_nc_u32_e32 v13, 1, v10
	s_waitcnt lgkmcnt(0)
	v_cmp_lt_i64_e64 s8, v[8:9], v[6:7]
	v_cndmask_b32_e64 v15, v12, v11, s7
	v_cndmask_b32_e64 v14, v10, v13, s7
                                        ; implicit-def: $vgpr10_vgpr11
	v_cmp_ge_i32_e64 s9, v15, v40
	v_cmp_lt_i32_e64 s10, v14, v42
	s_or_b32 s8, s9, s8
	s_and_b32 s8, s10, s8
	s_xor_b32 s9, s8, -1
	s_and_saveexec_b32 s10, s9
	s_xor_b32 s9, exec_lo, s10
; %bb.91:
	v_lshl_add_u32 v10, v15, 3, v36
	ds_read_b64 v[10:11], v10 offset:8
; %bb.92:
	s_or_saveexec_b32 s9, s9
	v_mov_b32_e32 v13, v9
	v_mov_b32_e32 v12, v8
	s_xor_b32 exec_lo, exec_lo, s9
	s_cbranch_execz .LBB190_94
; %bb.93:
	s_waitcnt lgkmcnt(0)
	v_lshl_add_u32 v10, v14, 3, v36
	ds_read_b64 v[12:13], v10 offset:8
	v_mov_b32_e32 v11, v7
	v_mov_b32_e32 v10, v6
.LBB190_94:
	s_or_b32 exec_lo, exec_lo, s9
	v_add_nc_u32_e32 v16, 1, v15
	v_add_nc_u32_e32 v17, 1, v14
	s_waitcnt lgkmcnt(0)
	v_cmp_lt_i64_e64 s9, v[12:13], v[10:11]
	v_cndmask_b32_e64 v19, v16, v15, s8
	v_cndmask_b32_e64 v18, v14, v17, s8
                                        ; implicit-def: $vgpr14_vgpr15
	v_cmp_ge_i32_e64 s10, v19, v40
	v_cmp_lt_i32_e64 s11, v18, v42
	s_or_b32 s9, s10, s9
	s_and_b32 s9, s11, s9
	s_xor_b32 s10, s9, -1
	s_and_saveexec_b32 s11, s10
	s_xor_b32 s10, exec_lo, s11
; %bb.95:
	v_lshl_add_u32 v14, v19, 3, v36
	ds_read_b64 v[14:15], v14 offset:8
; %bb.96:
	s_or_saveexec_b32 s10, s10
	v_mov_b32_e32 v17, v13
	v_mov_b32_e32 v16, v12
	s_xor_b32 exec_lo, exec_lo, s10
	s_cbranch_execz .LBB190_98
; %bb.97:
	s_waitcnt lgkmcnt(0)
	v_lshl_add_u32 v14, v18, 3, v36
	ds_read_b64 v[16:17], v14 offset:8
	v_mov_b32_e32 v15, v11
	v_mov_b32_e32 v14, v10
.LBB190_98:
	s_or_b32 exec_lo, exec_lo, s10
	v_add_nc_u32_e32 v20, 1, v19
	v_add_nc_u32_e32 v21, 1, v18
	s_waitcnt lgkmcnt(0)
	v_cmp_lt_i64_e64 s10, v[16:17], v[14:15]
	v_cndmask_b32_e64 v23, v20, v19, s9
	v_cndmask_b32_e64 v22, v18, v21, s9
                                        ; implicit-def: $vgpr18_vgpr19
	v_cmp_ge_i32_e64 s11, v23, v40
	v_cmp_lt_i32_e64 s12, v22, v42
	s_or_b32 s10, s11, s10
	s_and_b32 s10, s12, s10
	s_xor_b32 s11, s10, -1
	s_and_saveexec_b32 s12, s11
	s_xor_b32 s11, exec_lo, s12
; %bb.99:
	v_lshl_add_u32 v18, v23, 3, v36
	ds_read_b64 v[18:19], v18 offset:8
; %bb.100:
	s_or_saveexec_b32 s11, s11
	v_mov_b32_e32 v21, v17
	v_mov_b32_e32 v20, v16
	s_xor_b32 exec_lo, exec_lo, s11
	s_cbranch_execz .LBB190_102
; %bb.101:
	s_waitcnt lgkmcnt(0)
	v_lshl_add_u32 v18, v22, 3, v36
	ds_read_b64 v[20:21], v18 offset:8
	v_mov_b32_e32 v19, v15
	v_mov_b32_e32 v18, v14
.LBB190_102:
	s_or_b32 exec_lo, exec_lo, s11
	v_add_nc_u32_e32 v24, 1, v23
	v_add_nc_u32_e32 v25, 1, v22
	s_waitcnt lgkmcnt(0)
	v_cmp_lt_i64_e64 s11, v[20:21], v[18:19]
	v_cndmask_b32_e64 v27, v24, v23, s10
	v_cndmask_b32_e64 v26, v22, v25, s10
                                        ; implicit-def: $vgpr22_vgpr23
	v_cmp_ge_i32_e64 s12, v27, v40
	v_cmp_lt_i32_e64 s13, v26, v42
	s_or_b32 s11, s12, s11
	s_and_b32 s11, s13, s11
	s_xor_b32 s12, s11, -1
	s_and_saveexec_b32 s13, s12
	s_xor_b32 s12, exec_lo, s13
; %bb.103:
	v_lshl_add_u32 v22, v27, 3, v36
	ds_read_b64 v[22:23], v22 offset:8
; %bb.104:
	s_or_saveexec_b32 s12, s12
	v_mov_b32_e32 v25, v21
	v_mov_b32_e32 v24, v20
	s_xor_b32 exec_lo, exec_lo, s12
	s_cbranch_execz .LBB190_106
; %bb.105:
	s_waitcnt lgkmcnt(0)
	v_lshl_add_u32 v22, v26, 3, v36
	ds_read_b64 v[24:25], v22 offset:8
	v_mov_b32_e32 v23, v19
	v_mov_b32_e32 v22, v18
.LBB190_106:
	s_or_b32 exec_lo, exec_lo, s12
	v_add_nc_u32_e32 v28, 1, v27
	v_add_nc_u32_e32 v30, 1, v26
	s_waitcnt lgkmcnt(0)
	v_cmp_lt_i64_e64 s12, v[24:25], v[22:23]
	v_cndmask_b32_e64 v29, v28, v27, s11
	v_cndmask_b32_e64 v28, v26, v30, s11
                                        ; implicit-def: $vgpr26_vgpr27
	v_cmp_ge_i32_e64 s13, v29, v40
	v_cmp_lt_i32_e64 s14, v28, v42
	s_or_b32 s12, s13, s12
	s_and_b32 s12, s14, s12
	s_xor_b32 s13, s12, -1
	s_and_saveexec_b32 s14, s13
	s_xor_b32 s13, exec_lo, s14
; %bb.107:
	v_lshl_add_u32 v26, v29, 3, v36
	ds_read_b64 v[26:27], v26 offset:8
; %bb.108:
	s_or_saveexec_b32 s13, s13
	v_mov_b32_e32 v31, v25
	v_mov_b32_e32 v30, v24
	s_xor_b32 exec_lo, exec_lo, s13
	s_cbranch_execz .LBB190_110
; %bb.109:
	s_waitcnt lgkmcnt(0)
	v_lshl_add_u32 v26, v28, 3, v36
	ds_read_b64 v[30:31], v26 offset:8
	v_mov_b32_e32 v27, v23
	v_mov_b32_e32 v26, v22
.LBB190_110:
	s_or_b32 exec_lo, exec_lo, s13
	v_add_nc_u32_e32 v32, 1, v29
	v_add_nc_u32_e32 v33, 1, v28
	s_waitcnt lgkmcnt(0)
	v_cmp_lt_i64_e64 s13, v[30:31], v[26:27]
	v_cndmask_b32_e64 v43, v32, v29, s12
	v_cndmask_b32_e64 v39, v28, v33, s12
                                        ; implicit-def: $vgpr28_vgpr29
	v_cmp_ge_i32_e64 s14, v43, v40
	v_cmp_lt_i32_e64 s15, v39, v42
	s_or_b32 s13, s14, s13
	s_and_b32 s13, s15, s13
	s_xor_b32 s14, s13, -1
	s_and_saveexec_b32 s15, s14
	s_xor_b32 s14, exec_lo, s15
; %bb.111:
	v_lshl_add_u32 v28, v43, 3, v36
	ds_read_b64 v[28:29], v28 offset:8
; %bb.112:
	s_or_saveexec_b32 s14, s14
	v_mov_b32_e32 v33, v31
	v_mov_b32_e32 v32, v30
	s_xor_b32 exec_lo, exec_lo, s14
	s_cbranch_execz .LBB190_114
; %bb.113:
	s_waitcnt lgkmcnt(0)
	v_lshl_add_u32 v28, v39, 3, v36
	ds_read_b64 v[32:33], v28 offset:8
	v_mov_b32_e32 v29, v27
	v_mov_b32_e32 v28, v26
.LBB190_114:
	s_or_b32 exec_lo, exec_lo, s14
	v_and_b32_e32 v41, 0x80, v37
	v_cndmask_b32_e64 v30, v26, v30, s13
	v_cndmask_b32_e64 v19, v19, v21, s11
	v_add_nc_u32_e32 v44, 1, v43
	v_cndmask_b32_e64 v31, v27, v31, s13
	v_min_i32_e32 v26, v34, v41
	v_add_nc_u32_e32 v27, 1, v39
	v_cndmask_b32_e64 v11, v11, v13, s9
	v_cndmask_b32_e64 v13, v3, v5, s7
	;; [unrolled: 1-line block ×3, first 2 shown]
	v_add_nc_u32_e32 v21, 64, v26
	v_cndmask_b32_e64 v12, v2, v4, s7
	v_cndmask_b32_e64 v2, v44, v43, s13
	s_waitcnt lgkmcnt(0)
	v_cmp_lt_i64_e64 s7, v[32:33], v[28:29]
	v_and_b32_e32 v4, 0x78, v37
	v_min_i32_e32 v41, v34, v21
	v_cndmask_b32_e64 v9, v7, v9, s8
	v_cndmask_b32_e64 v8, v6, v8, s8
	v_cmp_ge_i32_e64 s8, v2, v40
	v_min_i32_e32 v2, v34, v4
	v_add_nc_u32_e32 v3, 64, v41
	v_cndmask_b32_e64 v15, v15, v17, s10
	v_cndmask_b32_e64 v14, v14, v16, s10
	s_or_b32 s7, s8, s7
	v_cndmask_b32_e64 v23, v23, v25, s12
	v_min_i32_e32 v43, v34, v3
	v_cndmask_b32_e64 v3, v39, v27, s13
	v_cndmask_b32_e64 v22, v22, v24, s12
	;; [unrolled: 1-line block ×3, first 2 shown]
	s_mov_b32 s8, exec_lo
	v_sub_nc_u32_e32 v4, v43, v41
	v_cmp_lt_i32_e64 s9, v3, v42
	v_sub_nc_u32_e32 v3, v41, v26
	; wave barrier
	v_sub_nc_u32_e32 v5, v2, v4
	s_and_b32 s7, s9, s7
	s_mov_b32 s9, 0
	v_cndmask_b32_e64 v17, v29, v33, s7
	v_cndmask_b32_e64 v16, v28, v32, s7
	v_cmp_ge_i32_e64 s7, v2, v4
	v_min_i32_e32 v4, v2, v3
	v_lshl_add_u32 v3, v26, 3, v36
	ds_write2_b64 v38, v[12:13], v[8:9] offset1:1
	ds_write2_b64 v38, v[10:11], v[14:15] offset0:2 offset1:3
	ds_write2_b64 v38, v[18:19], v[22:23] offset0:4 offset1:5
	;; [unrolled: 1-line block ×3, first 2 shown]
	v_cndmask_b32_e64 v6, 0, v5, s7
	; wave barrier
	v_cmpx_lt_i32_e64 v6, v4
	s_cbranch_execz .LBB190_118
; %bb.115:
	v_lshlrev_b32_e32 v5, 3, v41
	v_lshlrev_b32_e32 v7, 3, v2
	v_add3_u32 v5, v36, v5, v7
	.p2align	6
.LBB190_116:                            ; =>This Inner Loop Header: Depth=1
	v_sub_nc_u32_e32 v7, v4, v6
	v_lshrrev_b32_e32 v7, 1, v7
	v_add_nc_u32_e32 v11, v7, v6
	v_not_b32_e32 v7, v11
	v_lshl_add_u32 v8, v11, 3, v3
	v_lshl_add_u32 v9, v7, 3, v5
	ds_read_b64 v[7:8], v8
	ds_read_b64 v[9:10], v9
	s_waitcnt lgkmcnt(0)
	v_cmp_lt_i64_e64 s7, v[9:10], v[7:8]
	v_add_nc_u32_e32 v7, 1, v11
	v_cndmask_b32_e64 v4, v4, v11, s7
	v_cndmask_b32_e64 v6, v7, v6, s7
	v_cmp_ge_i32_e64 s7, v6, v4
	s_or_b32 s9, s7, s9
	s_andn2_b32 exec_lo, exec_lo, s9
	s_cbranch_execnz .LBB190_116
; %bb.117:
	s_or_b32 exec_lo, exec_lo, s9
.LBB190_118:
	s_or_b32 exec_lo, exec_lo, s8
	v_add_nc_u32_e32 v2, v41, v2
	v_lshl_add_u32 v8, v6, 3, v3
	v_add_nc_u32_e32 v11, v6, v26
	v_sub_nc_u32_e32 v10, v2, v6
                                        ; implicit-def: $vgpr6_vgpr7
	v_cmp_le_i32_e64 s8, v41, v11
	v_lshl_add_u32 v12, v10, 3, v36
	v_cmp_gt_i32_e64 s9, v43, v10
	ds_read_b64 v[2:3], v8
	ds_read_b64 v[4:5], v12
	s_waitcnt lgkmcnt(0)
	v_cmp_lt_i64_e64 s7, v[4:5], v[2:3]
	s_or_b32 s7, s8, s7
	s_and_b32 s7, s9, s7
	s_xor_b32 s8, s7, -1
	s_and_saveexec_b32 s9, s8
	s_xor_b32 s8, exec_lo, s9
; %bb.119:
	ds_read_b64 v[6:7], v8 offset:8
                                        ; implicit-def: $vgpr12
; %bb.120:
	s_or_saveexec_b32 s8, s8
	v_mov_b32_e32 v9, v5
	v_mov_b32_e32 v8, v4
	s_xor_b32 exec_lo, exec_lo, s8
	s_cbranch_execz .LBB190_122
; %bb.121:
	ds_read_b64 v[8:9], v12 offset:8
	s_waitcnt lgkmcnt(1)
	v_mov_b32_e32 v7, v3
	v_mov_b32_e32 v6, v2
.LBB190_122:
	s_or_b32 exec_lo, exec_lo, s8
	v_add_nc_u32_e32 v12, 1, v11
	v_add_nc_u32_e32 v13, 1, v10
	s_waitcnt lgkmcnt(0)
	v_cmp_lt_i64_e64 s8, v[8:9], v[6:7]
	v_cndmask_b32_e64 v15, v12, v11, s7
	v_cndmask_b32_e64 v14, v10, v13, s7
                                        ; implicit-def: $vgpr10_vgpr11
	v_cmp_ge_i32_e64 s9, v15, v41
	v_cmp_lt_i32_e64 s10, v14, v43
	s_or_b32 s8, s9, s8
	s_and_b32 s8, s10, s8
	s_xor_b32 s9, s8, -1
	s_and_saveexec_b32 s10, s9
	s_xor_b32 s9, exec_lo, s10
; %bb.123:
	v_lshl_add_u32 v10, v15, 3, v36
	ds_read_b64 v[10:11], v10 offset:8
; %bb.124:
	s_or_saveexec_b32 s9, s9
	v_mov_b32_e32 v13, v9
	v_mov_b32_e32 v12, v8
	s_xor_b32 exec_lo, exec_lo, s9
	s_cbranch_execz .LBB190_126
; %bb.125:
	s_waitcnt lgkmcnt(0)
	v_lshl_add_u32 v10, v14, 3, v36
	ds_read_b64 v[12:13], v10 offset:8
	v_mov_b32_e32 v11, v7
	v_mov_b32_e32 v10, v6
.LBB190_126:
	s_or_b32 exec_lo, exec_lo, s9
	v_add_nc_u32_e32 v16, 1, v15
	v_add_nc_u32_e32 v17, 1, v14
	s_waitcnt lgkmcnt(0)
	v_cmp_lt_i64_e64 s9, v[12:13], v[10:11]
	v_cndmask_b32_e64 v19, v16, v15, s8
	v_cndmask_b32_e64 v18, v14, v17, s8
                                        ; implicit-def: $vgpr14_vgpr15
	v_cmp_ge_i32_e64 s10, v19, v41
	v_cmp_lt_i32_e64 s11, v18, v43
	s_or_b32 s9, s10, s9
	s_and_b32 s9, s11, s9
	s_xor_b32 s10, s9, -1
	s_and_saveexec_b32 s11, s10
	s_xor_b32 s10, exec_lo, s11
; %bb.127:
	v_lshl_add_u32 v14, v19, 3, v36
	ds_read_b64 v[14:15], v14 offset:8
; %bb.128:
	s_or_saveexec_b32 s10, s10
	v_mov_b32_e32 v17, v13
	v_mov_b32_e32 v16, v12
	s_xor_b32 exec_lo, exec_lo, s10
	s_cbranch_execz .LBB190_130
; %bb.129:
	s_waitcnt lgkmcnt(0)
	v_lshl_add_u32 v14, v18, 3, v36
	ds_read_b64 v[16:17], v14 offset:8
	v_mov_b32_e32 v15, v11
	v_mov_b32_e32 v14, v10
.LBB190_130:
	s_or_b32 exec_lo, exec_lo, s10
	v_add_nc_u32_e32 v20, 1, v19
	v_add_nc_u32_e32 v21, 1, v18
	s_waitcnt lgkmcnt(0)
	v_cmp_lt_i64_e64 s10, v[16:17], v[14:15]
	v_cndmask_b32_e64 v23, v20, v19, s9
	v_cndmask_b32_e64 v22, v18, v21, s9
                                        ; implicit-def: $vgpr18_vgpr19
	v_cmp_ge_i32_e64 s11, v23, v41
	v_cmp_lt_i32_e64 s12, v22, v43
	s_or_b32 s10, s11, s10
	s_and_b32 s10, s12, s10
	s_xor_b32 s11, s10, -1
	s_and_saveexec_b32 s12, s11
	s_xor_b32 s11, exec_lo, s12
; %bb.131:
	v_lshl_add_u32 v18, v23, 3, v36
	ds_read_b64 v[18:19], v18 offset:8
; %bb.132:
	s_or_saveexec_b32 s11, s11
	v_mov_b32_e32 v21, v17
	v_mov_b32_e32 v20, v16
	s_xor_b32 exec_lo, exec_lo, s11
	s_cbranch_execz .LBB190_134
; %bb.133:
	s_waitcnt lgkmcnt(0)
	v_lshl_add_u32 v18, v22, 3, v36
	ds_read_b64 v[20:21], v18 offset:8
	v_mov_b32_e32 v19, v15
	v_mov_b32_e32 v18, v14
.LBB190_134:
	s_or_b32 exec_lo, exec_lo, s11
	v_add_nc_u32_e32 v24, 1, v23
	v_add_nc_u32_e32 v25, 1, v22
	s_waitcnt lgkmcnt(0)
	v_cmp_lt_i64_e64 s11, v[20:21], v[18:19]
	v_cndmask_b32_e64 v27, v24, v23, s10
	v_cndmask_b32_e64 v26, v22, v25, s10
                                        ; implicit-def: $vgpr22_vgpr23
	v_cmp_ge_i32_e64 s12, v27, v41
	v_cmp_lt_i32_e64 s13, v26, v43
	s_or_b32 s11, s12, s11
	s_and_b32 s11, s13, s11
	s_xor_b32 s12, s11, -1
	s_and_saveexec_b32 s13, s12
	s_xor_b32 s12, exec_lo, s13
; %bb.135:
	v_lshl_add_u32 v22, v27, 3, v36
	ds_read_b64 v[22:23], v22 offset:8
; %bb.136:
	s_or_saveexec_b32 s12, s12
	v_mov_b32_e32 v25, v21
	v_mov_b32_e32 v24, v20
	s_xor_b32 exec_lo, exec_lo, s12
	s_cbranch_execz .LBB190_138
; %bb.137:
	s_waitcnt lgkmcnt(0)
	v_lshl_add_u32 v22, v26, 3, v36
	ds_read_b64 v[24:25], v22 offset:8
	v_mov_b32_e32 v23, v19
	v_mov_b32_e32 v22, v18
.LBB190_138:
	s_or_b32 exec_lo, exec_lo, s12
	v_add_nc_u32_e32 v28, 1, v27
	v_add_nc_u32_e32 v29, 1, v26
	s_waitcnt lgkmcnt(0)
	v_cmp_lt_i64_e64 s12, v[24:25], v[22:23]
	v_cndmask_b32_e64 v31, v28, v27, s11
	v_cndmask_b32_e64 v30, v26, v29, s11
                                        ; implicit-def: $vgpr26_vgpr27
	v_cmp_ge_i32_e64 s13, v31, v41
	v_cmp_lt_i32_e64 s14, v30, v43
	s_or_b32 s12, s13, s12
	s_and_b32 s12, s14, s12
	s_xor_b32 s13, s12, -1
	s_and_saveexec_b32 s14, s13
	s_xor_b32 s13, exec_lo, s14
; %bb.139:
	v_lshl_add_u32 v26, v31, 3, v36
	ds_read_b64 v[26:27], v26 offset:8
; %bb.140:
	s_or_saveexec_b32 s13, s13
	v_mov_b32_e32 v29, v25
	v_mov_b32_e32 v28, v24
	s_xor_b32 exec_lo, exec_lo, s13
	s_cbranch_execz .LBB190_142
; %bb.141:
	s_waitcnt lgkmcnt(0)
	v_lshl_add_u32 v26, v30, 3, v36
	ds_read_b64 v[28:29], v26 offset:8
	v_mov_b32_e32 v27, v23
	v_mov_b32_e32 v26, v22
.LBB190_142:
	s_or_b32 exec_lo, exec_lo, s13
	v_add_nc_u32_e32 v32, 1, v31
	v_add_nc_u32_e32 v33, 1, v30
	s_waitcnt lgkmcnt(0)
	v_cmp_lt_i64_e64 s13, v[28:29], v[26:27]
	v_cndmask_b32_e64 v40, v32, v31, s12
	v_cndmask_b32_e64 v42, v30, v33, s12
                                        ; implicit-def: $vgpr30_vgpr31
	v_cmp_ge_i32_e64 s14, v40, v41
	v_cmp_lt_i32_e64 s15, v42, v43
	s_or_b32 s13, s14, s13
	s_and_b32 s13, s15, s13
	s_xor_b32 s14, s13, -1
	s_and_saveexec_b32 s15, s14
	s_xor_b32 s14, exec_lo, s15
; %bb.143:
	v_lshl_add_u32 v30, v40, 3, v36
	ds_read_b64 v[30:31], v30 offset:8
; %bb.144:
	s_or_saveexec_b32 s14, s14
	v_mov_b32_e32 v33, v29
	v_mov_b32_e32 v32, v28
	s_xor_b32 exec_lo, exec_lo, s14
	s_cbranch_execz .LBB190_146
; %bb.145:
	s_waitcnt lgkmcnt(0)
	v_lshl_add_u32 v30, v42, 3, v36
	ds_read_b64 v[32:33], v30 offset:8
	v_mov_b32_e32 v31, v27
	v_mov_b32_e32 v30, v26
.LBB190_146:
	s_or_b32 exec_lo, exec_lo, s14
	v_min_i32_e32 v39, 0, v34
	v_add_nc_u32_e32 v44, 1, v42
	v_cndmask_b32_e64 v23, v23, v25, s12
	v_cndmask_b32_e64 v26, v26, v28, s13
	v_add_nc_u32_e32 v45, 1, v40
	v_add_nc_u32_e32 v25, 0x80, v39
	v_cndmask_b32_e64 v28, v42, v44, s13
	v_cndmask_b32_e64 v9, v7, v9, s8
	;; [unrolled: 1-line block ×4, first 2 shown]
	v_min_i32_e32 v42, v34, v25
	v_cndmask_b32_e64 v8, v6, v8, s8
	s_waitcnt lgkmcnt(0)
	v_cmp_lt_i64_e64 s8, v[32:33], v[30:31]
	v_and_b32_e32 v6, 0xf8, v37
	v_cndmask_b32_e64 v11, v11, v13, s9
	v_add_nc_u32_e32 v7, 0x80, v42
	v_cndmask_b32_e64 v10, v10, v12, s9
	v_cmp_ge_i32_e64 s9, v29, v41
	v_cndmask_b32_e64 v15, v15, v17, s10
	v_cndmask_b32_e64 v14, v14, v16, s10
	v_min_i32_e32 v44, v34, v7
	v_cmp_lt_i32_e64 s10, v28, v43
	v_cndmask_b32_e64 v5, v3, v5, s7
	v_min_i32_e32 v37, v34, v6
	s_or_b32 s8, s9, s8
	v_sub_nc_u32_e32 v3, v44, v42
	v_cndmask_b32_e64 v4, v2, v4, s7
	s_and_b32 s7, s10, s8
	v_sub_nc_u32_e32 v7, v42, v39
	v_cndmask_b32_e64 v13, v31, v33, s7
	v_cndmask_b32_e64 v12, v30, v32, s7
	v_sub_nc_u32_e32 v2, v37, v3
	v_cmp_ge_i32_e64 s7, v37, v3
	v_lshl_add_u32 v41, v39, 3, v36
	v_cndmask_b32_e64 v22, v22, v24, s12
	v_cndmask_b32_e64 v19, v19, v21, s11
	;; [unrolled: 1-line block ×4, first 2 shown]
	v_min_i32_e32 v2, v37, v7
	s_mov_b32 s9, 0
	s_mov_b32 s8, exec_lo
	; wave barrier
	ds_write2_b64 v38, v[4:5], v[8:9] offset1:1
	ds_write2_b64 v38, v[10:11], v[14:15] offset0:2 offset1:3
	ds_write2_b64 v38, v[18:19], v[22:23] offset0:4 offset1:5
	;; [unrolled: 1-line block ×3, first 2 shown]
	; wave barrier
	v_cmpx_lt_i32_e64 v6, v2
	s_cbranch_execz .LBB190_150
; %bb.147:
	v_lshlrev_b32_e32 v3, 3, v42
	v_lshlrev_b32_e32 v4, 3, v37
	v_add3_u32 v3, v36, v3, v4
	.p2align	6
.LBB190_148:                            ; =>This Inner Loop Header: Depth=1
	v_sub_nc_u32_e32 v4, v2, v6
	v_lshrrev_b32_e32 v4, 1, v4
	v_add_nc_u32_e32 v9, v4, v6
	v_not_b32_e32 v4, v9
	v_lshl_add_u32 v5, v9, 3, v41
	v_lshl_add_u32 v7, v4, 3, v3
	ds_read_b64 v[4:5], v5
	ds_read_b64 v[7:8], v7
	s_waitcnt lgkmcnt(0)
	v_cmp_lt_i64_e64 s7, v[7:8], v[4:5]
	v_add_nc_u32_e32 v4, 1, v9
	v_cndmask_b32_e64 v2, v2, v9, s7
	v_cndmask_b32_e64 v6, v4, v6, s7
	v_cmp_ge_i32_e64 s7, v6, v2
	s_or_b32 s9, s7, s9
	s_andn2_b32 exec_lo, exec_lo, s9
	s_cbranch_execnz .LBB190_148
; %bb.149:
	s_or_b32 exec_lo, exec_lo, s9
.LBB190_150:
	s_or_b32 exec_lo, exec_lo, s8
	v_add_nc_u32_e32 v2, v42, v37
	v_lshl_add_u32 v8, v6, 3, v41
	v_add_nc_u32_e32 v11, v6, v39
	v_sub_nc_u32_e32 v10, v2, v6
                                        ; implicit-def: $vgpr6_vgpr7
	v_cmp_le_i32_e64 s8, v42, v11
	v_lshl_add_u32 v12, v10, 3, v36
	v_cmp_gt_i32_e64 s9, v44, v10
	ds_read_b64 v[2:3], v8
	ds_read_b64 v[4:5], v12
	s_waitcnt lgkmcnt(0)
	v_cmp_lt_i64_e64 s7, v[4:5], v[2:3]
	s_or_b32 s7, s8, s7
	s_and_b32 s7, s9, s7
	s_xor_b32 s8, s7, -1
	s_and_saveexec_b32 s9, s8
	s_xor_b32 s8, exec_lo, s9
; %bb.151:
	ds_read_b64 v[6:7], v8 offset:8
                                        ; implicit-def: $vgpr12
; %bb.152:
	s_or_saveexec_b32 s8, s8
	v_mov_b32_e32 v9, v5
	v_mov_b32_e32 v8, v4
	s_xor_b32 exec_lo, exec_lo, s8
	s_cbranch_execz .LBB190_154
; %bb.153:
	ds_read_b64 v[8:9], v12 offset:8
	s_waitcnt lgkmcnt(1)
	v_mov_b32_e32 v7, v3
	v_mov_b32_e32 v6, v2
.LBB190_154:
	s_or_b32 exec_lo, exec_lo, s8
	v_add_nc_u32_e32 v12, 1, v11
	v_add_nc_u32_e32 v13, 1, v10
	s_waitcnt lgkmcnt(0)
	v_cmp_lt_i64_e64 s8, v[8:9], v[6:7]
	v_cndmask_b32_e64 v15, v12, v11, s7
	v_cndmask_b32_e64 v14, v10, v13, s7
                                        ; implicit-def: $vgpr10_vgpr11
	v_cmp_ge_i32_e64 s9, v15, v42
	v_cmp_lt_i32_e64 s10, v14, v44
	s_or_b32 s8, s9, s8
	s_and_b32 s8, s10, s8
	s_xor_b32 s9, s8, -1
	s_and_saveexec_b32 s10, s9
	s_xor_b32 s9, exec_lo, s10
; %bb.155:
	v_lshl_add_u32 v10, v15, 3, v36
	ds_read_b64 v[10:11], v10 offset:8
; %bb.156:
	s_or_saveexec_b32 s9, s9
	v_mov_b32_e32 v13, v9
	v_mov_b32_e32 v12, v8
	s_xor_b32 exec_lo, exec_lo, s9
	s_cbranch_execz .LBB190_158
; %bb.157:
	s_waitcnt lgkmcnt(0)
	v_lshl_add_u32 v10, v14, 3, v36
	ds_read_b64 v[12:13], v10 offset:8
	v_mov_b32_e32 v11, v7
	v_mov_b32_e32 v10, v6
.LBB190_158:
	s_or_b32 exec_lo, exec_lo, s9
	v_add_nc_u32_e32 v16, 1, v15
	v_add_nc_u32_e32 v17, 1, v14
	s_waitcnt lgkmcnt(0)
	v_cmp_lt_i64_e64 s9, v[12:13], v[10:11]
	v_cndmask_b32_e64 v19, v16, v15, s8
	v_cndmask_b32_e64 v18, v14, v17, s8
                                        ; implicit-def: $vgpr14_vgpr15
	v_cmp_ge_i32_e64 s10, v19, v42
	v_cmp_lt_i32_e64 s11, v18, v44
	s_or_b32 s9, s10, s9
	s_and_b32 s9, s11, s9
	s_xor_b32 s10, s9, -1
	s_and_saveexec_b32 s11, s10
	s_xor_b32 s10, exec_lo, s11
; %bb.159:
	v_lshl_add_u32 v14, v19, 3, v36
	ds_read_b64 v[14:15], v14 offset:8
; %bb.160:
	s_or_saveexec_b32 s10, s10
	v_mov_b32_e32 v17, v13
	v_mov_b32_e32 v16, v12
	s_xor_b32 exec_lo, exec_lo, s10
	s_cbranch_execz .LBB190_162
; %bb.161:
	s_waitcnt lgkmcnt(0)
	v_lshl_add_u32 v14, v18, 3, v36
	ds_read_b64 v[16:17], v14 offset:8
	v_mov_b32_e32 v15, v11
	v_mov_b32_e32 v14, v10
.LBB190_162:
	s_or_b32 exec_lo, exec_lo, s10
	v_add_nc_u32_e32 v20, 1, v19
	v_add_nc_u32_e32 v21, 1, v18
	s_waitcnt lgkmcnt(0)
	v_cmp_lt_i64_e64 s10, v[16:17], v[14:15]
	v_cndmask_b32_e64 v23, v20, v19, s9
	v_cndmask_b32_e64 v22, v18, v21, s9
                                        ; implicit-def: $vgpr18_vgpr19
	v_cmp_ge_i32_e64 s11, v23, v42
	v_cmp_lt_i32_e64 s12, v22, v44
	s_or_b32 s10, s11, s10
	s_and_b32 s10, s12, s10
	s_xor_b32 s11, s10, -1
	s_and_saveexec_b32 s12, s11
	s_xor_b32 s11, exec_lo, s12
; %bb.163:
	v_lshl_add_u32 v18, v23, 3, v36
	ds_read_b64 v[18:19], v18 offset:8
; %bb.164:
	s_or_saveexec_b32 s11, s11
	v_mov_b32_e32 v21, v17
	v_mov_b32_e32 v20, v16
	s_xor_b32 exec_lo, exec_lo, s11
	s_cbranch_execz .LBB190_166
; %bb.165:
	s_waitcnt lgkmcnt(0)
	v_lshl_add_u32 v18, v22, 3, v36
	ds_read_b64 v[20:21], v18 offset:8
	v_mov_b32_e32 v19, v15
	v_mov_b32_e32 v18, v14
.LBB190_166:
	s_or_b32 exec_lo, exec_lo, s11
	v_add_nc_u32_e32 v24, 1, v23
	v_add_nc_u32_e32 v25, 1, v22
	s_waitcnt lgkmcnt(0)
	v_cmp_lt_i64_e64 s11, v[20:21], v[18:19]
	v_cndmask_b32_e64 v27, v24, v23, s10
	v_cndmask_b32_e64 v26, v22, v25, s10
                                        ; implicit-def: $vgpr22_vgpr23
	v_cmp_ge_i32_e64 s12, v27, v42
	v_cmp_lt_i32_e64 s13, v26, v44
	s_or_b32 s11, s12, s11
	s_and_b32 s11, s13, s11
	s_xor_b32 s12, s11, -1
	s_and_saveexec_b32 s13, s12
	s_xor_b32 s12, exec_lo, s13
; %bb.167:
	v_lshl_add_u32 v22, v27, 3, v36
	ds_read_b64 v[22:23], v22 offset:8
; %bb.168:
	s_or_saveexec_b32 s12, s12
	v_mov_b32_e32 v25, v21
	v_mov_b32_e32 v24, v20
	s_xor_b32 exec_lo, exec_lo, s12
	s_cbranch_execz .LBB190_170
; %bb.169:
	s_waitcnt lgkmcnt(0)
	v_lshl_add_u32 v22, v26, 3, v36
	ds_read_b64 v[24:25], v22 offset:8
	v_mov_b32_e32 v23, v19
	v_mov_b32_e32 v22, v18
.LBB190_170:
	s_or_b32 exec_lo, exec_lo, s12
	v_add_nc_u32_e32 v28, 1, v27
	v_add_nc_u32_e32 v29, 1, v26
	s_waitcnt lgkmcnt(0)
	v_cmp_lt_i64_e64 s12, v[24:25], v[22:23]
                                        ; implicit-def: $vgpr30_vgpr31
	v_cndmask_b32_e64 v27, v28, v27, s11
	v_cndmask_b32_e64 v26, v26, v29, s11
	v_cmp_ge_i32_e64 s13, v27, v42
	v_cmp_lt_i32_e64 s14, v26, v44
	s_or_b32 s12, s13, s12
	s_and_b32 s12, s14, s12
	s_xor_b32 s13, s12, -1
	s_and_saveexec_b32 s14, s13
	s_xor_b32 s13, exec_lo, s14
; %bb.171:
	v_lshl_add_u32 v28, v27, 3, v36
	ds_read_b64 v[30:31], v28 offset:8
; %bb.172:
	s_or_saveexec_b32 s13, s13
	v_mov_b32_e32 v33, v25
	v_mov_b32_e32 v32, v24
	s_xor_b32 exec_lo, exec_lo, s13
	s_cbranch_execz .LBB190_174
; %bb.173:
	v_lshl_add_u32 v28, v26, 3, v36
	s_waitcnt lgkmcnt(0)
	v_mov_b32_e32 v31, v23
	v_mov_b32_e32 v30, v22
	ds_read_b64 v[32:33], v28 offset:8
.LBB190_174:
	s_or_b32 exec_lo, exec_lo, s13
	v_add_nc_u32_e32 v28, 1, v27
	v_add_nc_u32_e32 v29, 1, v26
	s_waitcnt lgkmcnt(0)
	v_cmp_lt_i64_e64 s13, v[32:33], v[30:31]
	v_cndmask_b32_e64 v40, v28, v27, s12
	v_cndmask_b32_e64 v43, v26, v29, s12
                                        ; implicit-def: $vgpr26_vgpr27
	v_cmp_ge_i32_e64 s14, v40, v42
	v_cmp_lt_i32_e64 s15, v43, v44
	s_or_b32 s13, s14, s13
	s_and_b32 s13, s15, s13
	s_xor_b32 s14, s13, -1
	s_and_saveexec_b32 s15, s14
	s_xor_b32 s14, exec_lo, s15
; %bb.175:
	v_lshl_add_u32 v26, v40, 3, v36
	ds_read_b64 v[26:27], v26 offset:8
; %bb.176:
	s_or_saveexec_b32 s14, s14
	v_mov_b32_e32 v28, v32
	v_mov_b32_e32 v29, v33
	s_xor_b32 exec_lo, exec_lo, s14
	s_cbranch_execz .LBB190_178
; %bb.177:
	s_waitcnt lgkmcnt(0)
	v_lshl_add_u32 v26, v43, 3, v36
	ds_read_b64 v[28:29], v26 offset:8
	v_mov_b32_e32 v26, v30
	v_mov_b32_e32 v27, v31
.LBB190_178:
	s_or_b32 exec_lo, exec_lo, s14
	v_add_nc_u32_e32 v45, 1, v43
	v_add_nc_u32_e32 v46, 1, v40
	v_cndmask_b32_e64 v30, v30, v32, s13
	v_add_nc_u32_e32 v32, 0x100, v39
	v_cndmask_b32_e64 v31, v31, v33, s13
	v_cndmask_b32_e64 v33, v43, v45, s13
	;; [unrolled: 1-line block ×4, first 2 shown]
	v_min_i32_e32 v40, v34, v32
	v_cndmask_b32_e64 v11, v11, v13, s9
	v_cndmask_b32_e64 v10, v10, v12, s9
	s_waitcnt lgkmcnt(0)
	v_cmp_lt_i64_e64 s9, v[28:29], v[26:27]
	v_cndmask_b32_e64 v15, v15, v17, s10
	v_add_nc_u32_e32 v16, 0x100, v40
	v_cmp_ge_i32_e64 s10, v43, v42
	v_cndmask_b32_e64 v9, v7, v9, s8
	v_cndmask_b32_e64 v8, v6, v8, s8
	v_cmp_lt_i32_e64 s8, v33, v44
	v_min_i32_e32 v34, v34, v16
	v_cndmask_b32_e64 v5, v3, v5, s7
	s_or_b32 s9, s10, s9
	v_cndmask_b32_e64 v4, v2, v4, s7
	s_and_b32 s7, s8, s9
	v_sub_nc_u32_e32 v3, v34, v40
	v_cndmask_b32_e64 v13, v27, v29, s7
	v_sub_nc_u32_e32 v7, v40, v39
	v_cndmask_b32_e64 v12, v26, v28, s7
	v_cndmask_b32_e64 v23, v23, v25, s12
	v_sub_nc_u32_e32 v2, v37, v3
	v_cmp_ge_i32_e64 s7, v37, v3
	v_cndmask_b32_e64 v22, v22, v24, s12
	v_cndmask_b32_e64 v19, v19, v21, s11
	;; [unrolled: 1-line block ×3, first 2 shown]
	s_mov_b32 s9, 0
	v_cndmask_b32_e64 v6, 0, v2, s7
	v_min_i32_e32 v2, v37, v7
	s_mov_b32 s8, exec_lo
	; wave barrier
	ds_write2_b64 v38, v[4:5], v[8:9] offset1:1
	ds_write2_b64 v38, v[10:11], v[14:15] offset0:2 offset1:3
	ds_write2_b64 v38, v[18:19], v[22:23] offset0:4 offset1:5
	;; [unrolled: 1-line block ×3, first 2 shown]
	; wave barrier
	v_cmpx_lt_i32_e64 v6, v2
	s_cbranch_execz .LBB190_182
; %bb.179:
	v_lshlrev_b32_e32 v3, 3, v40
	v_lshlrev_b32_e32 v4, 3, v37
	v_add3_u32 v3, v36, v3, v4
	.p2align	6
.LBB190_180:                            ; =>This Inner Loop Header: Depth=1
	v_sub_nc_u32_e32 v4, v2, v6
	v_lshrrev_b32_e32 v4, 1, v4
	v_add_nc_u32_e32 v9, v4, v6
	v_not_b32_e32 v4, v9
	v_lshl_add_u32 v5, v9, 3, v41
	v_lshl_add_u32 v7, v4, 3, v3
	ds_read_b64 v[4:5], v5
	ds_read_b64 v[7:8], v7
	s_waitcnt lgkmcnt(0)
	v_cmp_lt_i64_e64 s7, v[7:8], v[4:5]
	v_add_nc_u32_e32 v4, 1, v9
	v_cndmask_b32_e64 v2, v2, v9, s7
	v_cndmask_b32_e64 v6, v4, v6, s7
	v_cmp_ge_i32_e64 s7, v6, v2
	s_or_b32 s9, s7, s9
	s_andn2_b32 exec_lo, exec_lo, s9
	s_cbranch_execnz .LBB190_180
; %bb.181:
	s_or_b32 exec_lo, exec_lo, s9
.LBB190_182:
	s_or_b32 exec_lo, exec_lo, s8
	v_add_nc_u32_e32 v2, v40, v37
	v_lshl_add_u32 v8, v6, 3, v41
	v_add_nc_u32_e32 v11, v6, v39
	v_sub_nc_u32_e32 v10, v2, v6
                                        ; implicit-def: $vgpr6_vgpr7
	v_cmp_le_i32_e64 s8, v40, v11
	v_lshl_add_u32 v12, v10, 3, v36
	v_cmp_gt_i32_e64 s9, v34, v10
	ds_read_b64 v[2:3], v8
	ds_read_b64 v[4:5], v12
	s_waitcnt lgkmcnt(0)
	v_cmp_lt_i64_e64 s7, v[4:5], v[2:3]
	s_or_b32 s7, s8, s7
	s_and_b32 s7, s9, s7
	s_xor_b32 s8, s7, -1
	s_and_saveexec_b32 s9, s8
	s_xor_b32 s8, exec_lo, s9
; %bb.183:
	ds_read_b64 v[6:7], v8 offset:8
                                        ; implicit-def: $vgpr12
; %bb.184:
	s_or_saveexec_b32 s8, s8
	v_mov_b32_e32 v9, v5
	v_mov_b32_e32 v8, v4
	s_xor_b32 exec_lo, exec_lo, s8
	s_cbranch_execz .LBB190_186
; %bb.185:
	ds_read_b64 v[8:9], v12 offset:8
	s_waitcnt lgkmcnt(1)
	v_mov_b32_e32 v7, v3
	v_mov_b32_e32 v6, v2
.LBB190_186:
	s_or_b32 exec_lo, exec_lo, s8
	v_add_nc_u32_e32 v12, 1, v11
	v_add_nc_u32_e32 v13, 1, v10
	s_waitcnt lgkmcnt(0)
	v_cmp_lt_i64_e64 s8, v[8:9], v[6:7]
	v_cndmask_b32_e64 v15, v12, v11, s7
	v_cndmask_b32_e64 v14, v10, v13, s7
                                        ; implicit-def: $vgpr10_vgpr11
	v_cmp_ge_i32_e64 s9, v15, v40
	v_cmp_lt_i32_e64 s10, v14, v34
	s_or_b32 s8, s9, s8
	s_and_b32 s8, s10, s8
	s_xor_b32 s9, s8, -1
	s_and_saveexec_b32 s10, s9
	s_xor_b32 s9, exec_lo, s10
; %bb.187:
	v_lshl_add_u32 v10, v15, 3, v36
	ds_read_b64 v[10:11], v10 offset:8
; %bb.188:
	s_or_saveexec_b32 s9, s9
	v_mov_b32_e32 v13, v9
	v_mov_b32_e32 v12, v8
	s_xor_b32 exec_lo, exec_lo, s9
	s_cbranch_execz .LBB190_190
; %bb.189:
	s_waitcnt lgkmcnt(0)
	v_lshl_add_u32 v10, v14, 3, v36
	ds_read_b64 v[12:13], v10 offset:8
	v_mov_b32_e32 v11, v7
	v_mov_b32_e32 v10, v6
.LBB190_190:
	s_or_b32 exec_lo, exec_lo, s9
	v_add_nc_u32_e32 v16, 1, v15
	v_add_nc_u32_e32 v17, 1, v14
	s_waitcnt lgkmcnt(0)
	v_cmp_lt_i64_e64 s9, v[12:13], v[10:11]
	v_cndmask_b32_e64 v19, v16, v15, s8
	v_cndmask_b32_e64 v18, v14, v17, s8
                                        ; implicit-def: $vgpr14_vgpr15
	v_cmp_ge_i32_e64 s10, v19, v40
	v_cmp_lt_i32_e64 s11, v18, v34
	s_or_b32 s9, s10, s9
	s_and_b32 s9, s11, s9
	s_xor_b32 s10, s9, -1
	s_and_saveexec_b32 s11, s10
	s_xor_b32 s10, exec_lo, s11
; %bb.191:
	v_lshl_add_u32 v14, v19, 3, v36
	ds_read_b64 v[14:15], v14 offset:8
; %bb.192:
	s_or_saveexec_b32 s10, s10
	v_mov_b32_e32 v17, v13
	v_mov_b32_e32 v16, v12
	s_xor_b32 exec_lo, exec_lo, s10
	s_cbranch_execz .LBB190_194
; %bb.193:
	s_waitcnt lgkmcnt(0)
	v_lshl_add_u32 v14, v18, 3, v36
	ds_read_b64 v[16:17], v14 offset:8
	v_mov_b32_e32 v15, v11
	v_mov_b32_e32 v14, v10
.LBB190_194:
	s_or_b32 exec_lo, exec_lo, s10
	v_add_nc_u32_e32 v20, 1, v19
	v_add_nc_u32_e32 v21, 1, v18
	s_waitcnt lgkmcnt(0)
	v_cmp_lt_i64_e64 s10, v[16:17], v[14:15]
	v_cndmask_b32_e64 v23, v20, v19, s9
	v_cndmask_b32_e64 v22, v18, v21, s9
                                        ; implicit-def: $vgpr18_vgpr19
	v_cmp_ge_i32_e64 s11, v23, v40
	v_cmp_lt_i32_e64 s12, v22, v34
	s_or_b32 s10, s11, s10
	s_and_b32 s10, s12, s10
	s_xor_b32 s11, s10, -1
	s_and_saveexec_b32 s12, s11
	s_xor_b32 s11, exec_lo, s12
; %bb.195:
	v_lshl_add_u32 v18, v23, 3, v36
	ds_read_b64 v[18:19], v18 offset:8
; %bb.196:
	s_or_saveexec_b32 s11, s11
	v_mov_b32_e32 v21, v17
	v_mov_b32_e32 v20, v16
	s_xor_b32 exec_lo, exec_lo, s11
	s_cbranch_execz .LBB190_198
; %bb.197:
	s_waitcnt lgkmcnt(0)
	v_lshl_add_u32 v18, v22, 3, v36
	ds_read_b64 v[20:21], v18 offset:8
	v_mov_b32_e32 v19, v15
	v_mov_b32_e32 v18, v14
.LBB190_198:
	s_or_b32 exec_lo, exec_lo, s11
	v_add_nc_u32_e32 v24, 1, v23
	v_add_nc_u32_e32 v25, 1, v22
	s_waitcnt lgkmcnt(0)
	v_cmp_lt_i64_e64 s11, v[20:21], v[18:19]
	v_cndmask_b32_e64 v27, v24, v23, s10
	v_cndmask_b32_e64 v26, v22, v25, s10
                                        ; implicit-def: $vgpr22_vgpr23
	v_cmp_ge_i32_e64 s12, v27, v40
	v_cmp_lt_i32_e64 s13, v26, v34
	s_or_b32 s11, s12, s11
	s_and_b32 s11, s13, s11
	s_xor_b32 s12, s11, -1
	s_and_saveexec_b32 s13, s12
	s_xor_b32 s12, exec_lo, s13
; %bb.199:
	v_lshl_add_u32 v22, v27, 3, v36
	ds_read_b64 v[22:23], v22 offset:8
; %bb.200:
	s_or_saveexec_b32 s12, s12
	v_mov_b32_e32 v25, v21
	v_mov_b32_e32 v24, v20
	s_xor_b32 exec_lo, exec_lo, s12
	s_cbranch_execz .LBB190_202
; %bb.201:
	s_waitcnt lgkmcnt(0)
	v_lshl_add_u32 v22, v26, 3, v36
	ds_read_b64 v[24:25], v22 offset:8
	v_mov_b32_e32 v23, v19
	v_mov_b32_e32 v22, v18
.LBB190_202:
	s_or_b32 exec_lo, exec_lo, s12
	v_add_nc_u32_e32 v28, 1, v27
	v_add_nc_u32_e32 v29, 1, v26
	s_waitcnt lgkmcnt(0)
	v_cmp_lt_i64_e64 s12, v[24:25], v[22:23]
	v_cndmask_b32_e64 v31, v28, v27, s11
	v_cndmask_b32_e64 v30, v26, v29, s11
                                        ; implicit-def: $vgpr26_vgpr27
	v_cmp_ge_i32_e64 s13, v31, v40
	v_cmp_lt_i32_e64 s14, v30, v34
	s_or_b32 s12, s13, s12
	s_and_b32 s12, s14, s12
	s_xor_b32 s13, s12, -1
	s_and_saveexec_b32 s14, s13
	s_xor_b32 s13, exec_lo, s14
; %bb.203:
	v_lshl_add_u32 v26, v31, 3, v36
	ds_read_b64 v[26:27], v26 offset:8
; %bb.204:
	s_or_saveexec_b32 s13, s13
	v_mov_b32_e32 v29, v25
	v_mov_b32_e32 v28, v24
	s_xor_b32 exec_lo, exec_lo, s13
	s_cbranch_execz .LBB190_206
; %bb.205:
	s_waitcnt lgkmcnt(0)
	v_lshl_add_u32 v26, v30, 3, v36
	ds_read_b64 v[28:29], v26 offset:8
	v_mov_b32_e32 v27, v23
	v_mov_b32_e32 v26, v22
.LBB190_206:
	s_or_b32 exec_lo, exec_lo, s13
	v_add_nc_u32_e32 v32, 1, v31
	v_add_nc_u32_e32 v33, 1, v30
	s_waitcnt lgkmcnt(0)
	v_cmp_lt_i64_e64 s13, v[28:29], v[26:27]
                                        ; implicit-def: $vgpr38
	v_cndmask_b32_e64 v39, v32, v31, s12
	v_cndmask_b32_e64 v37, v30, v33, s12
                                        ; implicit-def: $vgpr30_vgpr31
	v_cmp_ge_i32_e64 s14, v39, v40
	v_cmp_lt_i32_e64 s15, v37, v34
	s_or_b32 s13, s14, s13
	s_and_b32 s13, s15, s13
	s_xor_b32 s14, s13, -1
	s_and_saveexec_b32 s15, s14
	s_xor_b32 s14, exec_lo, s15
; %bb.207:
	v_lshl_add_u32 v30, v39, 3, v36
	v_add_nc_u32_e32 v38, 1, v39
                                        ; implicit-def: $vgpr36
                                        ; implicit-def: $vgpr39
	ds_read_b64 v[30:31], v30 offset:8
; %bb.208:
	s_or_saveexec_b32 s14, s14
	v_mov_b32_e32 v33, v29
	v_mov_b32_e32 v32, v28
	s_xor_b32 exec_lo, exec_lo, s14
	s_cbranch_execz .LBB190_210
; %bb.209:
	s_waitcnt lgkmcnt(0)
	v_lshl_add_u32 v30, v37, 3, v36
	v_add_nc_u32_e32 v37, 1, v37
	v_mov_b32_e32 v38, v39
	ds_read_b64 v[32:33], v30 offset:8
	v_mov_b32_e32 v31, v27
	v_mov_b32_e32 v30, v26
.LBB190_210:
	s_or_b32 exec_lo, exec_lo, s14
	v_add_co_u32 v0, s14, s18, v0
	v_add_co_ci_u32_e64 v1, null, s19, v1, s14
	v_add_co_u32 v0, s14, v0, v35
	v_add_co_ci_u32_e64 v1, null, 0, v1, s14
	s_and_saveexec_b32 s14, vcc_lo
	s_cbranch_execnz .LBB190_219
; %bb.211:
	s_or_b32 exec_lo, exec_lo, s14
	s_and_saveexec_b32 s7, s0
	s_cbranch_execnz .LBB190_220
.LBB190_212:
	s_or_b32 exec_lo, exec_lo, s7
	s_and_saveexec_b32 s0, s1
	s_cbranch_execnz .LBB190_221
.LBB190_213:
	s_or_b32 exec_lo, exec_lo, s0
	s_and_saveexec_b32 s0, s2
	s_cbranch_execnz .LBB190_222
.LBB190_214:
	s_or_b32 exec_lo, exec_lo, s0
	s_and_saveexec_b32 s0, s3
	s_cbranch_execnz .LBB190_223
.LBB190_215:
	s_or_b32 exec_lo, exec_lo, s0
	s_and_saveexec_b32 s0, s4
	s_cbranch_execnz .LBB190_224
.LBB190_216:
	s_or_b32 exec_lo, exec_lo, s0
	s_and_saveexec_b32 s0, s5
	s_cbranch_execnz .LBB190_225
.LBB190_217:
	s_or_b32 exec_lo, exec_lo, s0
	s_and_saveexec_b32 s0, s6
	s_cbranch_execnz .LBB190_226
.LBB190_218:
	s_endpgm
.LBB190_219:
	v_cndmask_b32_e64 v3, v3, v5, s7
	v_cndmask_b32_e64 v2, v2, v4, s7
	global_store_dwordx2 v[0:1], v[2:3], off
	s_or_b32 exec_lo, exec_lo, s14
	s_and_saveexec_b32 s7, s0
	s_cbranch_execz .LBB190_212
.LBB190_220:
	v_cndmask_b32_e64 v3, v7, v9, s8
	v_cndmask_b32_e64 v2, v6, v8, s8
	global_store_dwordx2 v[0:1], v[2:3], off offset:8
	s_or_b32 exec_lo, exec_lo, s7
	s_and_saveexec_b32 s0, s1
	s_cbranch_execz .LBB190_213
.LBB190_221:
	v_cndmask_b32_e64 v3, v11, v13, s9
	v_cndmask_b32_e64 v2, v10, v12, s9
	global_store_dwordx2 v[0:1], v[2:3], off offset:16
	s_or_b32 exec_lo, exec_lo, s0
	s_and_saveexec_b32 s0, s2
	s_cbranch_execz .LBB190_214
.LBB190_222:
	v_cndmask_b32_e64 v3, v15, v17, s10
	v_cndmask_b32_e64 v2, v14, v16, s10
	global_store_dwordx2 v[0:1], v[2:3], off offset:24
	s_or_b32 exec_lo, exec_lo, s0
	s_and_saveexec_b32 s0, s3
	s_cbranch_execz .LBB190_215
.LBB190_223:
	v_cndmask_b32_e64 v3, v19, v21, s11
	v_cndmask_b32_e64 v2, v18, v20, s11
	global_store_dwordx2 v[0:1], v[2:3], off offset:32
	s_or_b32 exec_lo, exec_lo, s0
	s_and_saveexec_b32 s0, s4
	s_cbranch_execz .LBB190_216
.LBB190_224:
	v_cndmask_b32_e64 v3, v23, v25, s12
	v_cndmask_b32_e64 v2, v22, v24, s12
	global_store_dwordx2 v[0:1], v[2:3], off offset:40
	s_or_b32 exec_lo, exec_lo, s0
	s_and_saveexec_b32 s0, s5
	s_cbranch_execz .LBB190_217
.LBB190_225:
	v_cndmask_b32_e64 v3, v27, v29, s13
	v_cndmask_b32_e64 v2, v26, v28, s13
	global_store_dwordx2 v[0:1], v[2:3], off offset:48
	s_or_b32 exec_lo, exec_lo, s0
	s_and_saveexec_b32 s0, s6
	s_cbranch_execz .LBB190_218
.LBB190_226:
	s_waitcnt lgkmcnt(0)
	v_cmp_lt_i64_e32 vcc_lo, v[32:33], v[30:31]
	v_cmp_ge_i32_e64 s0, v38, v40
	v_cmp_lt_i32_e64 s1, v37, v34
	s_or_b32 s0, s0, vcc_lo
	s_and_b32 vcc_lo, s1, s0
	v_cndmask_b32_e32 v3, v31, v33, vcc_lo
	v_cndmask_b32_e32 v2, v30, v32, vcc_lo
	global_store_dwordx2 v[0:1], v[2:3], off offset:56
	s_endpgm
	.section	.rodata,"a",@progbits
	.p2align	6, 0x0
	.amdhsa_kernel _Z19sort_keys_segmentedILj256ELj64ELj8ExN10test_utils4lessEEvPKT2_PS2_PKjT3_
		.amdhsa_group_segment_fixed_size 16416
		.amdhsa_private_segment_fixed_size 0
		.amdhsa_kernarg_size 28
		.amdhsa_user_sgpr_count 6
		.amdhsa_user_sgpr_private_segment_buffer 1
		.amdhsa_user_sgpr_dispatch_ptr 0
		.amdhsa_user_sgpr_queue_ptr 0
		.amdhsa_user_sgpr_kernarg_segment_ptr 1
		.amdhsa_user_sgpr_dispatch_id 0
		.amdhsa_user_sgpr_flat_scratch_init 0
		.amdhsa_user_sgpr_private_segment_size 0
		.amdhsa_wavefront_size32 1
		.amdhsa_uses_dynamic_stack 0
		.amdhsa_system_sgpr_private_segment_wavefront_offset 0
		.amdhsa_system_sgpr_workgroup_id_x 1
		.amdhsa_system_sgpr_workgroup_id_y 0
		.amdhsa_system_sgpr_workgroup_id_z 0
		.amdhsa_system_sgpr_workgroup_info 0
		.amdhsa_system_vgpr_workitem_id 0
		.amdhsa_next_free_vgpr 47
		.amdhsa_next_free_sgpr 20
		.amdhsa_reserve_vcc 1
		.amdhsa_reserve_flat_scratch 0
		.amdhsa_float_round_mode_32 0
		.amdhsa_float_round_mode_16_64 0
		.amdhsa_float_denorm_mode_32 3
		.amdhsa_float_denorm_mode_16_64 3
		.amdhsa_dx10_clamp 1
		.amdhsa_ieee_mode 1
		.amdhsa_fp16_overflow 0
		.amdhsa_workgroup_processor_mode 1
		.amdhsa_memory_ordered 1
		.amdhsa_forward_progress 1
		.amdhsa_shared_vgpr_count 0
		.amdhsa_exception_fp_ieee_invalid_op 0
		.amdhsa_exception_fp_denorm_src 0
		.amdhsa_exception_fp_ieee_div_zero 0
		.amdhsa_exception_fp_ieee_overflow 0
		.amdhsa_exception_fp_ieee_underflow 0
		.amdhsa_exception_fp_ieee_inexact 0
		.amdhsa_exception_int_div_zero 0
	.end_amdhsa_kernel
	.section	.text._Z19sort_keys_segmentedILj256ELj64ELj8ExN10test_utils4lessEEvPKT2_PS2_PKjT3_,"axG",@progbits,_Z19sort_keys_segmentedILj256ELj64ELj8ExN10test_utils4lessEEvPKT2_PS2_PKjT3_,comdat
.Lfunc_end190:
	.size	_Z19sort_keys_segmentedILj256ELj64ELj8ExN10test_utils4lessEEvPKT2_PS2_PKjT3_, .Lfunc_end190-_Z19sort_keys_segmentedILj256ELj64ELj8ExN10test_utils4lessEEvPKT2_PS2_PKjT3_
                                        ; -- End function
	.set _Z19sort_keys_segmentedILj256ELj64ELj8ExN10test_utils4lessEEvPKT2_PS2_PKjT3_.num_vgpr, 47
	.set _Z19sort_keys_segmentedILj256ELj64ELj8ExN10test_utils4lessEEvPKT2_PS2_PKjT3_.num_agpr, 0
	.set _Z19sort_keys_segmentedILj256ELj64ELj8ExN10test_utils4lessEEvPKT2_PS2_PKjT3_.numbered_sgpr, 20
	.set _Z19sort_keys_segmentedILj256ELj64ELj8ExN10test_utils4lessEEvPKT2_PS2_PKjT3_.num_named_barrier, 0
	.set _Z19sort_keys_segmentedILj256ELj64ELj8ExN10test_utils4lessEEvPKT2_PS2_PKjT3_.private_seg_size, 0
	.set _Z19sort_keys_segmentedILj256ELj64ELj8ExN10test_utils4lessEEvPKT2_PS2_PKjT3_.uses_vcc, 1
	.set _Z19sort_keys_segmentedILj256ELj64ELj8ExN10test_utils4lessEEvPKT2_PS2_PKjT3_.uses_flat_scratch, 0
	.set _Z19sort_keys_segmentedILj256ELj64ELj8ExN10test_utils4lessEEvPKT2_PS2_PKjT3_.has_dyn_sized_stack, 0
	.set _Z19sort_keys_segmentedILj256ELj64ELj8ExN10test_utils4lessEEvPKT2_PS2_PKjT3_.has_recursion, 0
	.set _Z19sort_keys_segmentedILj256ELj64ELj8ExN10test_utils4lessEEvPKT2_PS2_PKjT3_.has_indirect_call, 0
	.section	.AMDGPU.csdata,"",@progbits
; Kernel info:
; codeLenInByte = 11008
; TotalNumSgprs: 22
; NumVgprs: 47
; ScratchSize: 0
; MemoryBound: 0
; FloatMode: 240
; IeeeMode: 1
; LDSByteSize: 16416 bytes/workgroup (compile time only)
; SGPRBlocks: 0
; VGPRBlocks: 5
; NumSGPRsForWavesPerEU: 22
; NumVGPRsForWavesPerEU: 47
; Occupancy: 14
; WaveLimiterHint : 0
; COMPUTE_PGM_RSRC2:SCRATCH_EN: 0
; COMPUTE_PGM_RSRC2:USER_SGPR: 6
; COMPUTE_PGM_RSRC2:TRAP_HANDLER: 0
; COMPUTE_PGM_RSRC2:TGID_X_EN: 1
; COMPUTE_PGM_RSRC2:TGID_Y_EN: 0
; COMPUTE_PGM_RSRC2:TGID_Z_EN: 0
; COMPUTE_PGM_RSRC2:TIDIG_COMP_CNT: 0
	.section	.text._Z20sort_pairs_segmentedILj256ELj64ELj8ExN10test_utils4lessEEvPKT2_PS2_PKjT3_,"axG",@progbits,_Z20sort_pairs_segmentedILj256ELj64ELj8ExN10test_utils4lessEEvPKT2_PS2_PKjT3_,comdat
	.protected	_Z20sort_pairs_segmentedILj256ELj64ELj8ExN10test_utils4lessEEvPKT2_PS2_PKjT3_ ; -- Begin function _Z20sort_pairs_segmentedILj256ELj64ELj8ExN10test_utils4lessEEvPKT2_PS2_PKjT3_
	.globl	_Z20sort_pairs_segmentedILj256ELj64ELj8ExN10test_utils4lessEEvPKT2_PS2_PKjT3_
	.p2align	8
	.type	_Z20sort_pairs_segmentedILj256ELj64ELj8ExN10test_utils4lessEEvPKT2_PS2_PKjT3_,@function
_Z20sort_pairs_segmentedILj256ELj64ELj8ExN10test_utils4lessEEvPKT2_PS2_PKjT3_: ; @_Z20sort_pairs_segmentedILj256ELj64ELj8ExN10test_utils4lessEEvPKT2_PS2_PKjT3_
; %bb.0:
	s_clause 0x1
	s_load_dwordx2 s[0:1], s[4:5], 0x10
	s_load_dwordx4 s[16:19], s[4:5], 0x0
	v_lshrrev_b32_e32 v46, 6, v0
	v_mov_b32_e32 v1, 0
                                        ; implicit-def: $vgpr6_vgpr7
	v_lshl_or_b32 v0, s6, 2, v46
	v_lshlrev_b64 v[2:3], 2, v[0:1]
	v_lshlrev_b32_e32 v0, 9, v0
	v_lshlrev_b64 v[0:1], 3, v[0:1]
	s_waitcnt lgkmcnt(0)
	v_add_co_u32 v2, vcc_lo, s0, v2
	v_add_co_ci_u32_e64 v3, null, s1, v3, vcc_lo
	v_add_co_u32 v4, vcc_lo, s16, v0
	v_add_co_ci_u32_e64 v5, null, s17, v1, vcc_lo
	global_load_dword v50, v[2:3], off
	v_mbcnt_lo_u32_b32 v2, -1, 0
	v_lshlrev_b32_e32 v3, 6, v2
	v_lshlrev_b32_e32 v54, 3, v2
	v_add_co_u32 v2, vcc_lo, v4, v3
	v_add_co_ci_u32_e64 v3, null, 0, v5, vcc_lo
	s_waitcnt vmcnt(0)
	v_cmp_lt_u32_e64 s6, v54, v50
	s_and_saveexec_b32 s0, s6
	s_cbranch_execz .LBB191_2
; %bb.1:
	global_load_dwordx2 v[6:7], v[2:3], off
.LBB191_2:
	s_or_b32 exec_lo, exec_lo, s0
	v_or_b32_e32 v16, 1, v54
                                        ; implicit-def: $vgpr34_vgpr35
	v_cmp_lt_u32_e64 s5, v16, v50
	s_and_saveexec_b32 s0, s5
	s_cbranch_execz .LBB191_4
; %bb.3:
	global_load_dwordx2 v[34:35], v[2:3], off offset:8
.LBB191_4:
	s_or_b32 exec_lo, exec_lo, s0
	v_or_b32_e32 v20, 2, v54
                                        ; implicit-def: $vgpr22_vgpr23
	v_cmp_lt_u32_e64 s4, v20, v50
	s_and_saveexec_b32 s0, s4
	s_cbranch_execz .LBB191_6
; %bb.5:
	global_load_dwordx2 v[22:23], v[2:3], off offset:16
.LBB191_6:
	s_or_b32 exec_lo, exec_lo, s0
	v_or_b32_e32 v28, 3, v54
                                        ; implicit-def: $vgpr36_vgpr37
	v_cmp_lt_u32_e64 s3, v28, v50
	s_and_saveexec_b32 s0, s3
	s_cbranch_execz .LBB191_8
; %bb.7:
	global_load_dwordx2 v[36:37], v[2:3], off offset:24
.LBB191_8:
	s_or_b32 exec_lo, exec_lo, s0
	v_or_b32_e32 v29, 4, v54
                                        ; implicit-def: $vgpr24_vgpr25
	v_cmp_lt_u32_e64 s2, v29, v50
	s_and_saveexec_b32 s0, s2
	s_cbranch_execz .LBB191_10
; %bb.9:
	global_load_dwordx2 v[24:25], v[2:3], off offset:32
.LBB191_10:
	s_or_b32 exec_lo, exec_lo, s0
	v_or_b32_e32 v32, 5, v54
                                        ; implicit-def: $vgpr38_vgpr39
	v_cmp_lt_u32_e64 s1, v32, v50
	s_and_saveexec_b32 s0, s1
	s_cbranch_execz .LBB191_12
; %bb.11:
	global_load_dwordx2 v[38:39], v[2:3], off offset:40
.LBB191_12:
	s_or_b32 exec_lo, exec_lo, s0
	v_or_b32_e32 v42, 6, v54
                                        ; implicit-def: $vgpr26_vgpr27
	v_cmp_lt_u32_e64 s0, v42, v50
	s_and_saveexec_b32 s7, s0
	s_cbranch_execz .LBB191_14
; %bb.13:
	global_load_dwordx2 v[26:27], v[2:3], off offset:48
.LBB191_14:
	s_or_b32 exec_lo, exec_lo, s7
	v_or_b32_e32 v43, 7, v54
                                        ; implicit-def: $vgpr40_vgpr41
	v_cmp_lt_u32_e32 vcc_lo, v43, v50
	s_and_saveexec_b32 s7, vcc_lo
	s_cbranch_execz .LBB191_16
; %bb.15:
	global_load_dwordx2 v[40:41], v[2:3], off offset:56
.LBB191_16:
	s_or_b32 exec_lo, exec_lo, s7
	s_waitcnt vmcnt(0)
	v_add_co_u32 v2, s7, v6, 1
	v_add_co_ci_u32_e64 v3, null, 0, v7, s7
	v_add_co_u32 v8, s7, v34, 1
	v_add_co_ci_u32_e64 v9, null, 0, v35, s7
	;; [unrolled: 2-line block ×7, first 2 shown]
	v_cmp_lt_i32_e64 s7, v16, v50
	v_add_co_u32 v16, s8, v40, 1
	v_add_co_ci_u32_e64 v17, null, 0, v41, s8
	v_cmp_lt_i32_e64 s8, v20, v50
	v_cndmask_b32_e64 v21, 0x7fffffff, v35, s7
	v_cndmask_b32_e64 v20, -1, v34, s7
	v_cmp_lt_i32_e64 s7, v28, v50
	v_cmp_lt_i32_e64 s9, v43, v50
	v_cndmask_b32_e64 v31, 0x7fffffff, v23, s8
	v_cndmask_b32_e64 v30, -1, v22, s8
	v_cmp_lt_i32_e64 s8, v29, v50
	v_cndmask_b32_e64 v23, 0x7fffffff, v37, s7
	v_cndmask_b32_e64 v22, -1, v36, s7
	;; [unrolled: 3-line block ×4, first 2 shown]
	v_cndmask_b32_e64 v25, 0x7fffffff, v27, s8
	v_cndmask_b32_e64 v24, -1, v26, s8
	v_cndmask_b32_e64 v27, 0x7fffffff, v41, s9
	v_cndmask_b32_e64 v26, -1, v40, s9
	s_mov_b32 s8, exec_lo
	v_cmpx_lt_i32_e64 v54, v50
	s_cbranch_execz .LBB191_74
; %bb.17:
	v_mov_b32_e32 v43, v9
	v_mov_b32_e32 v42, v8
	s_mov_b32 s9, exec_lo
	v_cmpx_lt_i64_e64 v[20:21], v[6:7]
	s_cbranch_execz .LBB191_19
; %bb.18:
	v_mov_b32_e32 v21, v7
	v_mov_b32_e32 v43, v3
	v_mov_b32_e32 v20, v6
	v_mov_b32_e32 v6, v34
	v_mov_b32_e32 v42, v2
	v_mov_b32_e32 v2, v8
	v_mov_b32_e32 v7, v35
	v_mov_b32_e32 v3, v9
.LBB191_19:
	s_or_b32 exec_lo, exec_lo, s9
	v_mov_b32_e32 v45, v13
	v_mov_b32_e32 v44, v12
	s_mov_b32 s9, exec_lo
	v_cmpx_lt_i64_e64 v[22:23], v[30:31]
	s_cbranch_execz .LBB191_21
; %bb.20:
	v_mov_b32_e32 v22, v30
	v_mov_b32_e32 v45, v11
	v_mov_b32_e32 v23, v31
	v_mov_b32_e32 v30, v36
	v_mov_b32_e32 v44, v10
	v_mov_b32_e32 v10, v12
	v_mov_b32_e32 v31, v37
	v_mov_b32_e32 v11, v13
.LBB191_21:
	s_or_b32 exec_lo, exec_lo, s9
	v_mov_b32_e32 v37, v19
	v_mov_b32_e32 v36, v18
	s_mov_b32 s9, exec_lo
	v_cmpx_lt_i64_e64 v[28:29], v[32:33]
	s_cbranch_execz .LBB191_23
; %bb.22:
	v_mov_b32_e32 v28, v32
	v_mov_b32_e32 v37, v15
	v_mov_b32_e32 v29, v33
	v_mov_b32_e32 v32, v38
	v_mov_b32_e32 v36, v14
	v_mov_b32_e32 v14, v18
	v_mov_b32_e32 v33, v39
	v_mov_b32_e32 v15, v19
.LBB191_23:
	s_or_b32 exec_lo, exec_lo, s9
	v_mov_b32_e32 v35, v17
	v_mov_b32_e32 v34, v16
	s_mov_b32 s9, exec_lo
	v_cmpx_lt_i64_e64 v[26:27], v[24:25]
	s_cbranch_execz .LBB191_25
; %bb.24:
	v_mov_b32_e32 v27, v25
	v_mov_b32_e32 v35, v5
	v_mov_b32_e32 v26, v24
	v_mov_b32_e32 v24, v40
	v_mov_b32_e32 v34, v4
	v_mov_b32_e32 v4, v16
	v_mov_b32_e32 v25, v41
	v_mov_b32_e32 v5, v17
.LBB191_25:
	s_or_b32 exec_lo, exec_lo, s9
	v_cmp_lt_i64_e64 s7, v[30:31], v[20:21]
	v_mov_b32_e32 v8, v30
	v_mov_b32_e32 v39, v11
	;; [unrolled: 1-line block ×4, first 2 shown]
	s_and_saveexec_b32 s9, s7
	s_xor_b32 s7, exec_lo, s9
	s_cbranch_execz .LBB191_27
; %bb.26:
	v_mov_b32_e32 v8, v20
	v_mov_b32_e32 v38, v42
	v_mov_b32_e32 v9, v21
	v_mov_b32_e32 v20, v30
	v_mov_b32_e32 v39, v43
	v_mov_b32_e32 v43, v11
	v_mov_b32_e32 v21, v31
	v_mov_b32_e32 v42, v10
.LBB191_27:
	s_or_b32 exec_lo, exec_lo, s7
	v_mov_b32_e32 v10, v32
	v_mov_b32_e32 v31, v15
	v_mov_b32_e32 v11, v33
	v_mov_b32_e32 v30, v14
	s_mov_b32 s9, exec_lo
	v_cmpx_lt_i64_e64 v[32:33], v[22:23]
	s_cbranch_execz .LBB191_29
; %bb.28:
	v_mov_b32_e32 v10, v22
	v_mov_b32_e32 v30, v44
	v_mov_b32_e32 v11, v23
	v_mov_b32_e32 v22, v32
	v_mov_b32_e32 v31, v45
	v_mov_b32_e32 v45, v15
	v_mov_b32_e32 v23, v33
	v_mov_b32_e32 v44, v14
.LBB191_29:
	s_or_b32 exec_lo, exec_lo, s9
	v_mov_b32_e32 v12, v24
	v_mov_b32_e32 v33, v5
	v_mov_b32_e32 v13, v25
	v_mov_b32_e32 v32, v4
	s_mov_b32 s9, exec_lo
	v_cmpx_lt_i64_e64 v[24:25], v[28:29]
	;; [unrolled: 18-line block ×23, first 2 shown]
	s_cbranch_execz .LBB191_73
; %bb.72:
	v_mov_b32_e32 v19, v5
	v_mov_b32_e32 v29, v25
	;; [unrolled: 1-line block ×8, first 2 shown]
.LBB191_73:
	s_or_b32 exec_lo, exec_lo, s9
.LBB191_74:
	s_or_b32 exec_lo, exec_lo, s8
	v_and_b32_e32 v34, 0xf0, v54
	v_and_b32_e32 v36, 8, v54
	v_lshlrev_b32_e32 v51, 3, v54
	v_mul_u32_u24_e32 v52, 0x1008, v46
	v_min_i32_e32 v34, v50, v34
	; wave barrier
	v_mad_u32_u24 v53, 0x1008, v46, v51
	s_mov_b32 s9, 0
	s_mov_b32 s8, exec_lo
	v_add_nc_u32_e32 v35, 8, v34
	v_lshlrev_b32_e32 v39, 3, v34
	ds_write2_b64 v53, v[6:7], v[20:21] offset1:1
	ds_write2_b64 v53, v[30:31], v[22:23] offset0:2 offset1:3
	ds_write2_b64 v53, v[32:33], v[28:29] offset0:4 offset1:5
	;; [unrolled: 1-line block ×3, first 2 shown]
	v_min_i32_e32 v55, v50, v35
	v_mad_u32_u24 v6, 0x1008, v46, v39
	; wave barrier
	v_add_nc_u32_e32 v35, 8, v55
	v_sub_nc_u32_e32 v38, v55, v34
	v_min_i32_e32 v56, v50, v35
	v_min_i32_e32 v35, v50, v36
	v_sub_nc_u32_e32 v36, v56, v55
	v_sub_nc_u32_e32 v37, v35, v36
	v_cmp_ge_i32_e64 s7, v35, v36
	v_cndmask_b32_e64 v36, 0, v37, s7
	v_min_i32_e32 v37, v35, v38
	v_cmpx_lt_i32_e64 v36, v37
	s_cbranch_execz .LBB191_78
; %bb.75:
	v_lshlrev_b32_e32 v7, 3, v55
	v_lshlrev_b32_e32 v20, 3, v35
	v_add3_u32 v7, v52, v7, v20
	.p2align	6
.LBB191_76:                             ; =>This Inner Loop Header: Depth=1
	v_sub_nc_u32_e32 v20, v37, v36
	v_lshrrev_b32_e32 v20, 1, v20
	v_add_nc_u32_e32 v24, v20, v36
	v_not_b32_e32 v20, v24
	v_lshl_add_u32 v21, v24, 3, v6
	v_lshl_add_u32 v22, v20, 3, v7
	ds_read_b64 v[20:21], v21
	ds_read_b64 v[22:23], v22
	s_waitcnt lgkmcnt(0)
	v_cmp_lt_i64_e64 s7, v[22:23], v[20:21]
	v_add_nc_u32_e32 v20, 1, v24
	v_cndmask_b32_e64 v37, v37, v24, s7
	v_cndmask_b32_e64 v36, v20, v36, s7
	v_cmp_ge_i32_e64 s7, v36, v37
	s_or_b32 s9, s7, s9
	s_andn2_b32 exec_lo, exec_lo, s9
	s_cbranch_execnz .LBB191_76
; %bb.77:
	s_or_b32 exec_lo, exec_lo, s9
.LBB191_78:
	s_or_b32 exec_lo, exec_lo, s8
	v_add_nc_u32_e32 v7, v55, v35
	v_lshl_add_u32 v24, v36, 3, v6
	v_add_nc_u32_e32 v58, v36, v34
	v_sub_nc_u32_e32 v57, v7, v36
                                        ; implicit-def: $vgpr6_vgpr7
	v_cmp_le_i32_e64 s8, v55, v58
	v_lshl_add_u32 v26, v57, 3, v52
	v_cmp_gt_i32_e64 s9, v56, v57
	ds_read_b64 v[20:21], v24
	ds_read_b64 v[22:23], v26
	s_waitcnt lgkmcnt(0)
	v_cmp_lt_i64_e64 s7, v[22:23], v[20:21]
	s_or_b32 s7, s8, s7
	s_and_b32 s7, s9, s7
	s_xor_b32 s8, s7, -1
	s_and_saveexec_b32 s9, s8
	s_xor_b32 s8, exec_lo, s9
; %bb.79:
	ds_read_b64 v[6:7], v24 offset:8
                                        ; implicit-def: $vgpr26
; %bb.80:
	s_or_saveexec_b32 s8, s8
	v_mov_b32_e32 v25, v23
	v_mov_b32_e32 v24, v22
	s_xor_b32 exec_lo, exec_lo, s8
	s_cbranch_execz .LBB191_82
; %bb.81:
	ds_read_b64 v[24:25], v26 offset:8
	s_waitcnt lgkmcnt(1)
	v_mov_b32_e32 v6, v20
	v_mov_b32_e32 v7, v21
.LBB191_82:
	s_or_b32 exec_lo, exec_lo, s8
	v_add_nc_u32_e32 v26, 1, v58
	v_add_nc_u32_e32 v27, 1, v57
	s_waitcnt lgkmcnt(0)
	v_cmp_lt_i64_e64 s8, v[24:25], v[6:7]
	v_cndmask_b32_e64 v59, v26, v58, s7
	v_cndmask_b32_e64 v60, v57, v27, s7
                                        ; implicit-def: $vgpr26_vgpr27
	v_cmp_ge_i32_e64 s9, v59, v55
	v_cmp_lt_i32_e64 s10, v60, v56
	s_or_b32 s8, s9, s8
	s_and_b32 s8, s10, s8
	s_xor_b32 s9, s8, -1
	s_and_saveexec_b32 s10, s9
	s_xor_b32 s9, exec_lo, s10
; %bb.83:
	v_lshl_add_u32 v26, v59, 3, v52
	ds_read_b64 v[26:27], v26 offset:8
; %bb.84:
	s_or_saveexec_b32 s9, s9
	v_mov_b32_e32 v29, v25
	v_mov_b32_e32 v28, v24
	s_xor_b32 exec_lo, exec_lo, s9
	s_cbranch_execz .LBB191_86
; %bb.85:
	s_waitcnt lgkmcnt(0)
	v_lshl_add_u32 v26, v60, 3, v52
	ds_read_b64 v[28:29], v26 offset:8
	v_mov_b32_e32 v27, v7
	v_mov_b32_e32 v26, v6
.LBB191_86:
	s_or_b32 exec_lo, exec_lo, s9
	v_add_nc_u32_e32 v30, 1, v59
	v_add_nc_u32_e32 v31, 1, v60
	s_waitcnt lgkmcnt(0)
	v_cmp_lt_i64_e64 s9, v[28:29], v[26:27]
	v_cndmask_b32_e64 v61, v30, v59, s8
	v_cndmask_b32_e64 v62, v60, v31, s8
                                        ; implicit-def: $vgpr30_vgpr31
	v_cmp_ge_i32_e64 s10, v61, v55
	v_cmp_lt_i32_e64 s11, v62, v56
	s_or_b32 s9, s10, s9
	s_and_b32 s9, s11, s9
	s_xor_b32 s10, s9, -1
	s_and_saveexec_b32 s11, s10
	s_xor_b32 s10, exec_lo, s11
; %bb.87:
	v_lshl_add_u32 v30, v61, 3, v52
	ds_read_b64 v[30:31], v30 offset:8
; %bb.88:
	s_or_saveexec_b32 s10, s10
	v_mov_b32_e32 v33, v29
	v_mov_b32_e32 v32, v28
	s_xor_b32 exec_lo, exec_lo, s10
	s_cbranch_execz .LBB191_90
; %bb.89:
	s_waitcnt lgkmcnt(0)
	v_lshl_add_u32 v30, v62, 3, v52
	ds_read_b64 v[32:33], v30 offset:8
	v_mov_b32_e32 v31, v27
	v_mov_b32_e32 v30, v26
.LBB191_90:
	s_or_b32 exec_lo, exec_lo, s10
	v_add_nc_u32_e32 v34, 1, v61
	v_add_nc_u32_e32 v35, 1, v62
	s_waitcnt lgkmcnt(0)
	v_cmp_lt_i64_e64 s10, v[32:33], v[30:31]
                                        ; implicit-def: $vgpr36_vgpr37
	v_cndmask_b32_e64 v63, v34, v61, s9
	v_cndmask_b32_e64 v64, v62, v35, s9
	v_cmp_ge_i32_e64 s11, v63, v55
	v_cmp_lt_i32_e64 s12, v64, v56
	s_or_b32 s10, s11, s10
	s_and_b32 s10, s12, s10
	s_xor_b32 s11, s10, -1
	s_and_saveexec_b32 s12, s11
	s_xor_b32 s11, exec_lo, s12
; %bb.91:
	v_lshl_add_u32 v34, v63, 3, v52
	ds_read_b64 v[36:37], v34 offset:8
; %bb.92:
	s_or_saveexec_b32 s11, s11
	v_mov_b32_e32 v41, v33
	v_mov_b32_e32 v40, v32
	s_xor_b32 exec_lo, exec_lo, s11
	s_cbranch_execz .LBB191_94
; %bb.93:
	v_lshl_add_u32 v34, v64, 3, v52
	s_waitcnt lgkmcnt(0)
	v_mov_b32_e32 v37, v31
	v_mov_b32_e32 v36, v30
	ds_read_b64 v[40:41], v34 offset:8
.LBB191_94:
	s_or_b32 exec_lo, exec_lo, s11
	v_add_nc_u32_e32 v34, 1, v63
	v_add_nc_u32_e32 v35, 1, v64
	s_waitcnt lgkmcnt(0)
	v_cmp_lt_i64_e64 s11, v[40:41], v[36:37]
                                        ; implicit-def: $vgpr42_vgpr43
	v_cndmask_b32_e64 v65, v34, v63, s10
	v_cndmask_b32_e64 v66, v64, v35, s10
	v_cmp_ge_i32_e64 s12, v65, v55
	v_cmp_lt_i32_e64 s13, v66, v56
	s_or_b32 s11, s12, s11
	s_and_b32 s11, s13, s11
	s_xor_b32 s12, s11, -1
	s_and_saveexec_b32 s13, s12
	s_xor_b32 s12, exec_lo, s13
; %bb.95:
	v_lshl_add_u32 v34, v65, 3, v52
	ds_read_b64 v[42:43], v34 offset:8
; %bb.96:
	s_or_saveexec_b32 s12, s12
	v_mov_b32_e32 v45, v41
	v_mov_b32_e32 v44, v40
	s_xor_b32 exec_lo, exec_lo, s12
	s_cbranch_execz .LBB191_98
; %bb.97:
	v_lshl_add_u32 v34, v66, 3, v52
	s_waitcnt lgkmcnt(0)
	v_mov_b32_e32 v43, v37
	v_mov_b32_e32 v42, v36
	ds_read_b64 v[44:45], v34 offset:8
.LBB191_98:
	s_or_b32 exec_lo, exec_lo, s12
	v_add_nc_u32_e32 v34, 1, v65
	v_add_nc_u32_e32 v35, 1, v66
	s_waitcnt lgkmcnt(0)
	v_cmp_lt_i64_e64 s12, v[44:45], v[42:43]
                                        ; implicit-def: $vgpr46_vgpr47
	v_cndmask_b32_e64 v67, v34, v65, s11
	v_cndmask_b32_e64 v68, v66, v35, s11
	v_cmp_ge_i32_e64 s13, v67, v55
	v_cmp_lt_i32_e64 s14, v68, v56
	s_or_b32 s12, s13, s12
	s_and_b32 s12, s14, s12
	s_xor_b32 s13, s12, -1
	s_and_saveexec_b32 s14, s13
	s_xor_b32 s13, exec_lo, s14
; %bb.99:
	v_lshl_add_u32 v34, v67, 3, v52
	ds_read_b64 v[46:47], v34 offset:8
; %bb.100:
	s_or_saveexec_b32 s13, s13
	v_mov_b32_e32 v49, v45
	v_mov_b32_e32 v48, v44
	s_xor_b32 exec_lo, exec_lo, s13
	s_cbranch_execz .LBB191_102
; %bb.101:
	v_lshl_add_u32 v34, v68, 3, v52
	s_waitcnt lgkmcnt(0)
	v_mov_b32_e32 v47, v43
	v_mov_b32_e32 v46, v42
	ds_read_b64 v[48:49], v34 offset:8
.LBB191_102:
	s_or_b32 exec_lo, exec_lo, s13
	v_add_nc_u32_e32 v34, 1, v67
	v_add_nc_u32_e32 v35, 1, v68
	s_waitcnt lgkmcnt(0)
	v_cmp_lt_i64_e64 s13, v[48:49], v[46:47]
	v_cndmask_b32_e64 v69, v34, v67, s12
	v_cndmask_b32_e64 v70, v68, v35, s12
                                        ; implicit-def: $vgpr34_vgpr35
	v_cmp_ge_i32_e64 s14, v69, v55
	v_cmp_lt_i32_e64 s15, v70, v56
	s_or_b32 s13, s14, s13
	s_and_b32 s13, s15, s13
	s_xor_b32 s14, s13, -1
	s_and_saveexec_b32 s15, s14
	s_xor_b32 s14, exec_lo, s15
; %bb.103:
	v_lshl_add_u32 v34, v69, 3, v52
	ds_read_b64 v[34:35], v34 offset:8
; %bb.104:
	s_or_saveexec_b32 s14, s14
	v_mov_b32_e32 v38, v48
	v_mov_b32_e32 v39, v49
	s_xor_b32 exec_lo, exec_lo, s14
	s_cbranch_execz .LBB191_106
; %bb.105:
	s_waitcnt lgkmcnt(0)
	v_lshl_add_u32 v34, v70, 3, v52
	ds_read_b64 v[38:39], v34 offset:8
	v_mov_b32_e32 v34, v46
	v_mov_b32_e32 v35, v47
.LBB191_106:
	s_or_b32 exec_lo, exec_lo, s14
	v_add_nc_u32_e32 v72, 1, v69
	v_cndmask_b32_e64 v27, v27, v29, s9
	v_cndmask_b32_e64 v29, v7, v25, s8
	v_and_b32_e32 v7, 0xe0, v54
	v_add_nc_u32_e32 v71, 1, v70
	v_cndmask_b32_e64 v47, v47, v49, s13
	v_cndmask_b32_e64 v49, v72, v69, s13
	;; [unrolled: 1-line block ×4, first 2 shown]
	v_min_i32_e32 v24, v50, v7
	v_cndmask_b32_e64 v46, v46, v48, s13
	v_cndmask_b32_e64 v48, v70, v71, s13
	v_cndmask_b32_e64 v37, v37, v41, s11
	v_cndmask_b32_e64 v41, v61, v62, s9
	s_waitcnt lgkmcnt(0)
	v_cmp_lt_i64_e64 s9, v[38:39], v[34:35]
	v_cndmask_b32_e64 v31, v31, v33, s10
	v_cndmask_b32_e64 v30, v30, v32, s10
	v_cndmask_b32_e64 v32, v63, v64, s10
	v_cmp_ge_i32_e64 s10, v49, v55
	; wave barrier
	ds_write2_b64 v53, v[2:3], v[8:9] offset1:1
	ds_write2_b64 v53, v[10:11], v[12:13] offset0:2 offset1:3
	v_add_nc_u32_e32 v2, 16, v24
	v_cndmask_b32_e64 v36, v36, v40, s11
	v_cndmask_b32_e64 v40, v65, v66, s11
	v_cmp_lt_i32_e64 s11, v48, v56
	v_cndmask_b32_e64 v6, v59, v60, s8
	s_or_b32 s8, s10, s9
	v_cndmask_b32_e64 v25, v58, v57, s7
	v_min_i32_e32 v55, v50, v2
	v_cndmask_b32_e64 v42, v42, v44, s12
	v_cndmask_b32_e64 v44, v67, v68, s12
	s_and_b32 s8, s11, s8
	v_cndmask_b32_e64 v69, v69, v70, s13
	v_cndmask_b32_e64 v33, v35, v39, s8
	;; [unrolled: 1-line block ×3, first 2 shown]
	v_lshl_add_u32 v2, v25, 3, v52
	v_add_nc_u32_e32 v10, 16, v55
	v_lshl_add_u32 v11, v40, 3, v52
	v_and_b32_e32 v12, 24, v54
	ds_write2_b64 v53, v[14:15], v[18:19] offset0:4 offset1:5
	ds_write2_b64 v53, v[4:5], v[16:17] offset0:6 offset1:7
	v_lshl_add_u32 v4, v6, 3, v52
	v_lshl_add_u32 v13, v44, 3, v52
	;; [unrolled: 1-line block ×6, first 2 shown]
	; wave barrier
	ds_read_b64 v[2:3], v2
	ds_read_b64 v[6:7], v4
	;; [unrolled: 1-line block ×4, first 2 shown]
	v_min_i32_e32 v56, v50, v10
	v_min_i32_e32 v18, v50, v12
	ds_read_b64 v[10:11], v11
	ds_read_b64 v[14:15], v13
	;; [unrolled: 1-line block ×4, first 2 shown]
	v_cndmask_b32_e64 v40, v21, v23, s7
	v_cndmask_b32_e64 v39, v20, v22, s7
	v_sub_nc_u32_e32 v19, v56, v55
	v_sub_nc_u32_e32 v21, v55, v24
	v_cndmask_b32_e64 v32, v34, v38, s8
	v_cndmask_b32_e64 v43, v43, v45, s12
	s_mov_b32 s9, 0
	v_sub_nc_u32_e32 v20, v18, v19
	v_cmp_ge_i32_e64 s7, v18, v19
	v_lshl_add_u32 v19, v24, 3, v52
	s_mov_b32 s8, exec_lo
	; wave barrier
	v_cndmask_b32_e64 v22, 0, v20, s7
	v_min_i32_e32 v20, v18, v21
	ds_write2_b64 v53, v[39:40], v[28:29] offset1:1
	ds_write2_b64 v53, v[26:27], v[30:31] offset0:2 offset1:3
	ds_write2_b64 v53, v[36:37], v[42:43] offset0:4 offset1:5
	;; [unrolled: 1-line block ×3, first 2 shown]
	; wave barrier
	v_cmpx_lt_i32_e64 v22, v20
	s_cbranch_execz .LBB191_110
; %bb.107:
	v_lshlrev_b32_e32 v21, 3, v55
	v_lshlrev_b32_e32 v23, 3, v18
	v_add3_u32 v21, v52, v21, v23
	.p2align	6
.LBB191_108:                            ; =>This Inner Loop Header: Depth=1
	v_sub_nc_u32_e32 v23, v20, v22
	v_lshrrev_b32_e32 v23, 1, v23
	v_add_nc_u32_e32 v23, v23, v22
	v_not_b32_e32 v25, v23
	v_lshl_add_u32 v26, v23, 3, v19
	v_lshl_add_u32 v27, v25, 3, v21
	ds_read_b64 v[25:26], v26
	ds_read_b64 v[27:28], v27
	s_waitcnt lgkmcnt(0)
	v_cmp_lt_i64_e64 s7, v[27:28], v[25:26]
	v_add_nc_u32_e32 v25, 1, v23
	v_cndmask_b32_e64 v20, v20, v23, s7
	v_cndmask_b32_e64 v22, v25, v22, s7
	v_cmp_ge_i32_e64 s7, v22, v20
	s_or_b32 s9, s7, s9
	s_andn2_b32 exec_lo, exec_lo, s9
	s_cbranch_execnz .LBB191_108
; %bb.109:
	s_or_b32 exec_lo, exec_lo, s9
.LBB191_110:
	s_or_b32 exec_lo, exec_lo, s8
	v_add_nc_u32_e32 v18, v55, v18
	v_lshl_add_u32 v25, v22, 3, v19
	v_add_nc_u32_e32 v58, v22, v24
	v_sub_nc_u32_e32 v57, v18, v22
                                        ; implicit-def: $vgpr22_vgpr23
	v_cmp_le_i32_e64 s8, v55, v58
	v_lshl_add_u32 v26, v57, 3, v52
	v_cmp_gt_i32_e64 s9, v56, v57
	ds_read_b64 v[18:19], v25
	ds_read_b64 v[20:21], v26
	s_waitcnt lgkmcnt(0)
	v_cmp_lt_i64_e64 s7, v[20:21], v[18:19]
	s_or_b32 s7, s8, s7
	s_and_b32 s7, s9, s7
	s_xor_b32 s8, s7, -1
	s_and_saveexec_b32 s9, s8
	s_xor_b32 s8, exec_lo, s9
; %bb.111:
	ds_read_b64 v[22:23], v25 offset:8
                                        ; implicit-def: $vgpr26
; %bb.112:
	s_or_saveexec_b32 s8, s8
	v_mov_b32_e32 v25, v21
	v_mov_b32_e32 v24, v20
	s_xor_b32 exec_lo, exec_lo, s8
	s_cbranch_execz .LBB191_114
; %bb.113:
	ds_read_b64 v[24:25], v26 offset:8
	s_waitcnt lgkmcnt(1)
	v_mov_b32_e32 v23, v19
	v_mov_b32_e32 v22, v18
.LBB191_114:
	s_or_b32 exec_lo, exec_lo, s8
	v_add_nc_u32_e32 v26, 1, v58
	v_add_nc_u32_e32 v27, 1, v57
	s_waitcnt lgkmcnt(0)
	v_cmp_lt_i64_e64 s8, v[24:25], v[22:23]
	v_cndmask_b32_e64 v59, v26, v58, s7
	v_cndmask_b32_e64 v60, v57, v27, s7
                                        ; implicit-def: $vgpr26_vgpr27
	v_cmp_ge_i32_e64 s9, v59, v55
	v_cmp_lt_i32_e64 s10, v60, v56
	s_or_b32 s8, s9, s8
	s_and_b32 s8, s10, s8
	s_xor_b32 s9, s8, -1
	s_and_saveexec_b32 s10, s9
	s_xor_b32 s9, exec_lo, s10
; %bb.115:
	v_lshl_add_u32 v26, v59, 3, v52
	ds_read_b64 v[26:27], v26 offset:8
; %bb.116:
	s_or_saveexec_b32 s9, s9
	v_mov_b32_e32 v29, v25
	v_mov_b32_e32 v28, v24
	s_xor_b32 exec_lo, exec_lo, s9
	s_cbranch_execz .LBB191_118
; %bb.117:
	s_waitcnt lgkmcnt(0)
	v_lshl_add_u32 v26, v60, 3, v52
	ds_read_b64 v[28:29], v26 offset:8
	v_mov_b32_e32 v27, v23
	v_mov_b32_e32 v26, v22
.LBB191_118:
	s_or_b32 exec_lo, exec_lo, s9
	v_add_nc_u32_e32 v30, 1, v59
	v_add_nc_u32_e32 v31, 1, v60
	s_waitcnt lgkmcnt(0)
	v_cmp_lt_i64_e64 s9, v[28:29], v[26:27]
	v_cndmask_b32_e64 v61, v30, v59, s8
	v_cndmask_b32_e64 v62, v60, v31, s8
                                        ; implicit-def: $vgpr30_vgpr31
	v_cmp_ge_i32_e64 s10, v61, v55
	v_cmp_lt_i32_e64 s11, v62, v56
	s_or_b32 s9, s10, s9
	s_and_b32 s9, s11, s9
	s_xor_b32 s10, s9, -1
	s_and_saveexec_b32 s11, s10
	s_xor_b32 s10, exec_lo, s11
; %bb.119:
	v_lshl_add_u32 v30, v61, 3, v52
	ds_read_b64 v[30:31], v30 offset:8
; %bb.120:
	s_or_saveexec_b32 s10, s10
	v_mov_b32_e32 v33, v29
	v_mov_b32_e32 v32, v28
	s_xor_b32 exec_lo, exec_lo, s10
	s_cbranch_execz .LBB191_122
; %bb.121:
	s_waitcnt lgkmcnt(0)
	v_lshl_add_u32 v30, v62, 3, v52
	ds_read_b64 v[32:33], v30 offset:8
	v_mov_b32_e32 v31, v27
	v_mov_b32_e32 v30, v26
.LBB191_122:
	s_or_b32 exec_lo, exec_lo, s10
	v_add_nc_u32_e32 v34, 1, v61
	v_add_nc_u32_e32 v35, 1, v62
	s_waitcnt lgkmcnt(0)
	v_cmp_lt_i64_e64 s10, v[32:33], v[30:31]
                                        ; implicit-def: $vgpr36_vgpr37
	v_cndmask_b32_e64 v63, v34, v61, s9
	v_cndmask_b32_e64 v64, v62, v35, s9
	v_cmp_ge_i32_e64 s11, v63, v55
	v_cmp_lt_i32_e64 s12, v64, v56
	s_or_b32 s10, s11, s10
	s_and_b32 s10, s12, s10
	s_xor_b32 s11, s10, -1
	s_and_saveexec_b32 s12, s11
	s_xor_b32 s11, exec_lo, s12
; %bb.123:
	v_lshl_add_u32 v34, v63, 3, v52
	ds_read_b64 v[36:37], v34 offset:8
; %bb.124:
	s_or_saveexec_b32 s11, s11
	v_mov_b32_e32 v41, v33
	v_mov_b32_e32 v40, v32
	s_xor_b32 exec_lo, exec_lo, s11
	s_cbranch_execz .LBB191_126
; %bb.125:
	v_lshl_add_u32 v34, v64, 3, v52
	s_waitcnt lgkmcnt(0)
	v_mov_b32_e32 v37, v31
	v_mov_b32_e32 v36, v30
	ds_read_b64 v[40:41], v34 offset:8
.LBB191_126:
	s_or_b32 exec_lo, exec_lo, s11
	v_add_nc_u32_e32 v34, 1, v63
	v_add_nc_u32_e32 v35, 1, v64
	s_waitcnt lgkmcnt(0)
	v_cmp_lt_i64_e64 s11, v[40:41], v[36:37]
                                        ; implicit-def: $vgpr42_vgpr43
	v_cndmask_b32_e64 v65, v34, v63, s10
	v_cndmask_b32_e64 v66, v64, v35, s10
	v_cmp_ge_i32_e64 s12, v65, v55
	v_cmp_lt_i32_e64 s13, v66, v56
	s_or_b32 s11, s12, s11
	s_and_b32 s11, s13, s11
	s_xor_b32 s12, s11, -1
	s_and_saveexec_b32 s13, s12
	s_xor_b32 s12, exec_lo, s13
; %bb.127:
	v_lshl_add_u32 v34, v65, 3, v52
	ds_read_b64 v[42:43], v34 offset:8
; %bb.128:
	s_or_saveexec_b32 s12, s12
	v_mov_b32_e32 v45, v41
	v_mov_b32_e32 v44, v40
	s_xor_b32 exec_lo, exec_lo, s12
	s_cbranch_execz .LBB191_130
; %bb.129:
	v_lshl_add_u32 v34, v66, 3, v52
	s_waitcnt lgkmcnt(0)
	v_mov_b32_e32 v43, v37
	v_mov_b32_e32 v42, v36
	ds_read_b64 v[44:45], v34 offset:8
.LBB191_130:
	s_or_b32 exec_lo, exec_lo, s12
	v_add_nc_u32_e32 v34, 1, v65
	v_add_nc_u32_e32 v35, 1, v66
	s_waitcnt lgkmcnt(0)
	v_cmp_lt_i64_e64 s12, v[44:45], v[42:43]
                                        ; implicit-def: $vgpr46_vgpr47
	v_cndmask_b32_e64 v67, v34, v65, s11
	v_cndmask_b32_e64 v68, v66, v35, s11
	v_cmp_ge_i32_e64 s13, v67, v55
	v_cmp_lt_i32_e64 s14, v68, v56
	s_or_b32 s12, s13, s12
	s_and_b32 s12, s14, s12
	s_xor_b32 s13, s12, -1
	s_and_saveexec_b32 s14, s13
	s_xor_b32 s13, exec_lo, s14
; %bb.131:
	v_lshl_add_u32 v34, v67, 3, v52
	ds_read_b64 v[46:47], v34 offset:8
; %bb.132:
	s_or_saveexec_b32 s13, s13
	v_mov_b32_e32 v49, v45
	v_mov_b32_e32 v48, v44
	s_xor_b32 exec_lo, exec_lo, s13
	s_cbranch_execz .LBB191_134
; %bb.133:
	v_lshl_add_u32 v34, v68, 3, v52
	s_waitcnt lgkmcnt(0)
	v_mov_b32_e32 v47, v43
	v_mov_b32_e32 v46, v42
	ds_read_b64 v[48:49], v34 offset:8
.LBB191_134:
	s_or_b32 exec_lo, exec_lo, s13
	v_add_nc_u32_e32 v34, 1, v67
	v_add_nc_u32_e32 v35, 1, v68
	s_waitcnt lgkmcnt(0)
	v_cmp_lt_i64_e64 s13, v[48:49], v[46:47]
	v_cndmask_b32_e64 v69, v34, v67, s12
	v_cndmask_b32_e64 v70, v68, v35, s12
                                        ; implicit-def: $vgpr34_vgpr35
	v_cmp_ge_i32_e64 s14, v69, v55
	v_cmp_lt_i32_e64 s15, v70, v56
	s_or_b32 s13, s14, s13
	s_and_b32 s13, s15, s13
	s_xor_b32 s14, s13, -1
	s_and_saveexec_b32 s15, s14
	s_xor_b32 s14, exec_lo, s15
; %bb.135:
	v_lshl_add_u32 v34, v69, 3, v52
	ds_read_b64 v[34:35], v34 offset:8
; %bb.136:
	s_or_saveexec_b32 s14, s14
	v_mov_b32_e32 v38, v48
	v_mov_b32_e32 v39, v49
	s_xor_b32 exec_lo, exec_lo, s14
	s_cbranch_execz .LBB191_138
; %bb.137:
	s_waitcnt lgkmcnt(0)
	v_lshl_add_u32 v34, v70, 3, v52
	ds_read_b64 v[38:39], v34 offset:8
	v_mov_b32_e32 v34, v46
	v_mov_b32_e32 v35, v47
.LBB191_138:
	s_or_b32 exec_lo, exec_lo, s14
	v_add_nc_u32_e32 v72, 1, v69
	v_cndmask_b32_e64 v26, v26, v28, s9
	v_cndmask_b32_e64 v28, v22, v24, s8
	v_and_b32_e32 v22, 0xc0, v54
	v_add_nc_u32_e32 v71, 1, v70
	v_cndmask_b32_e64 v47, v47, v49, s13
	v_cndmask_b32_e64 v49, v72, v69, s13
	;; [unrolled: 1-line block ×3, first 2 shown]
	v_min_i32_e32 v22, v50, v22
	v_cndmask_b32_e64 v48, v70, v71, s13
	v_cndmask_b32_e64 v37, v37, v41, s11
	;; [unrolled: 1-line block ×4, first 2 shown]
	s_waitcnt lgkmcnt(0)
	v_cmp_lt_i64_e64 s9, v[38:39], v[34:35]
	v_cndmask_b32_e64 v31, v31, v33, s10
	v_cndmask_b32_e64 v30, v30, v32, s10
	v_cndmask_b32_e64 v32, v63, v64, s10
	v_cmp_ge_i32_e64 s10, v49, v55
	; wave barrier
	ds_write2_b64 v53, v[2:3], v[6:7] offset1:1
	ds_write2_b64 v53, v[4:5], v[8:9] offset0:2 offset1:3
	v_add_nc_u32_e32 v2, 32, v22
	v_cndmask_b32_e64 v36, v36, v40, s11
	v_cndmask_b32_e64 v40, v65, v66, s11
	v_cmp_lt_i32_e64 s11, v48, v56
	v_cndmask_b32_e64 v29, v23, v25, s8
	v_cndmask_b32_e64 v23, v59, v60, s8
	s_or_b32 s8, s10, s9
	v_cndmask_b32_e64 v24, v58, v57, s7
	v_min_i32_e32 v55, v50, v2
	v_cndmask_b32_e64 v42, v42, v44, s12
	v_cndmask_b32_e64 v44, v67, v68, s12
	s_and_b32 s8, s11, s8
	v_cndmask_b32_e64 v69, v69, v70, s13
	v_cndmask_b32_e64 v25, v49, v48, s8
	ds_write2_b64 v53, v[10:11], v[14:15] offset0:4 offset1:5
	ds_write2_b64 v53, v[12:13], v[16:17] offset0:6 offset1:7
	v_lshl_add_u32 v2, v24, 3, v52
	v_add_nc_u32_e32 v10, 32, v55
	v_lshl_add_u32 v11, v40, 3, v52
	v_and_b32_e32 v12, 56, v54
	v_lshl_add_u32 v4, v23, 3, v52
	v_lshl_add_u32 v13, v44, 3, v52
	;; [unrolled: 1-line block ×6, first 2 shown]
	; wave barrier
	ds_read_b64 v[2:3], v2
	ds_read_b64 v[6:7], v4
	;; [unrolled: 1-line block ×4, first 2 shown]
	v_min_i32_e32 v56, v50, v10
	v_min_i32_e32 v23, v50, v12
	ds_read_b64 v[10:11], v11
	ds_read_b64 v[14:15], v13
	;; [unrolled: 1-line block ×4, first 2 shown]
	v_cndmask_b32_e64 v21, v19, v21, s7
	v_cndmask_b32_e64 v20, v18, v20, s7
	v_sub_nc_u32_e32 v24, v56, v55
	v_sub_nc_u32_e32 v19, v55, v22
	v_cndmask_b32_e64 v33, v35, v39, s8
	v_cndmask_b32_e64 v32, v34, v38, s8
	;; [unrolled: 1-line block ×3, first 2 shown]
	v_sub_nc_u32_e32 v18, v23, v24
	v_cmp_ge_i32_e64 s7, v23, v24
	v_min_i32_e32 v19, v23, v19
	s_mov_b32 s9, 0
	s_mov_b32 s8, exec_lo
	v_cndmask_b32_e64 v24, 0, v18, s7
	v_lshl_add_u32 v18, v22, 3, v52
	; wave barrier
	ds_write2_b64 v53, v[20:21], v[28:29] offset1:1
	ds_write2_b64 v53, v[26:27], v[30:31] offset0:2 offset1:3
	ds_write2_b64 v53, v[36:37], v[42:43] offset0:4 offset1:5
	;; [unrolled: 1-line block ×3, first 2 shown]
	; wave barrier
	v_cmpx_lt_i32_e64 v24, v19
	s_cbranch_execz .LBB191_142
; %bb.139:
	v_lshlrev_b32_e32 v20, 3, v55
	v_lshlrev_b32_e32 v21, 3, v23
	v_add3_u32 v20, v52, v20, v21
	.p2align	6
.LBB191_140:                            ; =>This Inner Loop Header: Depth=1
	v_sub_nc_u32_e32 v21, v19, v24
	v_lshrrev_b32_e32 v21, 1, v21
	v_add_nc_u32_e32 v21, v21, v24
	v_not_b32_e32 v25, v21
	v_lshl_add_u32 v26, v21, 3, v18
	v_lshl_add_u32 v27, v25, 3, v20
	ds_read_b64 v[25:26], v26
	ds_read_b64 v[27:28], v27
	s_waitcnt lgkmcnt(0)
	v_cmp_lt_i64_e64 s7, v[27:28], v[25:26]
	v_add_nc_u32_e32 v25, 1, v21
	v_cndmask_b32_e64 v19, v19, v21, s7
	v_cndmask_b32_e64 v24, v25, v24, s7
	v_cmp_ge_i32_e64 s7, v24, v19
	s_or_b32 s9, s7, s9
	s_andn2_b32 exec_lo, exec_lo, s9
	s_cbranch_execnz .LBB191_140
; %bb.141:
	s_or_b32 exec_lo, exec_lo, s9
.LBB191_142:
	s_or_b32 exec_lo, exec_lo, s8
	v_add_nc_u32_e32 v19, v55, v23
	v_lshl_add_u32 v25, v24, 3, v18
	v_add_nc_u32_e32 v58, v24, v22
                                        ; implicit-def: $vgpr22_vgpr23
	v_sub_nc_u32_e32 v57, v19, v24
	v_cmp_le_i32_e64 s8, v55, v58
	v_lshl_add_u32 v26, v57, 3, v52
	v_cmp_gt_i32_e64 s9, v56, v57
	ds_read_b64 v[18:19], v25
	ds_read_b64 v[20:21], v26
	s_waitcnt lgkmcnt(0)
	v_cmp_lt_i64_e64 s7, v[20:21], v[18:19]
	s_or_b32 s7, s8, s7
	s_and_b32 s7, s9, s7
	s_xor_b32 s8, s7, -1
	s_and_saveexec_b32 s9, s8
	s_xor_b32 s8, exec_lo, s9
; %bb.143:
	ds_read_b64 v[22:23], v25 offset:8
                                        ; implicit-def: $vgpr26
; %bb.144:
	s_or_saveexec_b32 s8, s8
	v_mov_b32_e32 v25, v21
	v_mov_b32_e32 v24, v20
	s_xor_b32 exec_lo, exec_lo, s8
	s_cbranch_execz .LBB191_146
; %bb.145:
	ds_read_b64 v[24:25], v26 offset:8
	s_waitcnt lgkmcnt(1)
	v_mov_b32_e32 v23, v19
	v_mov_b32_e32 v22, v18
.LBB191_146:
	s_or_b32 exec_lo, exec_lo, s8
	v_add_nc_u32_e32 v26, 1, v58
	v_add_nc_u32_e32 v27, 1, v57
	s_waitcnt lgkmcnt(0)
	v_cmp_lt_i64_e64 s8, v[24:25], v[22:23]
	v_cndmask_b32_e64 v59, v26, v58, s7
	v_cndmask_b32_e64 v60, v57, v27, s7
                                        ; implicit-def: $vgpr26_vgpr27
	v_cmp_ge_i32_e64 s9, v59, v55
	v_cmp_lt_i32_e64 s10, v60, v56
	s_or_b32 s8, s9, s8
	s_and_b32 s8, s10, s8
	s_xor_b32 s9, s8, -1
	s_and_saveexec_b32 s10, s9
	s_xor_b32 s9, exec_lo, s10
; %bb.147:
	v_lshl_add_u32 v26, v59, 3, v52
	ds_read_b64 v[26:27], v26 offset:8
; %bb.148:
	s_or_saveexec_b32 s9, s9
	v_mov_b32_e32 v29, v25
	v_mov_b32_e32 v28, v24
	s_xor_b32 exec_lo, exec_lo, s9
	s_cbranch_execz .LBB191_150
; %bb.149:
	s_waitcnt lgkmcnt(0)
	v_lshl_add_u32 v26, v60, 3, v52
	ds_read_b64 v[28:29], v26 offset:8
	v_mov_b32_e32 v27, v23
	v_mov_b32_e32 v26, v22
.LBB191_150:
	s_or_b32 exec_lo, exec_lo, s9
	v_add_nc_u32_e32 v30, 1, v59
	v_add_nc_u32_e32 v31, 1, v60
	s_waitcnt lgkmcnt(0)
	v_cmp_lt_i64_e64 s9, v[28:29], v[26:27]
	v_cndmask_b32_e64 v61, v30, v59, s8
	v_cndmask_b32_e64 v62, v60, v31, s8
                                        ; implicit-def: $vgpr30_vgpr31
	v_cmp_ge_i32_e64 s10, v61, v55
	v_cmp_lt_i32_e64 s11, v62, v56
	s_or_b32 s9, s10, s9
	s_and_b32 s9, s11, s9
	s_xor_b32 s10, s9, -1
	s_and_saveexec_b32 s11, s10
	s_xor_b32 s10, exec_lo, s11
; %bb.151:
	v_lshl_add_u32 v30, v61, 3, v52
	ds_read_b64 v[30:31], v30 offset:8
; %bb.152:
	s_or_saveexec_b32 s10, s10
	v_mov_b32_e32 v33, v29
	v_mov_b32_e32 v32, v28
	s_xor_b32 exec_lo, exec_lo, s10
	s_cbranch_execz .LBB191_154
; %bb.153:
	s_waitcnt lgkmcnt(0)
	v_lshl_add_u32 v30, v62, 3, v52
	ds_read_b64 v[32:33], v30 offset:8
	v_mov_b32_e32 v31, v27
	v_mov_b32_e32 v30, v26
.LBB191_154:
	s_or_b32 exec_lo, exec_lo, s10
	v_add_nc_u32_e32 v34, 1, v61
	v_add_nc_u32_e32 v35, 1, v62
	s_waitcnt lgkmcnt(0)
	v_cmp_lt_i64_e64 s10, v[32:33], v[30:31]
                                        ; implicit-def: $vgpr36_vgpr37
	v_cndmask_b32_e64 v63, v34, v61, s9
	v_cndmask_b32_e64 v64, v62, v35, s9
	v_cmp_ge_i32_e64 s11, v63, v55
	v_cmp_lt_i32_e64 s12, v64, v56
	s_or_b32 s10, s11, s10
	s_and_b32 s10, s12, s10
	s_xor_b32 s11, s10, -1
	s_and_saveexec_b32 s12, s11
	s_xor_b32 s11, exec_lo, s12
; %bb.155:
	v_lshl_add_u32 v34, v63, 3, v52
	ds_read_b64 v[36:37], v34 offset:8
; %bb.156:
	s_or_saveexec_b32 s11, s11
	v_mov_b32_e32 v41, v33
	v_mov_b32_e32 v40, v32
	s_xor_b32 exec_lo, exec_lo, s11
	s_cbranch_execz .LBB191_158
; %bb.157:
	v_lshl_add_u32 v34, v64, 3, v52
	s_waitcnt lgkmcnt(0)
	v_mov_b32_e32 v37, v31
	v_mov_b32_e32 v36, v30
	ds_read_b64 v[40:41], v34 offset:8
.LBB191_158:
	s_or_b32 exec_lo, exec_lo, s11
	v_add_nc_u32_e32 v34, 1, v63
	v_add_nc_u32_e32 v35, 1, v64
	s_waitcnt lgkmcnt(0)
	v_cmp_lt_i64_e64 s11, v[40:41], v[36:37]
                                        ; implicit-def: $vgpr42_vgpr43
	v_cndmask_b32_e64 v65, v34, v63, s10
	v_cndmask_b32_e64 v66, v64, v35, s10
	v_cmp_ge_i32_e64 s12, v65, v55
	v_cmp_lt_i32_e64 s13, v66, v56
	s_or_b32 s11, s12, s11
	s_and_b32 s11, s13, s11
	s_xor_b32 s12, s11, -1
	s_and_saveexec_b32 s13, s12
	s_xor_b32 s12, exec_lo, s13
; %bb.159:
	v_lshl_add_u32 v34, v65, 3, v52
	ds_read_b64 v[42:43], v34 offset:8
; %bb.160:
	s_or_saveexec_b32 s12, s12
	v_mov_b32_e32 v45, v41
	v_mov_b32_e32 v44, v40
	s_xor_b32 exec_lo, exec_lo, s12
	s_cbranch_execz .LBB191_162
; %bb.161:
	v_lshl_add_u32 v34, v66, 3, v52
	s_waitcnt lgkmcnt(0)
	v_mov_b32_e32 v43, v37
	v_mov_b32_e32 v42, v36
	ds_read_b64 v[44:45], v34 offset:8
.LBB191_162:
	s_or_b32 exec_lo, exec_lo, s12
	v_add_nc_u32_e32 v34, 1, v65
	v_add_nc_u32_e32 v35, 1, v66
	s_waitcnt lgkmcnt(0)
	v_cmp_lt_i64_e64 s12, v[44:45], v[42:43]
                                        ; implicit-def: $vgpr46_vgpr47
	v_cndmask_b32_e64 v67, v34, v65, s11
	v_cndmask_b32_e64 v68, v66, v35, s11
	v_cmp_ge_i32_e64 s13, v67, v55
	v_cmp_lt_i32_e64 s14, v68, v56
	s_or_b32 s12, s13, s12
	s_and_b32 s12, s14, s12
	s_xor_b32 s13, s12, -1
	s_and_saveexec_b32 s14, s13
	s_xor_b32 s13, exec_lo, s14
; %bb.163:
	v_lshl_add_u32 v34, v67, 3, v52
	ds_read_b64 v[46:47], v34 offset:8
; %bb.164:
	s_or_saveexec_b32 s13, s13
	v_mov_b32_e32 v49, v45
	v_mov_b32_e32 v48, v44
	s_xor_b32 exec_lo, exec_lo, s13
	s_cbranch_execz .LBB191_166
; %bb.165:
	v_lshl_add_u32 v34, v68, 3, v52
	s_waitcnt lgkmcnt(0)
	v_mov_b32_e32 v47, v43
	v_mov_b32_e32 v46, v42
	ds_read_b64 v[48:49], v34 offset:8
.LBB191_166:
	s_or_b32 exec_lo, exec_lo, s13
	v_add_nc_u32_e32 v34, 1, v67
	v_add_nc_u32_e32 v35, 1, v68
	s_waitcnt lgkmcnt(0)
	v_cmp_lt_i64_e64 s13, v[48:49], v[46:47]
	v_cndmask_b32_e64 v69, v34, v67, s12
	v_cndmask_b32_e64 v70, v68, v35, s12
                                        ; implicit-def: $vgpr34_vgpr35
	v_cmp_ge_i32_e64 s14, v69, v55
	v_cmp_lt_i32_e64 s15, v70, v56
	s_or_b32 s13, s14, s13
	s_and_b32 s13, s15, s13
	s_xor_b32 s14, s13, -1
	s_and_saveexec_b32 s15, s14
	s_xor_b32 s14, exec_lo, s15
; %bb.167:
	v_lshl_add_u32 v34, v69, 3, v52
	ds_read_b64 v[34:35], v34 offset:8
; %bb.168:
	s_or_saveexec_b32 s14, s14
	v_mov_b32_e32 v38, v48
	v_mov_b32_e32 v39, v49
	s_xor_b32 exec_lo, exec_lo, s14
	s_cbranch_execz .LBB191_170
; %bb.169:
	s_waitcnt lgkmcnt(0)
	v_lshl_add_u32 v34, v70, 3, v52
	ds_read_b64 v[38:39], v34 offset:8
	v_mov_b32_e32 v34, v46
	v_mov_b32_e32 v35, v47
.LBB191_170:
	s_or_b32 exec_lo, exec_lo, s14
	v_add_nc_u32_e32 v72, 1, v69
	v_cndmask_b32_e64 v26, v26, v28, s9
	v_cndmask_b32_e64 v28, v22, v24, s8
	v_and_b32_e32 v22, 0x80, v54
	v_add_nc_u32_e32 v71, 1, v70
	v_cndmask_b32_e64 v47, v47, v49, s13
	v_cndmask_b32_e64 v49, v72, v69, s13
	;; [unrolled: 1-line block ×3, first 2 shown]
	v_min_i32_e32 v22, v50, v22
	v_cndmask_b32_e64 v48, v70, v71, s13
	v_cndmask_b32_e64 v37, v37, v41, s11
	;; [unrolled: 1-line block ×4, first 2 shown]
	s_waitcnt lgkmcnt(0)
	v_cmp_lt_i64_e64 s9, v[38:39], v[34:35]
	v_cndmask_b32_e64 v31, v31, v33, s10
	v_cndmask_b32_e64 v30, v30, v32, s10
	;; [unrolled: 1-line block ×3, first 2 shown]
	v_cmp_ge_i32_e64 s10, v49, v55
	; wave barrier
	ds_write2_b64 v53, v[2:3], v[6:7] offset1:1
	ds_write2_b64 v53, v[4:5], v[8:9] offset0:2 offset1:3
	v_add_nc_u32_e32 v2, 64, v22
	v_cndmask_b32_e64 v36, v36, v40, s11
	v_cndmask_b32_e64 v40, v65, v66, s11
	v_cmp_lt_i32_e64 s11, v48, v56
	v_cndmask_b32_e64 v29, v23, v25, s8
	v_cndmask_b32_e64 v23, v59, v60, s8
	s_or_b32 s8, s10, s9
	v_cndmask_b32_e64 v24, v58, v57, s7
	v_min_i32_e32 v55, v50, v2
	v_cndmask_b32_e64 v42, v42, v44, s12
	v_cndmask_b32_e64 v44, v67, v68, s12
	s_and_b32 s8, s11, s8
	v_cndmask_b32_e64 v69, v69, v70, s13
	v_cndmask_b32_e64 v25, v49, v48, s8
	ds_write2_b64 v53, v[10:11], v[14:15] offset0:4 offset1:5
	ds_write2_b64 v53, v[12:13], v[16:17] offset0:6 offset1:7
	v_lshl_add_u32 v2, v24, 3, v52
	v_add_nc_u32_e32 v10, 64, v55
	v_lshl_add_u32 v11, v40, 3, v52
	v_and_b32_e32 v12, 0x78, v54
	v_lshl_add_u32 v4, v23, 3, v52
	v_lshl_add_u32 v13, v44, 3, v52
	;; [unrolled: 1-line block ×6, first 2 shown]
	; wave barrier
	ds_read_b64 v[2:3], v2
	ds_read_b64 v[6:7], v4
	ds_read_b64 v[4:5], v5
	ds_read_b64 v[8:9], v8
	v_min_i32_e32 v56, v50, v10
	v_min_i32_e32 v23, v50, v12
	ds_read_b64 v[10:11], v11
	ds_read_b64 v[14:15], v13
	;; [unrolled: 1-line block ×4, first 2 shown]
	v_cndmask_b32_e64 v21, v19, v21, s7
	v_cndmask_b32_e64 v20, v18, v20, s7
	v_sub_nc_u32_e32 v24, v56, v55
	v_sub_nc_u32_e32 v19, v55, v22
	v_cndmask_b32_e64 v33, v35, v39, s8
	v_cndmask_b32_e64 v32, v34, v38, s8
	v_cndmask_b32_e64 v43, v43, v45, s12
	v_sub_nc_u32_e32 v18, v23, v24
	v_cmp_ge_i32_e64 s7, v23, v24
	v_min_i32_e32 v19, v23, v19
	s_mov_b32 s9, 0
	s_mov_b32 s8, exec_lo
	v_cndmask_b32_e64 v24, 0, v18, s7
	v_lshl_add_u32 v18, v22, 3, v52
	; wave barrier
	ds_write2_b64 v53, v[20:21], v[28:29] offset1:1
	ds_write2_b64 v53, v[26:27], v[30:31] offset0:2 offset1:3
	ds_write2_b64 v53, v[36:37], v[42:43] offset0:4 offset1:5
	;; [unrolled: 1-line block ×3, first 2 shown]
	; wave barrier
	v_cmpx_lt_i32_e64 v24, v19
	s_cbranch_execz .LBB191_174
; %bb.171:
	v_lshlrev_b32_e32 v20, 3, v55
	v_lshlrev_b32_e32 v21, 3, v23
	v_add3_u32 v20, v52, v20, v21
	.p2align	6
.LBB191_172:                            ; =>This Inner Loop Header: Depth=1
	v_sub_nc_u32_e32 v21, v19, v24
	v_lshrrev_b32_e32 v21, 1, v21
	v_add_nc_u32_e32 v21, v21, v24
	v_not_b32_e32 v25, v21
	v_lshl_add_u32 v26, v21, 3, v18
	v_lshl_add_u32 v27, v25, 3, v20
	ds_read_b64 v[25:26], v26
	ds_read_b64 v[27:28], v27
	s_waitcnt lgkmcnt(0)
	v_cmp_lt_i64_e64 s7, v[27:28], v[25:26]
	v_add_nc_u32_e32 v25, 1, v21
	v_cndmask_b32_e64 v19, v19, v21, s7
	v_cndmask_b32_e64 v24, v25, v24, s7
	v_cmp_ge_i32_e64 s7, v24, v19
	s_or_b32 s9, s7, s9
	s_andn2_b32 exec_lo, exec_lo, s9
	s_cbranch_execnz .LBB191_172
; %bb.173:
	s_or_b32 exec_lo, exec_lo, s9
.LBB191_174:
	s_or_b32 exec_lo, exec_lo, s8
	v_add_nc_u32_e32 v19, v55, v23
	v_lshl_add_u32 v25, v24, 3, v18
	v_add_nc_u32_e32 v58, v24, v22
                                        ; implicit-def: $vgpr22_vgpr23
	v_sub_nc_u32_e32 v57, v19, v24
	v_cmp_le_i32_e64 s8, v55, v58
	v_lshl_add_u32 v26, v57, 3, v52
	v_cmp_gt_i32_e64 s9, v56, v57
	ds_read_b64 v[18:19], v25
	ds_read_b64 v[20:21], v26
	s_waitcnt lgkmcnt(0)
	v_cmp_lt_i64_e64 s7, v[20:21], v[18:19]
	s_or_b32 s7, s8, s7
	s_and_b32 s7, s9, s7
	s_xor_b32 s8, s7, -1
	s_and_saveexec_b32 s9, s8
	s_xor_b32 s8, exec_lo, s9
; %bb.175:
	ds_read_b64 v[22:23], v25 offset:8
                                        ; implicit-def: $vgpr26
; %bb.176:
	s_or_saveexec_b32 s8, s8
	v_mov_b32_e32 v25, v21
	v_mov_b32_e32 v24, v20
	s_xor_b32 exec_lo, exec_lo, s8
	s_cbranch_execz .LBB191_178
; %bb.177:
	ds_read_b64 v[24:25], v26 offset:8
	s_waitcnt lgkmcnt(1)
	v_mov_b32_e32 v23, v19
	v_mov_b32_e32 v22, v18
.LBB191_178:
	s_or_b32 exec_lo, exec_lo, s8
	v_add_nc_u32_e32 v26, 1, v58
	v_add_nc_u32_e32 v27, 1, v57
	s_waitcnt lgkmcnt(0)
	v_cmp_lt_i64_e64 s8, v[24:25], v[22:23]
	v_cndmask_b32_e64 v59, v26, v58, s7
	v_cndmask_b32_e64 v60, v57, v27, s7
                                        ; implicit-def: $vgpr26_vgpr27
	v_cmp_ge_i32_e64 s9, v59, v55
	v_cmp_lt_i32_e64 s10, v60, v56
	s_or_b32 s8, s9, s8
	s_and_b32 s8, s10, s8
	s_xor_b32 s9, s8, -1
	s_and_saveexec_b32 s10, s9
	s_xor_b32 s9, exec_lo, s10
; %bb.179:
	v_lshl_add_u32 v26, v59, 3, v52
	ds_read_b64 v[26:27], v26 offset:8
; %bb.180:
	s_or_saveexec_b32 s9, s9
	v_mov_b32_e32 v29, v25
	v_mov_b32_e32 v28, v24
	s_xor_b32 exec_lo, exec_lo, s9
	s_cbranch_execz .LBB191_182
; %bb.181:
	s_waitcnt lgkmcnt(0)
	v_lshl_add_u32 v26, v60, 3, v52
	ds_read_b64 v[28:29], v26 offset:8
	v_mov_b32_e32 v27, v23
	v_mov_b32_e32 v26, v22
.LBB191_182:
	s_or_b32 exec_lo, exec_lo, s9
	v_add_nc_u32_e32 v30, 1, v59
	v_add_nc_u32_e32 v31, 1, v60
	s_waitcnt lgkmcnt(0)
	v_cmp_lt_i64_e64 s9, v[28:29], v[26:27]
	v_cndmask_b32_e64 v61, v30, v59, s8
	v_cndmask_b32_e64 v62, v60, v31, s8
                                        ; implicit-def: $vgpr30_vgpr31
	v_cmp_ge_i32_e64 s10, v61, v55
	v_cmp_lt_i32_e64 s11, v62, v56
	s_or_b32 s9, s10, s9
	s_and_b32 s9, s11, s9
	s_xor_b32 s10, s9, -1
	s_and_saveexec_b32 s11, s10
	s_xor_b32 s10, exec_lo, s11
; %bb.183:
	v_lshl_add_u32 v30, v61, 3, v52
	ds_read_b64 v[30:31], v30 offset:8
; %bb.184:
	s_or_saveexec_b32 s10, s10
	v_mov_b32_e32 v33, v29
	v_mov_b32_e32 v32, v28
	s_xor_b32 exec_lo, exec_lo, s10
	s_cbranch_execz .LBB191_186
; %bb.185:
	s_waitcnt lgkmcnt(0)
	v_lshl_add_u32 v30, v62, 3, v52
	ds_read_b64 v[32:33], v30 offset:8
	v_mov_b32_e32 v31, v27
	v_mov_b32_e32 v30, v26
.LBB191_186:
	s_or_b32 exec_lo, exec_lo, s10
	v_add_nc_u32_e32 v34, 1, v61
	v_add_nc_u32_e32 v35, 1, v62
	s_waitcnt lgkmcnt(0)
	v_cmp_lt_i64_e64 s10, v[32:33], v[30:31]
                                        ; implicit-def: $vgpr36_vgpr37
	v_cndmask_b32_e64 v63, v34, v61, s9
	v_cndmask_b32_e64 v64, v62, v35, s9
	v_cmp_ge_i32_e64 s11, v63, v55
	v_cmp_lt_i32_e64 s12, v64, v56
	s_or_b32 s10, s11, s10
	s_and_b32 s10, s12, s10
	s_xor_b32 s11, s10, -1
	s_and_saveexec_b32 s12, s11
	s_xor_b32 s11, exec_lo, s12
; %bb.187:
	v_lshl_add_u32 v34, v63, 3, v52
	ds_read_b64 v[36:37], v34 offset:8
; %bb.188:
	s_or_saveexec_b32 s11, s11
	v_mov_b32_e32 v41, v33
	v_mov_b32_e32 v40, v32
	s_xor_b32 exec_lo, exec_lo, s11
	s_cbranch_execz .LBB191_190
; %bb.189:
	v_lshl_add_u32 v34, v64, 3, v52
	s_waitcnt lgkmcnt(0)
	v_mov_b32_e32 v37, v31
	v_mov_b32_e32 v36, v30
	ds_read_b64 v[40:41], v34 offset:8
.LBB191_190:
	s_or_b32 exec_lo, exec_lo, s11
	v_add_nc_u32_e32 v34, 1, v63
	v_add_nc_u32_e32 v35, 1, v64
	s_waitcnt lgkmcnt(0)
	v_cmp_lt_i64_e64 s11, v[40:41], v[36:37]
                                        ; implicit-def: $vgpr42_vgpr43
	v_cndmask_b32_e64 v65, v34, v63, s10
	v_cndmask_b32_e64 v66, v64, v35, s10
	v_cmp_ge_i32_e64 s12, v65, v55
	v_cmp_lt_i32_e64 s13, v66, v56
	s_or_b32 s11, s12, s11
	s_and_b32 s11, s13, s11
	s_xor_b32 s12, s11, -1
	s_and_saveexec_b32 s13, s12
	s_xor_b32 s12, exec_lo, s13
; %bb.191:
	v_lshl_add_u32 v34, v65, 3, v52
	ds_read_b64 v[42:43], v34 offset:8
; %bb.192:
	s_or_saveexec_b32 s12, s12
	v_mov_b32_e32 v45, v41
	v_mov_b32_e32 v44, v40
	s_xor_b32 exec_lo, exec_lo, s12
	s_cbranch_execz .LBB191_194
; %bb.193:
	v_lshl_add_u32 v34, v66, 3, v52
	s_waitcnt lgkmcnt(0)
	v_mov_b32_e32 v43, v37
	v_mov_b32_e32 v42, v36
	ds_read_b64 v[44:45], v34 offset:8
.LBB191_194:
	s_or_b32 exec_lo, exec_lo, s12
	v_add_nc_u32_e32 v34, 1, v65
	v_add_nc_u32_e32 v35, 1, v66
	s_waitcnt lgkmcnt(0)
	v_cmp_lt_i64_e64 s12, v[44:45], v[42:43]
                                        ; implicit-def: $vgpr46_vgpr47
	v_cndmask_b32_e64 v67, v34, v65, s11
	v_cndmask_b32_e64 v68, v66, v35, s11
	v_cmp_ge_i32_e64 s13, v67, v55
	v_cmp_lt_i32_e64 s14, v68, v56
	s_or_b32 s12, s13, s12
	s_and_b32 s12, s14, s12
	s_xor_b32 s13, s12, -1
	s_and_saveexec_b32 s14, s13
	s_xor_b32 s13, exec_lo, s14
; %bb.195:
	v_lshl_add_u32 v34, v67, 3, v52
	ds_read_b64 v[46:47], v34 offset:8
; %bb.196:
	s_or_saveexec_b32 s13, s13
	v_mov_b32_e32 v49, v45
	v_mov_b32_e32 v48, v44
	s_xor_b32 exec_lo, exec_lo, s13
	s_cbranch_execz .LBB191_198
; %bb.197:
	v_lshl_add_u32 v34, v68, 3, v52
	s_waitcnt lgkmcnt(0)
	v_mov_b32_e32 v47, v43
	v_mov_b32_e32 v46, v42
	ds_read_b64 v[48:49], v34 offset:8
.LBB191_198:
	s_or_b32 exec_lo, exec_lo, s13
	v_add_nc_u32_e32 v34, 1, v67
	v_add_nc_u32_e32 v35, 1, v68
	s_waitcnt lgkmcnt(0)
	v_cmp_lt_i64_e64 s13, v[48:49], v[46:47]
	v_cndmask_b32_e64 v69, v34, v67, s12
	v_cndmask_b32_e64 v70, v68, v35, s12
                                        ; implicit-def: $vgpr34_vgpr35
	v_cmp_ge_i32_e64 s14, v69, v55
	v_cmp_lt_i32_e64 s15, v70, v56
	s_or_b32 s13, s14, s13
	s_and_b32 s13, s15, s13
	s_xor_b32 s14, s13, -1
	s_and_saveexec_b32 s15, s14
	s_xor_b32 s14, exec_lo, s15
; %bb.199:
	v_lshl_add_u32 v34, v69, 3, v52
	ds_read_b64 v[34:35], v34 offset:8
; %bb.200:
	s_or_saveexec_b32 s14, s14
	v_mov_b32_e32 v38, v48
	v_mov_b32_e32 v39, v49
	s_xor_b32 exec_lo, exec_lo, s14
	s_cbranch_execz .LBB191_202
; %bb.201:
	s_waitcnt lgkmcnt(0)
	v_lshl_add_u32 v34, v70, 3, v52
	ds_read_b64 v[38:39], v34 offset:8
	v_mov_b32_e32 v34, v46
	v_mov_b32_e32 v35, v47
.LBB191_202:
	s_or_b32 exec_lo, exec_lo, s14
	v_add_nc_u32_e32 v72, 1, v69
	v_cndmask_b32_e64 v47, v47, v49, s13
	v_add_nc_u32_e32 v71, 1, v70
	v_cndmask_b32_e64 v31, v31, v33, s10
	v_cndmask_b32_e64 v30, v30, v32, s10
	;; [unrolled: 1-line block ×7, first 2 shown]
	v_cmp_ge_i32_e64 s10, v49, v55
	v_min_i32_e32 v55, 0, v50
	v_cndmask_b32_e64 v26, v26, v28, s9
	v_cndmask_b32_e64 v28, v61, v62, s9
	s_waitcnt lgkmcnt(0)
	v_cmp_lt_i64_e64 s9, v[38:39], v[34:35]
	v_cndmask_b32_e64 v25, v23, v25, s8
	v_cndmask_b32_e64 v23, v58, v57, s7
	; wave barrier
	ds_write2_b64 v53, v[2:3], v[6:7] offset1:1
	ds_write2_b64 v53, v[4:5], v[8:9] offset0:2 offset1:3
	v_add_nc_u32_e32 v2, 0x80, v55
	v_cndmask_b32_e64 v37, v37, v41, s11
	v_cndmask_b32_e64 v36, v36, v40, s11
	;; [unrolled: 1-line block ×3, first 2 shown]
	v_cmp_lt_i32_e64 s11, v48, v56
	v_cndmask_b32_e64 v24, v22, v24, s8
	v_cndmask_b32_e64 v22, v59, v60, s8
	s_or_b32 s8, s10, s9
	v_min_i32_e32 v57, v50, v2
	v_lshl_add_u32 v2, v23, 3, v52
	v_cndmask_b32_e64 v42, v42, v44, s12
	v_cndmask_b32_e64 v44, v67, v68, s12
	s_and_b32 s8, s11, s8
	v_lshl_add_u32 v3, v22, 3, v52
	v_cndmask_b32_e64 v69, v69, v70, s13
	v_lshl_add_u32 v4, v28, 3, v52
	v_cndmask_b32_e64 v33, v49, v48, s8
	v_lshl_add_u32 v5, v32, 3, v52
	ds_write2_b64 v53, v[10:11], v[14:15] offset0:4 offset1:5
	ds_write2_b64 v53, v[12:13], v[16:17] offset0:6 offset1:7
	; wave barrier
	v_add_nc_u32_e32 v6, 0x80, v57
	ds_read_b64 v[14:15], v2
	ds_read_b64 v[16:17], v3
	;; [unrolled: 1-line block ×4, first 2 shown]
	v_lshl_add_u32 v2, v40, 3, v52
	v_and_b32_e32 v3, 0xf8, v54
	v_lshl_add_u32 v4, v44, 3, v52
	v_lshl_add_u32 v5, v69, 3, v52
	;; [unrolled: 1-line block ×3, first 2 shown]
	v_min_i32_e32 v58, v50, v6
	v_min_i32_e32 v54, v50, v3
	ds_read_b64 v[2:3], v2
	ds_read_b64 v[6:7], v4
	;; [unrolled: 1-line block ×4, first 2 shown]
	v_cndmask_b32_e64 v21, v19, v21, s7
	v_cndmask_b32_e64 v20, v18, v20, s7
	v_sub_nc_u32_e32 v22, v58, v57
	v_sub_nc_u32_e32 v19, v57, v55
	v_cndmask_b32_e64 v29, v35, v39, s8
	v_cndmask_b32_e64 v28, v34, v38, s8
	v_lshl_add_u32 v56, v55, 3, v52
	v_sub_nc_u32_e32 v18, v54, v22
	v_cmp_ge_i32_e64 s7, v54, v22
	v_cndmask_b32_e64 v43, v43, v45, s12
	s_mov_b32 s9, 0
	s_mov_b32 s8, exec_lo
	v_cndmask_b32_e64 v22, 0, v18, s7
	v_min_i32_e32 v18, v54, v19
	; wave barrier
	ds_write2_b64 v53, v[20:21], v[24:25] offset1:1
	ds_write2_b64 v53, v[26:27], v[30:31] offset0:2 offset1:3
	ds_write2_b64 v53, v[36:37], v[42:43] offset0:4 offset1:5
	;; [unrolled: 1-line block ×3, first 2 shown]
	; wave barrier
	v_cmpx_lt_i32_e64 v22, v18
	s_cbranch_execz .LBB191_206
; %bb.203:
	v_lshlrev_b32_e32 v19, 3, v57
	v_lshlrev_b32_e32 v20, 3, v54
	v_add3_u32 v19, v52, v19, v20
	.p2align	6
.LBB191_204:                            ; =>This Inner Loop Header: Depth=1
	v_sub_nc_u32_e32 v20, v18, v22
	v_lshrrev_b32_e32 v20, 1, v20
	v_add_nc_u32_e32 v25, v20, v22
	v_not_b32_e32 v20, v25
	v_lshl_add_u32 v21, v25, 3, v56
	v_lshl_add_u32 v23, v20, 3, v19
	ds_read_b64 v[20:21], v21
	ds_read_b64 v[23:24], v23
	s_waitcnt lgkmcnt(0)
	v_cmp_lt_i64_e64 s7, v[23:24], v[20:21]
	v_add_nc_u32_e32 v20, 1, v25
	v_cndmask_b32_e64 v18, v18, v25, s7
	v_cndmask_b32_e64 v22, v20, v22, s7
	v_cmp_ge_i32_e64 s7, v22, v18
	s_or_b32 s9, s7, s9
	s_andn2_b32 exec_lo, exec_lo, s9
	s_cbranch_execnz .LBB191_204
; %bb.205:
	s_or_b32 exec_lo, exec_lo, s9
.LBB191_206:
	s_or_b32 exec_lo, exec_lo, s8
	v_add_nc_u32_e32 v18, v57, v54
	v_lshl_add_u32 v24, v22, 3, v56
	v_add_nc_u32_e32 v60, v22, v55
	v_sub_nc_u32_e32 v59, v18, v22
                                        ; implicit-def: $vgpr22_vgpr23
	v_cmp_le_i32_e64 s8, v57, v60
	v_lshl_add_u32 v26, v59, 3, v52
	v_cmp_gt_i32_e64 s9, v58, v59
	ds_read_b64 v[18:19], v24
	ds_read_b64 v[20:21], v26
	s_waitcnt lgkmcnt(0)
	v_cmp_lt_i64_e64 s7, v[20:21], v[18:19]
	s_or_b32 s7, s8, s7
	s_and_b32 s7, s9, s7
	s_xor_b32 s8, s7, -1
	s_and_saveexec_b32 s9, s8
	s_xor_b32 s8, exec_lo, s9
; %bb.207:
	ds_read_b64 v[22:23], v24 offset:8
                                        ; implicit-def: $vgpr26
; %bb.208:
	s_or_saveexec_b32 s8, s8
	v_mov_b32_e32 v25, v21
	v_mov_b32_e32 v24, v20
	s_xor_b32 exec_lo, exec_lo, s8
	s_cbranch_execz .LBB191_210
; %bb.209:
	ds_read_b64 v[24:25], v26 offset:8
	s_waitcnt lgkmcnt(1)
	v_mov_b32_e32 v23, v19
	v_mov_b32_e32 v22, v18
.LBB191_210:
	s_or_b32 exec_lo, exec_lo, s8
	v_add_nc_u32_e32 v26, 1, v60
	v_add_nc_u32_e32 v27, 1, v59
	s_waitcnt lgkmcnt(0)
	v_cmp_lt_i64_e64 s8, v[24:25], v[22:23]
	v_cndmask_b32_e64 v61, v26, v60, s7
	v_cndmask_b32_e64 v62, v59, v27, s7
                                        ; implicit-def: $vgpr26_vgpr27
	v_cmp_ge_i32_e64 s9, v61, v57
	v_cmp_lt_i32_e64 s10, v62, v58
	s_or_b32 s8, s9, s8
	s_and_b32 s8, s10, s8
	s_xor_b32 s9, s8, -1
	s_and_saveexec_b32 s10, s9
	s_xor_b32 s9, exec_lo, s10
; %bb.211:
	v_lshl_add_u32 v26, v61, 3, v52
	ds_read_b64 v[26:27], v26 offset:8
; %bb.212:
	s_or_saveexec_b32 s9, s9
	v_mov_b32_e32 v29, v25
	v_mov_b32_e32 v28, v24
	s_xor_b32 exec_lo, exec_lo, s9
	s_cbranch_execz .LBB191_214
; %bb.213:
	s_waitcnt lgkmcnt(0)
	v_lshl_add_u32 v26, v62, 3, v52
	ds_read_b64 v[28:29], v26 offset:8
	v_mov_b32_e32 v27, v23
	v_mov_b32_e32 v26, v22
.LBB191_214:
	s_or_b32 exec_lo, exec_lo, s9
	v_add_nc_u32_e32 v30, 1, v61
	v_add_nc_u32_e32 v31, 1, v62
	s_waitcnt lgkmcnt(0)
	v_cmp_lt_i64_e64 s9, v[28:29], v[26:27]
	v_cndmask_b32_e64 v63, v30, v61, s8
	v_cndmask_b32_e64 v64, v62, v31, s8
                                        ; implicit-def: $vgpr30_vgpr31
	v_cmp_ge_i32_e64 s10, v63, v57
	v_cmp_lt_i32_e64 s11, v64, v58
	s_or_b32 s9, s10, s9
	s_and_b32 s9, s11, s9
	s_xor_b32 s10, s9, -1
	s_and_saveexec_b32 s11, s10
	s_xor_b32 s10, exec_lo, s11
; %bb.215:
	v_lshl_add_u32 v30, v63, 3, v52
	ds_read_b64 v[30:31], v30 offset:8
; %bb.216:
	s_or_saveexec_b32 s10, s10
	v_mov_b32_e32 v33, v29
	v_mov_b32_e32 v32, v28
	s_xor_b32 exec_lo, exec_lo, s10
	s_cbranch_execz .LBB191_218
; %bb.217:
	s_waitcnt lgkmcnt(0)
	v_lshl_add_u32 v30, v64, 3, v52
	ds_read_b64 v[32:33], v30 offset:8
	v_mov_b32_e32 v31, v27
	v_mov_b32_e32 v30, v26
.LBB191_218:
	s_or_b32 exec_lo, exec_lo, s10
	v_add_nc_u32_e32 v34, 1, v63
	v_add_nc_u32_e32 v35, 1, v64
	s_waitcnt lgkmcnt(0)
	v_cmp_lt_i64_e64 s10, v[32:33], v[30:31]
	v_cndmask_b32_e64 v65, v34, v63, s9
	v_cndmask_b32_e64 v66, v64, v35, s9
                                        ; implicit-def: $vgpr34_vgpr35
	v_cmp_ge_i32_e64 s11, v65, v57
	v_cmp_lt_i32_e64 s12, v66, v58
	s_or_b32 s10, s11, s10
	s_and_b32 s10, s12, s10
	s_xor_b32 s11, s10, -1
	s_and_saveexec_b32 s12, s11
	s_xor_b32 s11, exec_lo, s12
; %bb.219:
	v_lshl_add_u32 v34, v65, 3, v52
	ds_read_b64 v[34:35], v34 offset:8
; %bb.220:
	s_or_saveexec_b32 s11, s11
	v_mov_b32_e32 v39, v33
	v_mov_b32_e32 v38, v32
	s_xor_b32 exec_lo, exec_lo, s11
	s_cbranch_execz .LBB191_222
; %bb.221:
	s_waitcnt lgkmcnt(0)
	v_lshl_add_u32 v34, v66, 3, v52
	ds_read_b64 v[38:39], v34 offset:8
	v_mov_b32_e32 v35, v31
	v_mov_b32_e32 v34, v30
.LBB191_222:
	s_or_b32 exec_lo, exec_lo, s11
	v_add_nc_u32_e32 v36, 1, v65
	v_add_nc_u32_e32 v37, 1, v66
	s_waitcnt lgkmcnt(0)
	v_cmp_lt_i64_e64 s11, v[38:39], v[34:35]
                                        ; implicit-def: $vgpr42_vgpr43
	v_cndmask_b32_e64 v67, v36, v65, s10
	v_cndmask_b32_e64 v68, v66, v37, s10
	v_cmp_ge_i32_e64 s12, v67, v57
	v_cmp_lt_i32_e64 s13, v68, v58
	s_or_b32 s11, s12, s11
	s_and_b32 s11, s13, s11
	s_xor_b32 s12, s11, -1
	s_and_saveexec_b32 s13, s12
	s_xor_b32 s12, exec_lo, s13
; %bb.223:
	v_lshl_add_u32 v36, v67, 3, v52
	ds_read_b64 v[42:43], v36 offset:8
; %bb.224:
	s_or_saveexec_b32 s12, s12
	v_mov_b32_e32 v45, v39
	v_mov_b32_e32 v44, v38
	s_xor_b32 exec_lo, exec_lo, s12
	s_cbranch_execz .LBB191_226
; %bb.225:
	v_lshl_add_u32 v36, v68, 3, v52
	s_waitcnt lgkmcnt(0)
	v_mov_b32_e32 v43, v35
	v_mov_b32_e32 v42, v34
	ds_read_b64 v[44:45], v36 offset:8
.LBB191_226:
	s_or_b32 exec_lo, exec_lo, s12
	v_add_nc_u32_e32 v36, 1, v67
	v_add_nc_u32_e32 v37, 1, v68
	s_waitcnt lgkmcnt(0)
	v_cmp_lt_i64_e64 s12, v[44:45], v[42:43]
                                        ; implicit-def: $vgpr46_vgpr47
	v_cndmask_b32_e64 v69, v36, v67, s11
	v_cndmask_b32_e64 v70, v68, v37, s11
	v_cmp_ge_i32_e64 s13, v69, v57
	v_cmp_lt_i32_e64 s14, v70, v58
	s_or_b32 s12, s13, s12
	s_and_b32 s12, s14, s12
	s_xor_b32 s13, s12, -1
	s_and_saveexec_b32 s14, s13
	s_xor_b32 s13, exec_lo, s14
; %bb.227:
	v_lshl_add_u32 v36, v69, 3, v52
	ds_read_b64 v[46:47], v36 offset:8
; %bb.228:
	s_or_saveexec_b32 s13, s13
	v_mov_b32_e32 v49, v45
	v_mov_b32_e32 v48, v44
	s_xor_b32 exec_lo, exec_lo, s13
	s_cbranch_execz .LBB191_230
; %bb.229:
	v_lshl_add_u32 v36, v70, 3, v52
	s_waitcnt lgkmcnt(0)
	v_mov_b32_e32 v47, v43
	v_mov_b32_e32 v46, v42
	ds_read_b64 v[48:49], v36 offset:8
.LBB191_230:
	s_or_b32 exec_lo, exec_lo, s13
	v_add_nc_u32_e32 v36, 1, v69
	v_add_nc_u32_e32 v37, 1, v70
	s_waitcnt lgkmcnt(0)
	v_cmp_lt_i64_e64 s13, v[48:49], v[46:47]
	v_cndmask_b32_e64 v71, v36, v69, s12
	v_cndmask_b32_e64 v72, v70, v37, s12
                                        ; implicit-def: $vgpr36_vgpr37
	v_cmp_ge_i32_e64 s14, v71, v57
	v_cmp_lt_i32_e64 s15, v72, v58
	s_or_b32 s13, s14, s13
	s_and_b32 s13, s15, s13
	s_xor_b32 s14, s13, -1
	s_and_saveexec_b32 s15, s14
	s_xor_b32 s14, exec_lo, s15
; %bb.231:
	v_lshl_add_u32 v36, v71, 3, v52
	ds_read_b64 v[36:37], v36 offset:8
; %bb.232:
	s_or_saveexec_b32 s14, s14
	v_mov_b32_e32 v40, v48
	v_mov_b32_e32 v41, v49
	s_xor_b32 exec_lo, exec_lo, s14
	s_cbranch_execz .LBB191_234
; %bb.233:
	s_waitcnt lgkmcnt(0)
	v_lshl_add_u32 v36, v72, 3, v52
	ds_read_b64 v[40:41], v36 offset:8
	v_mov_b32_e32 v36, v46
	v_mov_b32_e32 v37, v47
.LBB191_234:
	s_or_b32 exec_lo, exec_lo, s14
	v_add_nc_u32_e32 v74, 1, v71
	v_add_nc_u32_e32 v73, 1, v72
	v_cndmask_b32_e64 v47, v47, v49, s13
	v_cndmask_b32_e64 v46, v46, v48, s13
	;; [unrolled: 1-line block ×4, first 2 shown]
	; wave barrier
	ds_write2_b64 v53, v[14:15], v[16:17] offset1:1
	ds_write2_b64 v53, v[10:11], v[12:13] offset0:2 offset1:3
	v_add_nc_u32_e32 v10, 0x100, v55
	v_cndmask_b32_e64 v31, v31, v33, s10
	v_cndmask_b32_e64 v30, v30, v32, s10
	;; [unrolled: 1-line block ×3, first 2 shown]
	s_waitcnt lgkmcnt(2)
	v_cmp_lt_i64_e64 s10, v[40:41], v[36:37]
	v_cndmask_b32_e64 v35, v35, v39, s11
	v_cndmask_b32_e64 v34, v34, v38, s11
	;; [unrolled: 1-line block ×3, first 2 shown]
	v_cmp_ge_i32_e64 s11, v49, v57
	v_cndmask_b32_e64 v33, v60, v59, s7
	v_cndmask_b32_e64 v27, v27, v29, s9
	;; [unrolled: 1-line block ×4, first 2 shown]
	v_cmp_lt_i32_e64 s9, v48, v58
	v_cndmask_b32_e64 v29, v61, v62, s8
	v_min_i32_e32 v57, v50, v10
	s_or_b32 s10, s11, s10
	ds_write2_b64 v53, v[2:3], v[6:7] offset0:4 offset1:5
	ds_write2_b64 v53, v[4:5], v[8:9] offset0:6 offset1:7
	v_lshl_add_u32 v2, v33, 3, v52
	v_cndmask_b32_e64 v42, v42, v44, s12
	v_cndmask_b32_e64 v44, v69, v70, s12
	s_and_b32 s9, s9, s10
	v_lshl_add_u32 v3, v29, 3, v52
	v_cndmask_b32_e64 v71, v71, v72, s13
	v_lshl_add_u32 v4, v28, 3, v52
	v_add_nc_u32_e32 v8, 0x100, v57
	v_cndmask_b32_e64 v23, v23, v25, s8
	v_cndmask_b32_e64 v25, v37, v41, s9
	;; [unrolled: 1-line block ×3, first 2 shown]
	v_lshl_add_u32 v5, v32, 3, v52
	; wave barrier
	ds_read_b64 v[10:11], v2
	ds_read_b64 v[14:15], v3
	;; [unrolled: 1-line block ×4, first 2 shown]
	v_lshl_add_u32 v4, v38, 3, v52
	v_lshl_add_u32 v5, v44, 3, v52
	v_min_i32_e32 v50, v50, v8
	v_lshl_add_u32 v8, v71, 3, v52
	v_lshl_add_u32 v9, v37, 3, v52
	ds_read_b64 v[12:13], v4
	ds_read_b64 v[16:17], v5
	;; [unrolled: 1-line block ×4, first 2 shown]
	v_sub_nc_u32_e32 v28, v50, v57
	v_cndmask_b32_e64 v21, v19, v21, s7
	v_cndmask_b32_e64 v20, v18, v20, s7
	v_sub_nc_u32_e32 v19, v57, v55
	v_cndmask_b32_e64 v22, v22, v24, s8
	v_sub_nc_u32_e32 v18, v54, v28
	v_cmp_ge_i32_e64 s7, v54, v28
	v_cndmask_b32_e64 v43, v43, v45, s12
	v_min_i32_e32 v19, v54, v19
	v_cndmask_b32_e64 v24, v36, v40, s9
	s_mov_b32 s9, 0
	v_cndmask_b32_e64 v18, 0, v18, s7
	s_mov_b32 s8, exec_lo
	; wave barrier
	ds_write2_b64 v53, v[20:21], v[22:23] offset1:1
	ds_write2_b64 v53, v[26:27], v[30:31] offset0:2 offset1:3
	ds_write2_b64 v53, v[34:35], v[42:43] offset0:4 offset1:5
	;; [unrolled: 1-line block ×3, first 2 shown]
	; wave barrier
	v_cmpx_lt_i32_e64 v18, v19
	s_cbranch_execz .LBB191_238
; %bb.235:
	v_lshlrev_b32_e32 v20, 3, v57
	v_lshlrev_b32_e32 v21, 3, v54
	v_add3_u32 v20, v52, v20, v21
	.p2align	6
.LBB191_236:                            ; =>This Inner Loop Header: Depth=1
	v_sub_nc_u32_e32 v21, v19, v18
	v_lshrrev_b32_e32 v21, 1, v21
	v_add_nc_u32_e32 v25, v21, v18
	v_not_b32_e32 v21, v25
	v_lshl_add_u32 v22, v25, 3, v56
	v_lshl_add_u32 v23, v21, 3, v20
	ds_read_b64 v[21:22], v22
	ds_read_b64 v[23:24], v23
	s_waitcnt lgkmcnt(0)
	v_cmp_lt_i64_e64 s7, v[23:24], v[21:22]
	v_add_nc_u32_e32 v21, 1, v25
	v_cndmask_b32_e64 v19, v19, v25, s7
	v_cndmask_b32_e64 v18, v21, v18, s7
	v_cmp_ge_i32_e64 s7, v18, v19
	s_or_b32 s9, s7, s9
	s_andn2_b32 exec_lo, exec_lo, s9
	s_cbranch_execnz .LBB191_236
; %bb.237:
	s_or_b32 exec_lo, exec_lo, s9
.LBB191_238:
	s_or_b32 exec_lo, exec_lo, s8
	v_add_nc_u32_e32 v19, v57, v54
	v_lshl_add_u32 v20, v18, 3, v56
	v_add_nc_u32_e32 v55, v18, v55
	v_sub_nc_u32_e32 v54, v19, v18
                                        ; implicit-def: $vgpr18_vgpr19
	v_cmp_le_i32_e64 s8, v57, v55
	v_lshl_add_u32 v22, v54, 3, v52
	v_cmp_gt_i32_e64 s9, v50, v54
	ds_read_b64 v[24:25], v20
	ds_read_b64 v[26:27], v22
	s_waitcnt lgkmcnt(0)
	v_cmp_lt_i64_e64 s7, v[26:27], v[24:25]
	s_or_b32 s7, s8, s7
	s_and_b32 s7, s9, s7
	s_xor_b32 s8, s7, -1
	s_and_saveexec_b32 s9, s8
	s_xor_b32 s8, exec_lo, s9
; %bb.239:
	ds_read_b64 v[18:19], v20 offset:8
                                        ; implicit-def: $vgpr22
; %bb.240:
	s_or_saveexec_b32 s8, s8
	v_mov_b32_e32 v20, v26
	v_mov_b32_e32 v21, v27
	s_xor_b32 exec_lo, exec_lo, s8
	s_cbranch_execz .LBB191_242
; %bb.241:
	ds_read_b64 v[20:21], v22 offset:8
	s_waitcnt lgkmcnt(1)
	v_mov_b32_e32 v18, v24
	v_mov_b32_e32 v19, v25
.LBB191_242:
	s_or_b32 exec_lo, exec_lo, s8
	v_add_nc_u32_e32 v22, 1, v55
	v_add_nc_u32_e32 v23, 1, v54
	s_waitcnt lgkmcnt(0)
	v_cmp_lt_i64_e64 s8, v[20:21], v[18:19]
	v_cndmask_b32_e64 v56, v22, v55, s7
	v_cndmask_b32_e64 v58, v54, v23, s7
                                        ; implicit-def: $vgpr22_vgpr23
	v_cmp_ge_i32_e64 s9, v56, v57
	v_cmp_lt_i32_e64 s10, v58, v50
	s_or_b32 s8, s9, s8
	s_and_b32 s8, s10, s8
	s_xor_b32 s9, s8, -1
	s_and_saveexec_b32 s10, s9
	s_xor_b32 s9, exec_lo, s10
; %bb.243:
	v_lshl_add_u32 v22, v56, 3, v52
	ds_read_b64 v[22:23], v22 offset:8
; %bb.244:
	s_or_saveexec_b32 s9, s9
	v_mov_b32_e32 v29, v21
	v_mov_b32_e32 v28, v20
	s_xor_b32 exec_lo, exec_lo, s9
	s_cbranch_execz .LBB191_246
; %bb.245:
	s_waitcnt lgkmcnt(0)
	v_lshl_add_u32 v22, v58, 3, v52
	ds_read_b64 v[28:29], v22 offset:8
	v_mov_b32_e32 v23, v19
	v_mov_b32_e32 v22, v18
.LBB191_246:
	s_or_b32 exec_lo, exec_lo, s9
	v_add_nc_u32_e32 v30, 1, v56
	v_add_nc_u32_e32 v31, 1, v58
	s_waitcnt lgkmcnt(0)
	v_cmp_lt_i64_e64 s9, v[28:29], v[22:23]
	v_cndmask_b32_e64 v59, v30, v56, s8
	v_cndmask_b32_e64 v60, v58, v31, s8
                                        ; implicit-def: $vgpr30_vgpr31
	v_cmp_ge_i32_e64 s10, v59, v57
	v_cmp_lt_i32_e64 s11, v60, v50
	s_or_b32 s9, s10, s9
	s_and_b32 s9, s11, s9
	s_xor_b32 s10, s9, -1
	s_and_saveexec_b32 s11, s10
	s_xor_b32 s10, exec_lo, s11
; %bb.247:
	v_lshl_add_u32 v30, v59, 3, v52
	ds_read_b64 v[30:31], v30 offset:8
; %bb.248:
	s_or_saveexec_b32 s10, s10
	v_mov_b32_e32 v33, v29
	v_mov_b32_e32 v32, v28
	s_xor_b32 exec_lo, exec_lo, s10
	s_cbranch_execz .LBB191_250
; %bb.249:
	s_waitcnt lgkmcnt(0)
	v_lshl_add_u32 v30, v60, 3, v52
	ds_read_b64 v[32:33], v30 offset:8
	v_mov_b32_e32 v31, v23
	v_mov_b32_e32 v30, v22
.LBB191_250:
	s_or_b32 exec_lo, exec_lo, s10
	v_add_nc_u32_e32 v34, 1, v59
	v_add_nc_u32_e32 v35, 1, v60
	s_waitcnt lgkmcnt(0)
	v_cmp_lt_i64_e64 s10, v[32:33], v[30:31]
	v_cndmask_b32_e64 v61, v34, v59, s9
	v_cndmask_b32_e64 v62, v60, v35, s9
                                        ; implicit-def: $vgpr34_vgpr35
	v_cmp_ge_i32_e64 s11, v61, v57
	v_cmp_lt_i32_e64 s12, v62, v50
	s_or_b32 s10, s11, s10
	s_and_b32 s10, s12, s10
	s_xor_b32 s11, s10, -1
	s_and_saveexec_b32 s12, s11
	s_xor_b32 s11, exec_lo, s12
; %bb.251:
	v_lshl_add_u32 v34, v61, 3, v52
	ds_read_b64 v[34:35], v34 offset:8
; %bb.252:
	s_or_saveexec_b32 s11, s11
	v_mov_b32_e32 v37, v33
	v_mov_b32_e32 v36, v32
	s_xor_b32 exec_lo, exec_lo, s11
	s_cbranch_execz .LBB191_254
; %bb.253:
	s_waitcnt lgkmcnt(0)
	v_lshl_add_u32 v34, v62, 3, v52
	ds_read_b64 v[36:37], v34 offset:8
	v_mov_b32_e32 v35, v31
	v_mov_b32_e32 v34, v30
.LBB191_254:
	s_or_b32 exec_lo, exec_lo, s11
	v_add_nc_u32_e32 v38, 1, v61
	v_add_nc_u32_e32 v39, 1, v62
	s_waitcnt lgkmcnt(0)
	v_cmp_lt_i64_e64 s11, v[36:37], v[34:35]
	v_cndmask_b32_e64 v63, v38, v61, s10
	v_cndmask_b32_e64 v64, v62, v39, s10
                                        ; implicit-def: $vgpr38_vgpr39
	v_cmp_ge_i32_e64 s12, v63, v57
	v_cmp_lt_i32_e64 s13, v64, v50
	s_or_b32 s11, s12, s11
	s_and_b32 s11, s13, s11
	s_xor_b32 s12, s11, -1
	s_and_saveexec_b32 s13, s12
	s_xor_b32 s12, exec_lo, s13
; %bb.255:
	v_lshl_add_u32 v38, v63, 3, v52
	ds_read_b64 v[38:39], v38 offset:8
; %bb.256:
	s_or_saveexec_b32 s12, s12
	v_mov_b32_e32 v41, v37
	v_mov_b32_e32 v40, v36
	s_xor_b32 exec_lo, exec_lo, s12
	s_cbranch_execz .LBB191_258
; %bb.257:
	s_waitcnt lgkmcnt(0)
	v_lshl_add_u32 v38, v64, 3, v52
	ds_read_b64 v[40:41], v38 offset:8
	v_mov_b32_e32 v39, v35
	v_mov_b32_e32 v38, v34
.LBB191_258:
	s_or_b32 exec_lo, exec_lo, s12
	v_add_nc_u32_e32 v42, 1, v63
	v_add_nc_u32_e32 v43, 1, v64
	s_waitcnt lgkmcnt(0)
	v_cmp_lt_i64_e64 s12, v[40:41], v[38:39]
	v_cndmask_b32_e64 v65, v42, v63, s11
	v_cndmask_b32_e64 v66, v64, v43, s11
                                        ; implicit-def: $vgpr42_vgpr43
	v_cmp_ge_i32_e64 s13, v65, v57
	v_cmp_lt_i32_e64 s14, v66, v50
	s_or_b32 s12, s13, s12
	s_and_b32 s12, s14, s12
	s_xor_b32 s13, s12, -1
	s_and_saveexec_b32 s14, s13
	s_xor_b32 s13, exec_lo, s14
; %bb.259:
	v_lshl_add_u32 v42, v65, 3, v52
	ds_read_b64 v[42:43], v42 offset:8
; %bb.260:
	s_or_saveexec_b32 s13, s13
	v_mov_b32_e32 v45, v41
	v_mov_b32_e32 v44, v40
	s_xor_b32 exec_lo, exec_lo, s13
	s_cbranch_execz .LBB191_262
; %bb.261:
	s_waitcnt lgkmcnt(0)
	v_lshl_add_u32 v42, v66, 3, v52
	ds_read_b64 v[44:45], v42 offset:8
	v_mov_b32_e32 v43, v39
	v_mov_b32_e32 v42, v38
.LBB191_262:
	s_or_b32 exec_lo, exec_lo, s13
	v_add_nc_u32_e32 v46, 1, v65
	v_add_nc_u32_e32 v47, 1, v66
	s_waitcnt lgkmcnt(0)
	v_cmp_lt_i64_e64 s13, v[44:45], v[42:43]
                                        ; implicit-def: $vgpr69
	v_cndmask_b32_e64 v70, v46, v65, s12
	v_cndmask_b32_e64 v68, v66, v47, s12
                                        ; implicit-def: $vgpr46_vgpr47
	v_cmp_ge_i32_e64 s14, v70, v57
	v_cmp_lt_i32_e64 s15, v68, v50
	s_or_b32 s13, s14, s13
	s_and_b32 s13, s15, s13
	s_xor_b32 s14, s13, -1
	s_and_saveexec_b32 s15, s14
	s_xor_b32 s14, exec_lo, s15
; %bb.263:
	v_lshl_add_u32 v46, v70, 3, v52
	v_add_nc_u32_e32 v69, 1, v70
	ds_read_b64 v[46:47], v46 offset:8
; %bb.264:
	s_or_saveexec_b32 s14, s14
	v_mov_b32_e32 v49, v45
	v_mov_b32_e32 v67, v70
	;; [unrolled: 1-line block ×3, first 2 shown]
	s_xor_b32 exec_lo, exec_lo, s14
	s_cbranch_execz .LBB191_266
; %bb.265:
	s_waitcnt lgkmcnt(0)
	v_lshl_add_u32 v46, v68, 3, v52
	v_mov_b32_e32 v67, v68
	v_mov_b32_e32 v69, v70
	ds_read_b64 v[48:49], v46 offset:8
	v_add_nc_u32_e32 v46, 1, v68
	v_mov_b32_e32 v68, v46
	v_mov_b32_e32 v47, v43
	;; [unrolled: 1-line block ×3, first 2 shown]
.LBB191_266:
	s_or_b32 exec_lo, exec_lo, s14
	s_waitcnt lgkmcnt(0)
	v_cmp_lt_i64_e64 s14, v[48:49], v[46:47]
	v_cmp_ge_i32_e64 s15, v69, v57
	v_cmp_lt_i32_e64 s16, v68, v50
	v_cndmask_b32_e64 v56, v56, v58, s8
	v_cndmask_b32_e64 v59, v59, v60, s9
	;; [unrolled: 1-line block ×3, first 2 shown]
	s_or_b32 s14, s15, s14
	v_cndmask_b32_e64 v57, v63, v64, s11
	s_and_b32 s14, s16, s14
	v_cndmask_b32_e64 v65, v65, v66, s12
	v_cndmask_b32_e64 v58, v69, v68, s14
	; wave barrier
	ds_write2_b64 v53, v[10:11], v[14:15] offset1:1
	ds_write2_b64 v53, v[2:3], v[6:7] offset0:2 offset1:3
	ds_write2_b64 v53, v[12:13], v[16:17] offset0:4 offset1:5
	;; [unrolled: 1-line block ×3, first 2 shown]
	v_lshl_add_u32 v2, v56, 3, v52
	v_lshl_add_u32 v3, v59, 3, v52
	;; [unrolled: 1-line block ×5, first 2 shown]
	; wave barrier
	v_lshl_add_u32 v16, v67, 3, v52
	v_lshl_add_u32 v17, v58, 3, v52
	ds_read_b64 v[14:15], v2
	ds_read_b64 v[12:13], v3
	ds_read_b64 v[10:11], v4
	ds_read_b64 v[8:9], v5
	ds_read_b64 v[6:7], v6
	ds_read_b64 v[4:5], v16
	ds_read_b64 v[2:3], v17
	v_cndmask_b32_e64 v17, v25, v27, s7
	v_cndmask_b32_e64 v16, v24, v26, s7
	s_and_saveexec_b32 s15, s6
	s_cbranch_execz .LBB191_268
; %bb.267:
	v_cndmask_b32_e64 v24, v55, v54, s7
	v_lshl_add_u32 v24, v24, 3, v52
	ds_read_b64 v[24:25], v24
	s_waitcnt lgkmcnt(0)
	v_add_co_u32 v16, s7, v24, v16
	v_add_co_ci_u32_e64 v17, null, v25, v17, s7
.LBB191_268:
	s_or_b32 exec_lo, exec_lo, s15
	v_add_co_u32 v0, s7, s18, v0
	v_add_co_ci_u32_e64 v1, null, s19, v1, s7
	v_add_co_u32 v0, s7, v0, v51
	v_add_co_ci_u32_e64 v1, null, 0, v1, s7
	s_and_saveexec_b32 s7, s6
	s_xor_b32 s6, exec_lo, s7
	s_cbranch_execnz .LBB191_277
; %bb.269:
	s_or_b32 exec_lo, exec_lo, s6
	s_and_saveexec_b32 s6, s5
	s_cbranch_execnz .LBB191_278
.LBB191_270:
	s_or_b32 exec_lo, exec_lo, s6
	s_and_saveexec_b32 s5, s4
	s_cbranch_execnz .LBB191_279
.LBB191_271:
	s_or_b32 exec_lo, exec_lo, s5
	s_and_saveexec_b32 s4, s3
	s_cbranch_execnz .LBB191_280
.LBB191_272:
	s_or_b32 exec_lo, exec_lo, s4
	s_and_saveexec_b32 s3, s2
	s_cbranch_execnz .LBB191_281
.LBB191_273:
	s_or_b32 exec_lo, exec_lo, s3
	s_and_saveexec_b32 s2, s1
	s_cbranch_execnz .LBB191_282
.LBB191_274:
	s_or_b32 exec_lo, exec_lo, s2
	s_and_saveexec_b32 s1, s0
	s_cbranch_execnz .LBB191_283
.LBB191_275:
	s_or_b32 exec_lo, exec_lo, s1
	s_and_saveexec_b32 s0, vcc_lo
	s_cbranch_execnz .LBB191_284
.LBB191_276:
	s_endpgm
.LBB191_277:
	global_store_dwordx2 v[0:1], v[16:17], off
	s_or_b32 exec_lo, exec_lo, s6
	s_and_saveexec_b32 s6, s5
	s_cbranch_execz .LBB191_270
.LBB191_278:
	v_cndmask_b32_e64 v16, v18, v20, s8
	s_waitcnt lgkmcnt(6)
	v_cndmask_b32_e64 v14, 0, v14, s5
	v_cndmask_b32_e64 v17, v19, v21, s8
	;; [unrolled: 1-line block ×3, first 2 shown]
	v_add_co_u32 v14, s5, v14, v16
	v_add_co_ci_u32_e64 v15, null, v15, v17, s5
	global_store_dwordx2 v[0:1], v[14:15], off offset:8
	s_or_b32 exec_lo, exec_lo, s6
	s_and_saveexec_b32 s5, s4
	s_cbranch_execz .LBB191_271
.LBB191_279:
	s_waitcnt lgkmcnt(6)
	v_cndmask_b32_e64 v14, v22, v28, s9
	s_waitcnt lgkmcnt(5)
	v_cndmask_b32_e64 v12, 0, v12, s4
	v_cndmask_b32_e64 v15, v23, v29, s9
	;; [unrolled: 1-line block ×3, first 2 shown]
	v_add_co_u32 v12, s4, v12, v14
	v_add_co_ci_u32_e64 v13, null, v13, v15, s4
	global_store_dwordx2 v[0:1], v[12:13], off offset:16
	s_or_b32 exec_lo, exec_lo, s5
	s_and_saveexec_b32 s4, s3
	s_cbranch_execz .LBB191_272
.LBB191_280:
	s_waitcnt lgkmcnt(5)
	v_cndmask_b32_e64 v12, v30, v32, s10
	s_waitcnt lgkmcnt(4)
	v_cndmask_b32_e64 v10, 0, v10, s3
	v_cndmask_b32_e64 v13, v31, v33, s10
	;; [unrolled: 1-line block ×3, first 2 shown]
	v_add_co_u32 v10, s3, v10, v12
	v_add_co_ci_u32_e64 v11, null, v11, v13, s3
	global_store_dwordx2 v[0:1], v[10:11], off offset:24
	s_or_b32 exec_lo, exec_lo, s4
	s_and_saveexec_b32 s3, s2
	s_cbranch_execz .LBB191_273
.LBB191_281:
	s_waitcnt lgkmcnt(4)
	v_cndmask_b32_e64 v10, v34, v36, s11
	s_waitcnt lgkmcnt(3)
	v_cndmask_b32_e64 v8, 0, v8, s2
	v_cndmask_b32_e64 v11, v35, v37, s11
	;; [unrolled: 1-line block ×3, first 2 shown]
	v_add_co_u32 v8, s2, v8, v10
	v_add_co_ci_u32_e64 v9, null, v9, v11, s2
	global_store_dwordx2 v[0:1], v[8:9], off offset:32
	s_or_b32 exec_lo, exec_lo, s3
	s_and_saveexec_b32 s2, s1
	s_cbranch_execz .LBB191_274
.LBB191_282:
	s_waitcnt lgkmcnt(3)
	v_cndmask_b32_e64 v8, v38, v40, s12
	s_waitcnt lgkmcnt(2)
	v_cndmask_b32_e64 v6, 0, v6, s1
	v_cndmask_b32_e64 v9, v39, v41, s12
	v_cndmask_b32_e64 v7, 0, v7, s1
	v_add_co_u32 v6, s1, v6, v8
	v_add_co_ci_u32_e64 v7, null, v7, v9, s1
	global_store_dwordx2 v[0:1], v[6:7], off offset:40
	s_or_b32 exec_lo, exec_lo, s2
	s_and_saveexec_b32 s1, s0
	s_cbranch_execz .LBB191_275
.LBB191_283:
	s_waitcnt lgkmcnt(2)
	v_cndmask_b32_e64 v6, v42, v44, s13
	s_waitcnt lgkmcnt(1)
	v_cndmask_b32_e64 v4, 0, v4, s0
	v_cndmask_b32_e64 v7, v43, v45, s13
	;; [unrolled: 1-line block ×3, first 2 shown]
	v_add_co_u32 v4, s0, v4, v6
	v_add_co_ci_u32_e64 v5, null, v5, v7, s0
	global_store_dwordx2 v[0:1], v[4:5], off offset:48
	s_or_b32 exec_lo, exec_lo, s1
	s_and_saveexec_b32 s0, vcc_lo
	s_cbranch_execz .LBB191_276
.LBB191_284:
	s_waitcnt lgkmcnt(1)
	v_cndmask_b32_e64 v4, v46, v48, s14
	s_waitcnt lgkmcnt(0)
	v_cndmask_b32_e32 v2, 0, v2, vcc_lo
	v_cndmask_b32_e64 v5, v47, v49, s14
	v_cndmask_b32_e32 v3, 0, v3, vcc_lo
	v_add_co_u32 v2, vcc_lo, v2, v4
	v_add_co_ci_u32_e64 v3, null, v3, v5, vcc_lo
	global_store_dwordx2 v[0:1], v[2:3], off offset:56
	s_endpgm
	.section	.rodata,"a",@progbits
	.p2align	6, 0x0
	.amdhsa_kernel _Z20sort_pairs_segmentedILj256ELj64ELj8ExN10test_utils4lessEEvPKT2_PS2_PKjT3_
		.amdhsa_group_segment_fixed_size 16416
		.amdhsa_private_segment_fixed_size 0
		.amdhsa_kernarg_size 28
		.amdhsa_user_sgpr_count 6
		.amdhsa_user_sgpr_private_segment_buffer 1
		.amdhsa_user_sgpr_dispatch_ptr 0
		.amdhsa_user_sgpr_queue_ptr 0
		.amdhsa_user_sgpr_kernarg_segment_ptr 1
		.amdhsa_user_sgpr_dispatch_id 0
		.amdhsa_user_sgpr_flat_scratch_init 0
		.amdhsa_user_sgpr_private_segment_size 0
		.amdhsa_wavefront_size32 1
		.amdhsa_uses_dynamic_stack 0
		.amdhsa_system_sgpr_private_segment_wavefront_offset 0
		.amdhsa_system_sgpr_workgroup_id_x 1
		.amdhsa_system_sgpr_workgroup_id_y 0
		.amdhsa_system_sgpr_workgroup_id_z 0
		.amdhsa_system_sgpr_workgroup_info 0
		.amdhsa_system_vgpr_workitem_id 0
		.amdhsa_next_free_vgpr 75
		.amdhsa_next_free_sgpr 20
		.amdhsa_reserve_vcc 1
		.amdhsa_reserve_flat_scratch 0
		.amdhsa_float_round_mode_32 0
		.amdhsa_float_round_mode_16_64 0
		.amdhsa_float_denorm_mode_32 3
		.amdhsa_float_denorm_mode_16_64 3
		.amdhsa_dx10_clamp 1
		.amdhsa_ieee_mode 1
		.amdhsa_fp16_overflow 0
		.amdhsa_workgroup_processor_mode 1
		.amdhsa_memory_ordered 1
		.amdhsa_forward_progress 1
		.amdhsa_shared_vgpr_count 0
		.amdhsa_exception_fp_ieee_invalid_op 0
		.amdhsa_exception_fp_denorm_src 0
		.amdhsa_exception_fp_ieee_div_zero 0
		.amdhsa_exception_fp_ieee_overflow 0
		.amdhsa_exception_fp_ieee_underflow 0
		.amdhsa_exception_fp_ieee_inexact 0
		.amdhsa_exception_int_div_zero 0
	.end_amdhsa_kernel
	.section	.text._Z20sort_pairs_segmentedILj256ELj64ELj8ExN10test_utils4lessEEvPKT2_PS2_PKjT3_,"axG",@progbits,_Z20sort_pairs_segmentedILj256ELj64ELj8ExN10test_utils4lessEEvPKT2_PS2_PKjT3_,comdat
.Lfunc_end191:
	.size	_Z20sort_pairs_segmentedILj256ELj64ELj8ExN10test_utils4lessEEvPKT2_PS2_PKjT3_, .Lfunc_end191-_Z20sort_pairs_segmentedILj256ELj64ELj8ExN10test_utils4lessEEvPKT2_PS2_PKjT3_
                                        ; -- End function
	.set _Z20sort_pairs_segmentedILj256ELj64ELj8ExN10test_utils4lessEEvPKT2_PS2_PKjT3_.num_vgpr, 75
	.set _Z20sort_pairs_segmentedILj256ELj64ELj8ExN10test_utils4lessEEvPKT2_PS2_PKjT3_.num_agpr, 0
	.set _Z20sort_pairs_segmentedILj256ELj64ELj8ExN10test_utils4lessEEvPKT2_PS2_PKjT3_.numbered_sgpr, 20
	.set _Z20sort_pairs_segmentedILj256ELj64ELj8ExN10test_utils4lessEEvPKT2_PS2_PKjT3_.num_named_barrier, 0
	.set _Z20sort_pairs_segmentedILj256ELj64ELj8ExN10test_utils4lessEEvPKT2_PS2_PKjT3_.private_seg_size, 0
	.set _Z20sort_pairs_segmentedILj256ELj64ELj8ExN10test_utils4lessEEvPKT2_PS2_PKjT3_.uses_vcc, 1
	.set _Z20sort_pairs_segmentedILj256ELj64ELj8ExN10test_utils4lessEEvPKT2_PS2_PKjT3_.uses_flat_scratch, 0
	.set _Z20sort_pairs_segmentedILj256ELj64ELj8ExN10test_utils4lessEEvPKT2_PS2_PKjT3_.has_dyn_sized_stack, 0
	.set _Z20sort_pairs_segmentedILj256ELj64ELj8ExN10test_utils4lessEEvPKT2_PS2_PKjT3_.has_recursion, 0
	.set _Z20sort_pairs_segmentedILj256ELj64ELj8ExN10test_utils4lessEEvPKT2_PS2_PKjT3_.has_indirect_call, 0
	.section	.AMDGPU.csdata,"",@progbits
; Kernel info:
; codeLenInByte = 13216
; TotalNumSgprs: 22
; NumVgprs: 75
; ScratchSize: 0
; MemoryBound: 0
; FloatMode: 240
; IeeeMode: 1
; LDSByteSize: 16416 bytes/workgroup (compile time only)
; SGPRBlocks: 0
; VGPRBlocks: 9
; NumSGPRsForWavesPerEU: 22
; NumVGPRsForWavesPerEU: 75
; Occupancy: 12
; WaveLimiterHint : 0
; COMPUTE_PGM_RSRC2:SCRATCH_EN: 0
; COMPUTE_PGM_RSRC2:USER_SGPR: 6
; COMPUTE_PGM_RSRC2:TRAP_HANDLER: 0
; COMPUTE_PGM_RSRC2:TGID_X_EN: 1
; COMPUTE_PGM_RSRC2:TGID_Y_EN: 0
; COMPUTE_PGM_RSRC2:TGID_Z_EN: 0
; COMPUTE_PGM_RSRC2:TIDIG_COMP_CNT: 0
	.section	.AMDGPU.gpr_maximums,"",@progbits
	.set amdgpu.max_num_vgpr, 0
	.set amdgpu.max_num_agpr, 0
	.set amdgpu.max_num_sgpr, 0
	.section	.AMDGPU.csdata,"",@progbits
	.type	__hip_cuid_91248409456a35b1,@object ; @__hip_cuid_91248409456a35b1
	.section	.bss,"aw",@nobits
	.globl	__hip_cuid_91248409456a35b1
__hip_cuid_91248409456a35b1:
	.byte	0                               ; 0x0
	.size	__hip_cuid_91248409456a35b1, 1

	.ident	"AMD clang version 22.0.0git (https://github.com/RadeonOpenCompute/llvm-project roc-7.2.4 26084 f58b06dce1f9c15707c5f808fd002e18c2accf7e)"
	.section	".note.GNU-stack","",@progbits
	.addrsig
	.addrsig_sym __hip_cuid_91248409456a35b1
	.amdgpu_metadata
---
amdhsa.kernels:
  - .args:
      - .address_space:  global
        .offset:         0
        .size:           8
        .value_kind:     global_buffer
      - .address_space:  global
        .offset:         8
        .size:           8
        .value_kind:     global_buffer
      - .offset:         16
        .size:           1
        .value_kind:     by_value
    .group_segment_fixed_size: 1280
    .kernarg_segment_align: 8
    .kernarg_segment_size: 20
    .language:       OpenCL C
    .language_version:
      - 2
      - 0
    .max_flat_workgroup_size: 256
    .name:           _Z9sort_keysILj256ELj4ELj1EiN10test_utils4lessEEvPKT2_PS2_T3_
    .private_segment_fixed_size: 0
    .sgpr_count:     10
    .sgpr_spill_count: 0
    .symbol:         _Z9sort_keysILj256ELj4ELj1EiN10test_utils4lessEEvPKT2_PS2_T3_.kd
    .uniform_work_group_size: 1
    .uses_dynamic_stack: false
    .vgpr_count:     15
    .vgpr_spill_count: 0
    .wavefront_size: 32
    .workgroup_processor_mode: 1
  - .args:
      - .address_space:  global
        .offset:         0
        .size:           8
        .value_kind:     global_buffer
      - .address_space:  global
        .offset:         8
        .size:           8
        .value_kind:     global_buffer
      - .offset:         16
        .size:           1
        .value_kind:     by_value
    .group_segment_fixed_size: 1280
    .kernarg_segment_align: 8
    .kernarg_segment_size: 20
    .language:       OpenCL C
    .language_version:
      - 2
      - 0
    .max_flat_workgroup_size: 256
    .name:           _Z10sort_pairsILj256ELj4ELj1EiN10test_utils4lessEEvPKT2_PS2_T3_
    .private_segment_fixed_size: 0
    .sgpr_count:     10
    .sgpr_spill_count: 0
    .symbol:         _Z10sort_pairsILj256ELj4ELj1EiN10test_utils4lessEEvPKT2_PS2_T3_.kd
    .uniform_work_group_size: 1
    .uses_dynamic_stack: false
    .vgpr_count:     16
    .vgpr_spill_count: 0
    .wavefront_size: 32
    .workgroup_processor_mode: 1
  - .args:
      - .address_space:  global
        .offset:         0
        .size:           8
        .value_kind:     global_buffer
      - .address_space:  global
        .offset:         8
        .size:           8
        .value_kind:     global_buffer
      - .address_space:  global
        .offset:         16
        .size:           8
        .value_kind:     global_buffer
      - .offset:         24
        .size:           1
        .value_kind:     by_value
    .group_segment_fixed_size: 1280
    .kernarg_segment_align: 8
    .kernarg_segment_size: 28
    .language:       OpenCL C
    .language_version:
      - 2
      - 0
    .max_flat_workgroup_size: 256
    .name:           _Z19sort_keys_segmentedILj256ELj4ELj1EiN10test_utils4lessEEvPKT2_PS2_PKjT3_
    .private_segment_fixed_size: 0
    .sgpr_count:     10
    .sgpr_spill_count: 0
    .symbol:         _Z19sort_keys_segmentedILj256ELj4ELj1EiN10test_utils4lessEEvPKT2_PS2_PKjT3_.kd
    .uniform_work_group_size: 1
    .uses_dynamic_stack: false
    .vgpr_count:     19
    .vgpr_spill_count: 0
    .wavefront_size: 32
    .workgroup_processor_mode: 1
  - .args:
      - .address_space:  global
        .offset:         0
        .size:           8
        .value_kind:     global_buffer
      - .address_space:  global
        .offset:         8
        .size:           8
        .value_kind:     global_buffer
      - .address_space:  global
        .offset:         16
        .size:           8
        .value_kind:     global_buffer
      - .offset:         24
        .size:           1
        .value_kind:     by_value
    .group_segment_fixed_size: 1280
    .kernarg_segment_align: 8
    .kernarg_segment_size: 28
    .language:       OpenCL C
    .language_version:
      - 2
      - 0
    .max_flat_workgroup_size: 256
    .name:           _Z20sort_pairs_segmentedILj256ELj4ELj1EiN10test_utils4lessEEvPKT2_PS2_PKjT3_
    .private_segment_fixed_size: 0
    .sgpr_count:     10
    .sgpr_spill_count: 0
    .symbol:         _Z20sort_pairs_segmentedILj256ELj4ELj1EiN10test_utils4lessEEvPKT2_PS2_PKjT3_.kd
    .uniform_work_group_size: 1
    .uses_dynamic_stack: false
    .vgpr_count:     20
    .vgpr_spill_count: 0
    .wavefront_size: 32
    .workgroup_processor_mode: 1
  - .args:
      - .address_space:  global
        .offset:         0
        .size:           8
        .value_kind:     global_buffer
      - .address_space:  global
        .offset:         8
        .size:           8
        .value_kind:     global_buffer
      - .offset:         16
        .size:           1
        .value_kind:     by_value
    .group_segment_fixed_size: 4352
    .kernarg_segment_align: 8
    .kernarg_segment_size: 20
    .language:       OpenCL C
    .language_version:
      - 2
      - 0
    .max_flat_workgroup_size: 256
    .name:           _Z9sort_keysILj256ELj4ELj4EiN10test_utils4lessEEvPKT2_PS2_T3_
    .private_segment_fixed_size: 0
    .sgpr_count:     14
    .sgpr_spill_count: 0
    .symbol:         _Z9sort_keysILj256ELj4ELj4EiN10test_utils4lessEEvPKT2_PS2_T3_.kd
    .uniform_work_group_size: 1
    .uses_dynamic_stack: false
    .vgpr_count:     18
    .vgpr_spill_count: 0
    .wavefront_size: 32
    .workgroup_processor_mode: 1
  - .args:
      - .address_space:  global
        .offset:         0
        .size:           8
        .value_kind:     global_buffer
      - .address_space:  global
        .offset:         8
        .size:           8
        .value_kind:     global_buffer
      - .offset:         16
        .size:           1
        .value_kind:     by_value
    .group_segment_fixed_size: 4352
    .kernarg_segment_align: 8
    .kernarg_segment_size: 20
    .language:       OpenCL C
    .language_version:
      - 2
      - 0
    .max_flat_workgroup_size: 256
    .name:           _Z10sort_pairsILj256ELj4ELj4EiN10test_utils4lessEEvPKT2_PS2_T3_
    .private_segment_fixed_size: 0
    .sgpr_count:     16
    .sgpr_spill_count: 0
    .symbol:         _Z10sort_pairsILj256ELj4ELj4EiN10test_utils4lessEEvPKT2_PS2_T3_.kd
    .uniform_work_group_size: 1
    .uses_dynamic_stack: false
    .vgpr_count:     28
    .vgpr_spill_count: 0
    .wavefront_size: 32
    .workgroup_processor_mode: 1
  - .args:
      - .address_space:  global
        .offset:         0
        .size:           8
        .value_kind:     global_buffer
      - .address_space:  global
        .offset:         8
        .size:           8
        .value_kind:     global_buffer
      - .address_space:  global
        .offset:         16
        .size:           8
        .value_kind:     global_buffer
      - .offset:         24
        .size:           1
        .value_kind:     by_value
    .group_segment_fixed_size: 4352
    .kernarg_segment_align: 8
    .kernarg_segment_size: 28
    .language:       OpenCL C
    .language_version:
      - 2
      - 0
    .max_flat_workgroup_size: 256
    .name:           _Z19sort_keys_segmentedILj256ELj4ELj4EiN10test_utils4lessEEvPKT2_PS2_PKjT3_
    .private_segment_fixed_size: 0
    .sgpr_count:     14
    .sgpr_spill_count: 0
    .symbol:         _Z19sort_keys_segmentedILj256ELj4ELj4EiN10test_utils4lessEEvPKT2_PS2_PKjT3_.kd
    .uniform_work_group_size: 1
    .uses_dynamic_stack: false
    .vgpr_count:     24
    .vgpr_spill_count: 0
    .wavefront_size: 32
    .workgroup_processor_mode: 1
  - .args:
      - .address_space:  global
        .offset:         0
        .size:           8
        .value_kind:     global_buffer
      - .address_space:  global
        .offset:         8
        .size:           8
        .value_kind:     global_buffer
      - .address_space:  global
        .offset:         16
        .size:           8
        .value_kind:     global_buffer
      - .offset:         24
        .size:           1
        .value_kind:     by_value
    .group_segment_fixed_size: 4352
    .kernarg_segment_align: 8
    .kernarg_segment_size: 28
    .language:       OpenCL C
    .language_version:
      - 2
      - 0
    .max_flat_workgroup_size: 256
    .name:           _Z20sort_pairs_segmentedILj256ELj4ELj4EiN10test_utils4lessEEvPKT2_PS2_PKjT3_
    .private_segment_fixed_size: 0
    .sgpr_count:     14
    .sgpr_spill_count: 0
    .symbol:         _Z20sort_pairs_segmentedILj256ELj4ELj4EiN10test_utils4lessEEvPKT2_PS2_PKjT3_.kd
    .uniform_work_group_size: 1
    .uses_dynamic_stack: false
    .vgpr_count:     30
    .vgpr_spill_count: 0
    .wavefront_size: 32
    .workgroup_processor_mode: 1
  - .args:
      - .address_space:  global
        .offset:         0
        .size:           8
        .value_kind:     global_buffer
      - .address_space:  global
        .offset:         8
        .size:           8
        .value_kind:     global_buffer
      - .offset:         16
        .size:           1
        .value_kind:     by_value
    .group_segment_fixed_size: 8448
    .kernarg_segment_align: 8
    .kernarg_segment_size: 20
    .language:       OpenCL C
    .language_version:
      - 2
      - 0
    .max_flat_workgroup_size: 256
    .name:           _Z9sort_keysILj256ELj4ELj8EiN10test_utils4lessEEvPKT2_PS2_T3_
    .private_segment_fixed_size: 0
    .sgpr_count:     16
    .sgpr_spill_count: 0
    .symbol:         _Z9sort_keysILj256ELj4ELj8EiN10test_utils4lessEEvPKT2_PS2_T3_.kd
    .uniform_work_group_size: 1
    .uses_dynamic_stack: false
    .vgpr_count:     32
    .vgpr_spill_count: 0
    .wavefront_size: 32
    .workgroup_processor_mode: 1
  - .args:
      - .address_space:  global
        .offset:         0
        .size:           8
        .value_kind:     global_buffer
      - .address_space:  global
        .offset:         8
        .size:           8
        .value_kind:     global_buffer
      - .offset:         16
        .size:           1
        .value_kind:     by_value
    .group_segment_fixed_size: 8448
    .kernarg_segment_align: 8
    .kernarg_segment_size: 20
    .language:       OpenCL C
    .language_version:
      - 2
      - 0
    .max_flat_workgroup_size: 256
    .name:           _Z10sort_pairsILj256ELj4ELj8EiN10test_utils4lessEEvPKT2_PS2_T3_
    .private_segment_fixed_size: 0
    .sgpr_count:     28
    .sgpr_spill_count: 0
    .symbol:         _Z10sort_pairsILj256ELj4ELj8EiN10test_utils4lessEEvPKT2_PS2_T3_.kd
    .uniform_work_group_size: 1
    .uses_dynamic_stack: false
    .vgpr_count:     52
    .vgpr_spill_count: 0
    .wavefront_size: 32
    .workgroup_processor_mode: 1
  - .args:
      - .address_space:  global
        .offset:         0
        .size:           8
        .value_kind:     global_buffer
      - .address_space:  global
        .offset:         8
        .size:           8
        .value_kind:     global_buffer
      - .address_space:  global
        .offset:         16
        .size:           8
        .value_kind:     global_buffer
      - .offset:         24
        .size:           1
        .value_kind:     by_value
    .group_segment_fixed_size: 8448
    .kernarg_segment_align: 8
    .kernarg_segment_size: 28
    .language:       OpenCL C
    .language_version:
      - 2
      - 0
    .max_flat_workgroup_size: 256
    .name:           _Z19sort_keys_segmentedILj256ELj4ELj8EiN10test_utils4lessEEvPKT2_PS2_PKjT3_
    .private_segment_fixed_size: 0
    .sgpr_count:     22
    .sgpr_spill_count: 0
    .symbol:         _Z19sort_keys_segmentedILj256ELj4ELj8EiN10test_utils4lessEEvPKT2_PS2_PKjT3_.kd
    .uniform_work_group_size: 1
    .uses_dynamic_stack: false
    .vgpr_count:     30
    .vgpr_spill_count: 0
    .wavefront_size: 32
    .workgroup_processor_mode: 1
  - .args:
      - .address_space:  global
        .offset:         0
        .size:           8
        .value_kind:     global_buffer
      - .address_space:  global
        .offset:         8
        .size:           8
        .value_kind:     global_buffer
      - .address_space:  global
        .offset:         16
        .size:           8
        .value_kind:     global_buffer
      - .offset:         24
        .size:           1
        .value_kind:     by_value
    .group_segment_fixed_size: 8448
    .kernarg_segment_align: 8
    .kernarg_segment_size: 28
    .language:       OpenCL C
    .language_version:
      - 2
      - 0
    .max_flat_workgroup_size: 256
    .name:           _Z20sort_pairs_segmentedILj256ELj4ELj8EiN10test_utils4lessEEvPKT2_PS2_PKjT3_
    .private_segment_fixed_size: 0
    .sgpr_count:     22
    .sgpr_spill_count: 0
    .symbol:         _Z20sort_pairs_segmentedILj256ELj4ELj8EiN10test_utils4lessEEvPKT2_PS2_PKjT3_.kd
    .uniform_work_group_size: 1
    .uses_dynamic_stack: false
    .vgpr_count:     49
    .vgpr_spill_count: 0
    .wavefront_size: 32
    .workgroup_processor_mode: 1
  - .args:
      - .address_space:  global
        .offset:         0
        .size:           8
        .value_kind:     global_buffer
      - .address_space:  global
        .offset:         8
        .size:           8
        .value_kind:     global_buffer
      - .offset:         16
        .size:           1
        .value_kind:     by_value
    .group_segment_fixed_size: 1088
    .kernarg_segment_align: 8
    .kernarg_segment_size: 20
    .language:       OpenCL C
    .language_version:
      - 2
      - 0
    .max_flat_workgroup_size: 256
    .name:           _Z9sort_keysILj256ELj16ELj1EiN10test_utils4lessEEvPKT2_PS2_T3_
    .private_segment_fixed_size: 0
    .sgpr_count:     10
    .sgpr_spill_count: 0
    .symbol:         _Z9sort_keysILj256ELj16ELj1EiN10test_utils4lessEEvPKT2_PS2_T3_.kd
    .uniform_work_group_size: 1
    .uses_dynamic_stack: false
    .vgpr_count:     16
    .vgpr_spill_count: 0
    .wavefront_size: 32
    .workgroup_processor_mode: 1
  - .args:
      - .address_space:  global
        .offset:         0
        .size:           8
        .value_kind:     global_buffer
      - .address_space:  global
        .offset:         8
        .size:           8
        .value_kind:     global_buffer
      - .offset:         16
        .size:           1
        .value_kind:     by_value
    .group_segment_fixed_size: 1088
    .kernarg_segment_align: 8
    .kernarg_segment_size: 20
    .language:       OpenCL C
    .language_version:
      - 2
      - 0
    .max_flat_workgroup_size: 256
    .name:           _Z10sort_pairsILj256ELj16ELj1EiN10test_utils4lessEEvPKT2_PS2_T3_
    .private_segment_fixed_size: 0
    .sgpr_count:     10
    .sgpr_spill_count: 0
    .symbol:         _Z10sort_pairsILj256ELj16ELj1EiN10test_utils4lessEEvPKT2_PS2_T3_.kd
    .uniform_work_group_size: 1
    .uses_dynamic_stack: false
    .vgpr_count:     17
    .vgpr_spill_count: 0
    .wavefront_size: 32
    .workgroup_processor_mode: 1
  - .args:
      - .address_space:  global
        .offset:         0
        .size:           8
        .value_kind:     global_buffer
      - .address_space:  global
        .offset:         8
        .size:           8
        .value_kind:     global_buffer
      - .address_space:  global
        .offset:         16
        .size:           8
        .value_kind:     global_buffer
      - .offset:         24
        .size:           1
        .value_kind:     by_value
    .group_segment_fixed_size: 1088
    .kernarg_segment_align: 8
    .kernarg_segment_size: 28
    .language:       OpenCL C
    .language_version:
      - 2
      - 0
    .max_flat_workgroup_size: 256
    .name:           _Z19sort_keys_segmentedILj256ELj16ELj1EiN10test_utils4lessEEvPKT2_PS2_PKjT3_
    .private_segment_fixed_size: 0
    .sgpr_count:     10
    .sgpr_spill_count: 0
    .symbol:         _Z19sort_keys_segmentedILj256ELj16ELj1EiN10test_utils4lessEEvPKT2_PS2_PKjT3_.kd
    .uniform_work_group_size: 1
    .uses_dynamic_stack: false
    .vgpr_count:     20
    .vgpr_spill_count: 0
    .wavefront_size: 32
    .workgroup_processor_mode: 1
  - .args:
      - .address_space:  global
        .offset:         0
        .size:           8
        .value_kind:     global_buffer
      - .address_space:  global
        .offset:         8
        .size:           8
        .value_kind:     global_buffer
      - .address_space:  global
        .offset:         16
        .size:           8
        .value_kind:     global_buffer
      - .offset:         24
        .size:           1
        .value_kind:     by_value
    .group_segment_fixed_size: 1088
    .kernarg_segment_align: 8
    .kernarg_segment_size: 28
    .language:       OpenCL C
    .language_version:
      - 2
      - 0
    .max_flat_workgroup_size: 256
    .name:           _Z20sort_pairs_segmentedILj256ELj16ELj1EiN10test_utils4lessEEvPKT2_PS2_PKjT3_
    .private_segment_fixed_size: 0
    .sgpr_count:     10
    .sgpr_spill_count: 0
    .symbol:         _Z20sort_pairs_segmentedILj256ELj16ELj1EiN10test_utils4lessEEvPKT2_PS2_PKjT3_.kd
    .uniform_work_group_size: 1
    .uses_dynamic_stack: false
    .vgpr_count:     21
    .vgpr_spill_count: 0
    .wavefront_size: 32
    .workgroup_processor_mode: 1
  - .args:
      - .address_space:  global
        .offset:         0
        .size:           8
        .value_kind:     global_buffer
      - .address_space:  global
        .offset:         8
        .size:           8
        .value_kind:     global_buffer
      - .offset:         16
        .size:           1
        .value_kind:     by_value
    .group_segment_fixed_size: 4160
    .kernarg_segment_align: 8
    .kernarg_segment_size: 20
    .language:       OpenCL C
    .language_version:
      - 2
      - 0
    .max_flat_workgroup_size: 256
    .name:           _Z9sort_keysILj256ELj16ELj4EiN10test_utils4lessEEvPKT2_PS2_T3_
    .private_segment_fixed_size: 0
    .sgpr_count:     14
    .sgpr_spill_count: 0
    .symbol:         _Z9sort_keysILj256ELj16ELj4EiN10test_utils4lessEEvPKT2_PS2_T3_.kd
    .uniform_work_group_size: 1
    .uses_dynamic_stack: false
    .vgpr_count:     21
    .vgpr_spill_count: 0
    .wavefront_size: 32
    .workgroup_processor_mode: 1
  - .args:
      - .address_space:  global
        .offset:         0
        .size:           8
        .value_kind:     global_buffer
      - .address_space:  global
        .offset:         8
        .size:           8
        .value_kind:     global_buffer
      - .offset:         16
        .size:           1
        .value_kind:     by_value
    .group_segment_fixed_size: 4160
    .kernarg_segment_align: 8
    .kernarg_segment_size: 20
    .language:       OpenCL C
    .language_version:
      - 2
      - 0
    .max_flat_workgroup_size: 256
    .name:           _Z10sort_pairsILj256ELj16ELj4EiN10test_utils4lessEEvPKT2_PS2_T3_
    .private_segment_fixed_size: 0
    .sgpr_count:     16
    .sgpr_spill_count: 0
    .symbol:         _Z10sort_pairsILj256ELj16ELj4EiN10test_utils4lessEEvPKT2_PS2_T3_.kd
    .uniform_work_group_size: 1
    .uses_dynamic_stack: false
    .vgpr_count:     29
    .vgpr_spill_count: 0
    .wavefront_size: 32
    .workgroup_processor_mode: 1
  - .args:
      - .address_space:  global
        .offset:         0
        .size:           8
        .value_kind:     global_buffer
      - .address_space:  global
        .offset:         8
        .size:           8
        .value_kind:     global_buffer
      - .address_space:  global
        .offset:         16
        .size:           8
        .value_kind:     global_buffer
      - .offset:         24
        .size:           1
        .value_kind:     by_value
    .group_segment_fixed_size: 4160
    .kernarg_segment_align: 8
    .kernarg_segment_size: 28
    .language:       OpenCL C
    .language_version:
      - 2
      - 0
    .max_flat_workgroup_size: 256
    .name:           _Z19sort_keys_segmentedILj256ELj16ELj4EiN10test_utils4lessEEvPKT2_PS2_PKjT3_
    .private_segment_fixed_size: 0
    .sgpr_count:     14
    .sgpr_spill_count: 0
    .symbol:         _Z19sort_keys_segmentedILj256ELj16ELj4EiN10test_utils4lessEEvPKT2_PS2_PKjT3_.kd
    .uniform_work_group_size: 1
    .uses_dynamic_stack: false
    .vgpr_count:     26
    .vgpr_spill_count: 0
    .wavefront_size: 32
    .workgroup_processor_mode: 1
  - .args:
      - .address_space:  global
        .offset:         0
        .size:           8
        .value_kind:     global_buffer
      - .address_space:  global
        .offset:         8
        .size:           8
        .value_kind:     global_buffer
      - .address_space:  global
        .offset:         16
        .size:           8
        .value_kind:     global_buffer
      - .offset:         24
        .size:           1
        .value_kind:     by_value
    .group_segment_fixed_size: 4160
    .kernarg_segment_align: 8
    .kernarg_segment_size: 28
    .language:       OpenCL C
    .language_version:
      - 2
      - 0
    .max_flat_workgroup_size: 256
    .name:           _Z20sort_pairs_segmentedILj256ELj16ELj4EiN10test_utils4lessEEvPKT2_PS2_PKjT3_
    .private_segment_fixed_size: 0
    .sgpr_count:     14
    .sgpr_spill_count: 0
    .symbol:         _Z20sort_pairs_segmentedILj256ELj16ELj4EiN10test_utils4lessEEvPKT2_PS2_PKjT3_.kd
    .uniform_work_group_size: 1
    .uses_dynamic_stack: false
    .vgpr_count:     32
    .vgpr_spill_count: 0
    .wavefront_size: 32
    .workgroup_processor_mode: 1
  - .args:
      - .address_space:  global
        .offset:         0
        .size:           8
        .value_kind:     global_buffer
      - .address_space:  global
        .offset:         8
        .size:           8
        .value_kind:     global_buffer
      - .offset:         16
        .size:           1
        .value_kind:     by_value
    .group_segment_fixed_size: 8256
    .kernarg_segment_align: 8
    .kernarg_segment_size: 20
    .language:       OpenCL C
    .language_version:
      - 2
      - 0
    .max_flat_workgroup_size: 256
    .name:           _Z9sort_keysILj256ELj16ELj8EiN10test_utils4lessEEvPKT2_PS2_T3_
    .private_segment_fixed_size: 0
    .sgpr_count:     16
    .sgpr_spill_count: 0
    .symbol:         _Z9sort_keysILj256ELj16ELj8EiN10test_utils4lessEEvPKT2_PS2_T3_.kd
    .uniform_work_group_size: 1
    .uses_dynamic_stack: false
    .vgpr_count:     33
    .vgpr_spill_count: 0
    .wavefront_size: 32
    .workgroup_processor_mode: 1
  - .args:
      - .address_space:  global
        .offset:         0
        .size:           8
        .value_kind:     global_buffer
      - .address_space:  global
        .offset:         8
        .size:           8
        .value_kind:     global_buffer
      - .offset:         16
        .size:           1
        .value_kind:     by_value
    .group_segment_fixed_size: 8256
    .kernarg_segment_align: 8
    .kernarg_segment_size: 20
    .language:       OpenCL C
    .language_version:
      - 2
      - 0
    .max_flat_workgroup_size: 256
    .name:           _Z10sort_pairsILj256ELj16ELj8EiN10test_utils4lessEEvPKT2_PS2_T3_
    .private_segment_fixed_size: 0
    .sgpr_count:     28
    .sgpr_spill_count: 0
    .symbol:         _Z10sort_pairsILj256ELj16ELj8EiN10test_utils4lessEEvPKT2_PS2_T3_.kd
    .uniform_work_group_size: 1
    .uses_dynamic_stack: false
    .vgpr_count:     53
    .vgpr_spill_count: 0
    .wavefront_size: 32
    .workgroup_processor_mode: 1
  - .args:
      - .address_space:  global
        .offset:         0
        .size:           8
        .value_kind:     global_buffer
      - .address_space:  global
        .offset:         8
        .size:           8
        .value_kind:     global_buffer
      - .address_space:  global
        .offset:         16
        .size:           8
        .value_kind:     global_buffer
      - .offset:         24
        .size:           1
        .value_kind:     by_value
    .group_segment_fixed_size: 8256
    .kernarg_segment_align: 8
    .kernarg_segment_size: 28
    .language:       OpenCL C
    .language_version:
      - 2
      - 0
    .max_flat_workgroup_size: 256
    .name:           _Z19sort_keys_segmentedILj256ELj16ELj8EiN10test_utils4lessEEvPKT2_PS2_PKjT3_
    .private_segment_fixed_size: 0
    .sgpr_count:     22
    .sgpr_spill_count: 0
    .symbol:         _Z19sort_keys_segmentedILj256ELj16ELj8EiN10test_utils4lessEEvPKT2_PS2_PKjT3_.kd
    .uniform_work_group_size: 1
    .uses_dynamic_stack: false
    .vgpr_count:     32
    .vgpr_spill_count: 0
    .wavefront_size: 32
    .workgroup_processor_mode: 1
  - .args:
      - .address_space:  global
        .offset:         0
        .size:           8
        .value_kind:     global_buffer
      - .address_space:  global
        .offset:         8
        .size:           8
        .value_kind:     global_buffer
      - .address_space:  global
        .offset:         16
        .size:           8
        .value_kind:     global_buffer
      - .offset:         24
        .size:           1
        .value_kind:     by_value
    .group_segment_fixed_size: 8256
    .kernarg_segment_align: 8
    .kernarg_segment_size: 28
    .language:       OpenCL C
    .language_version:
      - 2
      - 0
    .max_flat_workgroup_size: 256
    .name:           _Z20sort_pairs_segmentedILj256ELj16ELj8EiN10test_utils4lessEEvPKT2_PS2_PKjT3_
    .private_segment_fixed_size: 0
    .sgpr_count:     22
    .sgpr_spill_count: 0
    .symbol:         _Z20sort_pairs_segmentedILj256ELj16ELj8EiN10test_utils4lessEEvPKT2_PS2_PKjT3_.kd
    .uniform_work_group_size: 1
    .uses_dynamic_stack: false
    .vgpr_count:     50
    .vgpr_spill_count: 0
    .wavefront_size: 32
    .workgroup_processor_mode: 1
  - .args:
      - .address_space:  global
        .offset:         0
        .size:           8
        .value_kind:     global_buffer
      - .address_space:  global
        .offset:         8
        .size:           8
        .value_kind:     global_buffer
      - .offset:         16
        .size:           1
        .value_kind:     by_value
    .group_segment_fixed_size: 1056
    .kernarg_segment_align: 8
    .kernarg_segment_size: 20
    .language:       OpenCL C
    .language_version:
      - 2
      - 0
    .max_flat_workgroup_size: 256
    .name:           _Z9sort_keysILj256ELj32ELj1EiN10test_utils4lessEEvPKT2_PS2_T3_
    .private_segment_fixed_size: 0
    .sgpr_count:     10
    .sgpr_spill_count: 0
    .symbol:         _Z9sort_keysILj256ELj32ELj1EiN10test_utils4lessEEvPKT2_PS2_T3_.kd
    .uniform_work_group_size: 1
    .uses_dynamic_stack: false
    .vgpr_count:     15
    .vgpr_spill_count: 0
    .wavefront_size: 32
    .workgroup_processor_mode: 1
  - .args:
      - .address_space:  global
        .offset:         0
        .size:           8
        .value_kind:     global_buffer
      - .address_space:  global
        .offset:         8
        .size:           8
        .value_kind:     global_buffer
      - .offset:         16
        .size:           1
        .value_kind:     by_value
    .group_segment_fixed_size: 1056
    .kernarg_segment_align: 8
    .kernarg_segment_size: 20
    .language:       OpenCL C
    .language_version:
      - 2
      - 0
    .max_flat_workgroup_size: 256
    .name:           _Z10sort_pairsILj256ELj32ELj1EiN10test_utils4lessEEvPKT2_PS2_T3_
    .private_segment_fixed_size: 0
    .sgpr_count:     10
    .sgpr_spill_count: 0
    .symbol:         _Z10sort_pairsILj256ELj32ELj1EiN10test_utils4lessEEvPKT2_PS2_T3_.kd
    .uniform_work_group_size: 1
    .uses_dynamic_stack: false
    .vgpr_count:     16
    .vgpr_spill_count: 0
    .wavefront_size: 32
    .workgroup_processor_mode: 1
  - .args:
      - .address_space:  global
        .offset:         0
        .size:           8
        .value_kind:     global_buffer
      - .address_space:  global
        .offset:         8
        .size:           8
        .value_kind:     global_buffer
      - .address_space:  global
        .offset:         16
        .size:           8
        .value_kind:     global_buffer
      - .offset:         24
        .size:           1
        .value_kind:     by_value
    .group_segment_fixed_size: 1056
    .kernarg_segment_align: 8
    .kernarg_segment_size: 28
    .language:       OpenCL C
    .language_version:
      - 2
      - 0
    .max_flat_workgroup_size: 256
    .name:           _Z19sort_keys_segmentedILj256ELj32ELj1EiN10test_utils4lessEEvPKT2_PS2_PKjT3_
    .private_segment_fixed_size: 0
    .sgpr_count:     10
    .sgpr_spill_count: 0
    .symbol:         _Z19sort_keys_segmentedILj256ELj32ELj1EiN10test_utils4lessEEvPKT2_PS2_PKjT3_.kd
    .uniform_work_group_size: 1
    .uses_dynamic_stack: false
    .vgpr_count:     19
    .vgpr_spill_count: 0
    .wavefront_size: 32
    .workgroup_processor_mode: 1
  - .args:
      - .address_space:  global
        .offset:         0
        .size:           8
        .value_kind:     global_buffer
      - .address_space:  global
        .offset:         8
        .size:           8
        .value_kind:     global_buffer
      - .address_space:  global
        .offset:         16
        .size:           8
        .value_kind:     global_buffer
      - .offset:         24
        .size:           1
        .value_kind:     by_value
    .group_segment_fixed_size: 1056
    .kernarg_segment_align: 8
    .kernarg_segment_size: 28
    .language:       OpenCL C
    .language_version:
      - 2
      - 0
    .max_flat_workgroup_size: 256
    .name:           _Z20sort_pairs_segmentedILj256ELj32ELj1EiN10test_utils4lessEEvPKT2_PS2_PKjT3_
    .private_segment_fixed_size: 0
    .sgpr_count:     10
    .sgpr_spill_count: 0
    .symbol:         _Z20sort_pairs_segmentedILj256ELj32ELj1EiN10test_utils4lessEEvPKT2_PS2_PKjT3_.kd
    .uniform_work_group_size: 1
    .uses_dynamic_stack: false
    .vgpr_count:     20
    .vgpr_spill_count: 0
    .wavefront_size: 32
    .workgroup_processor_mode: 1
  - .args:
      - .address_space:  global
        .offset:         0
        .size:           8
        .value_kind:     global_buffer
      - .address_space:  global
        .offset:         8
        .size:           8
        .value_kind:     global_buffer
      - .offset:         16
        .size:           1
        .value_kind:     by_value
    .group_segment_fixed_size: 4128
    .kernarg_segment_align: 8
    .kernarg_segment_size: 20
    .language:       OpenCL C
    .language_version:
      - 2
      - 0
    .max_flat_workgroup_size: 256
    .name:           _Z9sort_keysILj256ELj32ELj4EiN10test_utils4lessEEvPKT2_PS2_T3_
    .private_segment_fixed_size: 0
    .sgpr_count:     14
    .sgpr_spill_count: 0
    .symbol:         _Z9sort_keysILj256ELj32ELj4EiN10test_utils4lessEEvPKT2_PS2_T3_.kd
    .uniform_work_group_size: 1
    .uses_dynamic_stack: false
    .vgpr_count:     20
    .vgpr_spill_count: 0
    .wavefront_size: 32
    .workgroup_processor_mode: 1
  - .args:
      - .address_space:  global
        .offset:         0
        .size:           8
        .value_kind:     global_buffer
      - .address_space:  global
        .offset:         8
        .size:           8
        .value_kind:     global_buffer
      - .offset:         16
        .size:           1
        .value_kind:     by_value
    .group_segment_fixed_size: 4128
    .kernarg_segment_align: 8
    .kernarg_segment_size: 20
    .language:       OpenCL C
    .language_version:
      - 2
      - 0
    .max_flat_workgroup_size: 256
    .name:           _Z10sort_pairsILj256ELj32ELj4EiN10test_utils4lessEEvPKT2_PS2_T3_
    .private_segment_fixed_size: 0
    .sgpr_count:     16
    .sgpr_spill_count: 0
    .symbol:         _Z10sort_pairsILj256ELj32ELj4EiN10test_utils4lessEEvPKT2_PS2_T3_.kd
    .uniform_work_group_size: 1
    .uses_dynamic_stack: false
    .vgpr_count:     28
    .vgpr_spill_count: 0
    .wavefront_size: 32
    .workgroup_processor_mode: 1
  - .args:
      - .address_space:  global
        .offset:         0
        .size:           8
        .value_kind:     global_buffer
      - .address_space:  global
        .offset:         8
        .size:           8
        .value_kind:     global_buffer
      - .address_space:  global
        .offset:         16
        .size:           8
        .value_kind:     global_buffer
      - .offset:         24
        .size:           1
        .value_kind:     by_value
    .group_segment_fixed_size: 4128
    .kernarg_segment_align: 8
    .kernarg_segment_size: 28
    .language:       OpenCL C
    .language_version:
      - 2
      - 0
    .max_flat_workgroup_size: 256
    .name:           _Z19sort_keys_segmentedILj256ELj32ELj4EiN10test_utils4lessEEvPKT2_PS2_PKjT3_
    .private_segment_fixed_size: 0
    .sgpr_count:     14
    .sgpr_spill_count: 0
    .symbol:         _Z19sort_keys_segmentedILj256ELj32ELj4EiN10test_utils4lessEEvPKT2_PS2_PKjT3_.kd
    .uniform_work_group_size: 1
    .uses_dynamic_stack: false
    .vgpr_count:     25
    .vgpr_spill_count: 0
    .wavefront_size: 32
    .workgroup_processor_mode: 1
  - .args:
      - .address_space:  global
        .offset:         0
        .size:           8
        .value_kind:     global_buffer
      - .address_space:  global
        .offset:         8
        .size:           8
        .value_kind:     global_buffer
      - .address_space:  global
        .offset:         16
        .size:           8
        .value_kind:     global_buffer
      - .offset:         24
        .size:           1
        .value_kind:     by_value
    .group_segment_fixed_size: 4128
    .kernarg_segment_align: 8
    .kernarg_segment_size: 28
    .language:       OpenCL C
    .language_version:
      - 2
      - 0
    .max_flat_workgroup_size: 256
    .name:           _Z20sort_pairs_segmentedILj256ELj32ELj4EiN10test_utils4lessEEvPKT2_PS2_PKjT3_
    .private_segment_fixed_size: 0
    .sgpr_count:     14
    .sgpr_spill_count: 0
    .symbol:         _Z20sort_pairs_segmentedILj256ELj32ELj4EiN10test_utils4lessEEvPKT2_PS2_PKjT3_.kd
    .uniform_work_group_size: 1
    .uses_dynamic_stack: false
    .vgpr_count:     31
    .vgpr_spill_count: 0
    .wavefront_size: 32
    .workgroup_processor_mode: 1
  - .args:
      - .address_space:  global
        .offset:         0
        .size:           8
        .value_kind:     global_buffer
      - .address_space:  global
        .offset:         8
        .size:           8
        .value_kind:     global_buffer
      - .offset:         16
        .size:           1
        .value_kind:     by_value
    .group_segment_fixed_size: 8224
    .kernarg_segment_align: 8
    .kernarg_segment_size: 20
    .language:       OpenCL C
    .language_version:
      - 2
      - 0
    .max_flat_workgroup_size: 256
    .name:           _Z9sort_keysILj256ELj32ELj8EiN10test_utils4lessEEvPKT2_PS2_T3_
    .private_segment_fixed_size: 0
    .sgpr_count:     16
    .sgpr_spill_count: 0
    .symbol:         _Z9sort_keysILj256ELj32ELj8EiN10test_utils4lessEEvPKT2_PS2_T3_.kd
    .uniform_work_group_size: 1
    .uses_dynamic_stack: false
    .vgpr_count:     32
    .vgpr_spill_count: 0
    .wavefront_size: 32
    .workgroup_processor_mode: 1
  - .args:
      - .address_space:  global
        .offset:         0
        .size:           8
        .value_kind:     global_buffer
      - .address_space:  global
        .offset:         8
        .size:           8
        .value_kind:     global_buffer
      - .offset:         16
        .size:           1
        .value_kind:     by_value
    .group_segment_fixed_size: 8224
    .kernarg_segment_align: 8
    .kernarg_segment_size: 20
    .language:       OpenCL C
    .language_version:
      - 2
      - 0
    .max_flat_workgroup_size: 256
    .name:           _Z10sort_pairsILj256ELj32ELj8EiN10test_utils4lessEEvPKT2_PS2_T3_
    .private_segment_fixed_size: 0
    .sgpr_count:     28
    .sgpr_spill_count: 0
    .symbol:         _Z10sort_pairsILj256ELj32ELj8EiN10test_utils4lessEEvPKT2_PS2_T3_.kd
    .uniform_work_group_size: 1
    .uses_dynamic_stack: false
    .vgpr_count:     52
    .vgpr_spill_count: 0
    .wavefront_size: 32
    .workgroup_processor_mode: 1
  - .args:
      - .address_space:  global
        .offset:         0
        .size:           8
        .value_kind:     global_buffer
      - .address_space:  global
        .offset:         8
        .size:           8
        .value_kind:     global_buffer
      - .address_space:  global
        .offset:         16
        .size:           8
        .value_kind:     global_buffer
      - .offset:         24
        .size:           1
        .value_kind:     by_value
    .group_segment_fixed_size: 8224
    .kernarg_segment_align: 8
    .kernarg_segment_size: 28
    .language:       OpenCL C
    .language_version:
      - 2
      - 0
    .max_flat_workgroup_size: 256
    .name:           _Z19sort_keys_segmentedILj256ELj32ELj8EiN10test_utils4lessEEvPKT2_PS2_PKjT3_
    .private_segment_fixed_size: 0
    .sgpr_count:     22
    .sgpr_spill_count: 0
    .symbol:         _Z19sort_keys_segmentedILj256ELj32ELj8EiN10test_utils4lessEEvPKT2_PS2_PKjT3_.kd
    .uniform_work_group_size: 1
    .uses_dynamic_stack: false
    .vgpr_count:     31
    .vgpr_spill_count: 0
    .wavefront_size: 32
    .workgroup_processor_mode: 1
  - .args:
      - .address_space:  global
        .offset:         0
        .size:           8
        .value_kind:     global_buffer
      - .address_space:  global
        .offset:         8
        .size:           8
        .value_kind:     global_buffer
      - .address_space:  global
        .offset:         16
        .size:           8
        .value_kind:     global_buffer
      - .offset:         24
        .size:           1
        .value_kind:     by_value
    .group_segment_fixed_size: 8224
    .kernarg_segment_align: 8
    .kernarg_segment_size: 28
    .language:       OpenCL C
    .language_version:
      - 2
      - 0
    .max_flat_workgroup_size: 256
    .name:           _Z20sort_pairs_segmentedILj256ELj32ELj8EiN10test_utils4lessEEvPKT2_PS2_PKjT3_
    .private_segment_fixed_size: 0
    .sgpr_count:     22
    .sgpr_spill_count: 0
    .symbol:         _Z20sort_pairs_segmentedILj256ELj32ELj8EiN10test_utils4lessEEvPKT2_PS2_PKjT3_.kd
    .uniform_work_group_size: 1
    .uses_dynamic_stack: false
    .vgpr_count:     49
    .vgpr_spill_count: 0
    .wavefront_size: 32
    .workgroup_processor_mode: 1
  - .args:
      - .address_space:  global
        .offset:         0
        .size:           8
        .value_kind:     global_buffer
      - .address_space:  global
        .offset:         8
        .size:           8
        .value_kind:     global_buffer
      - .offset:         16
        .size:           1
        .value_kind:     by_value
    .group_segment_fixed_size: 1040
    .kernarg_segment_align: 8
    .kernarg_segment_size: 20
    .language:       OpenCL C
    .language_version:
      - 2
      - 0
    .max_flat_workgroup_size: 256
    .name:           _Z9sort_keysILj256ELj64ELj1EiN10test_utils4lessEEvPKT2_PS2_T3_
    .private_segment_fixed_size: 0
    .sgpr_count:     14
    .sgpr_spill_count: 0
    .symbol:         _Z9sort_keysILj256ELj64ELj1EiN10test_utils4lessEEvPKT2_PS2_T3_.kd
    .uniform_work_group_size: 1
    .uses_dynamic_stack: false
    .vgpr_count:     17
    .vgpr_spill_count: 0
    .wavefront_size: 32
    .workgroup_processor_mode: 1
  - .args:
      - .address_space:  global
        .offset:         0
        .size:           8
        .value_kind:     global_buffer
      - .address_space:  global
        .offset:         8
        .size:           8
        .value_kind:     global_buffer
      - .offset:         16
        .size:           1
        .value_kind:     by_value
    .group_segment_fixed_size: 1040
    .kernarg_segment_align: 8
    .kernarg_segment_size: 20
    .language:       OpenCL C
    .language_version:
      - 2
      - 0
    .max_flat_workgroup_size: 256
    .name:           _Z10sort_pairsILj256ELj64ELj1EiN10test_utils4lessEEvPKT2_PS2_T3_
    .private_segment_fixed_size: 0
    .sgpr_count:     10
    .sgpr_spill_count: 0
    .symbol:         _Z10sort_pairsILj256ELj64ELj1EiN10test_utils4lessEEvPKT2_PS2_T3_.kd
    .uniform_work_group_size: 1
    .uses_dynamic_stack: false
    .vgpr_count:     18
    .vgpr_spill_count: 0
    .wavefront_size: 32
    .workgroup_processor_mode: 1
  - .args:
      - .address_space:  global
        .offset:         0
        .size:           8
        .value_kind:     global_buffer
      - .address_space:  global
        .offset:         8
        .size:           8
        .value_kind:     global_buffer
      - .address_space:  global
        .offset:         16
        .size:           8
        .value_kind:     global_buffer
      - .offset:         24
        .size:           1
        .value_kind:     by_value
    .group_segment_fixed_size: 1040
    .kernarg_segment_align: 8
    .kernarg_segment_size: 28
    .language:       OpenCL C
    .language_version:
      - 2
      - 0
    .max_flat_workgroup_size: 256
    .name:           _Z19sort_keys_segmentedILj256ELj64ELj1EiN10test_utils4lessEEvPKT2_PS2_PKjT3_
    .private_segment_fixed_size: 0
    .sgpr_count:     10
    .sgpr_spill_count: 0
    .symbol:         _Z19sort_keys_segmentedILj256ELj64ELj1EiN10test_utils4lessEEvPKT2_PS2_PKjT3_.kd
    .uniform_work_group_size: 1
    .uses_dynamic_stack: false
    .vgpr_count:     19
    .vgpr_spill_count: 0
    .wavefront_size: 32
    .workgroup_processor_mode: 1
  - .args:
      - .address_space:  global
        .offset:         0
        .size:           8
        .value_kind:     global_buffer
      - .address_space:  global
        .offset:         8
        .size:           8
        .value_kind:     global_buffer
      - .address_space:  global
        .offset:         16
        .size:           8
        .value_kind:     global_buffer
      - .offset:         24
        .size:           1
        .value_kind:     by_value
    .group_segment_fixed_size: 1040
    .kernarg_segment_align: 8
    .kernarg_segment_size: 28
    .language:       OpenCL C
    .language_version:
      - 2
      - 0
    .max_flat_workgroup_size: 256
    .name:           _Z20sort_pairs_segmentedILj256ELj64ELj1EiN10test_utils4lessEEvPKT2_PS2_PKjT3_
    .private_segment_fixed_size: 0
    .sgpr_count:     10
    .sgpr_spill_count: 0
    .symbol:         _Z20sort_pairs_segmentedILj256ELj64ELj1EiN10test_utils4lessEEvPKT2_PS2_PKjT3_.kd
    .uniform_work_group_size: 1
    .uses_dynamic_stack: false
    .vgpr_count:     20
    .vgpr_spill_count: 0
    .wavefront_size: 32
    .workgroup_processor_mode: 1
  - .args:
      - .address_space:  global
        .offset:         0
        .size:           8
        .value_kind:     global_buffer
      - .address_space:  global
        .offset:         8
        .size:           8
        .value_kind:     global_buffer
      - .offset:         16
        .size:           1
        .value_kind:     by_value
    .group_segment_fixed_size: 4112
    .kernarg_segment_align: 8
    .kernarg_segment_size: 20
    .language:       OpenCL C
    .language_version:
      - 2
      - 0
    .max_flat_workgroup_size: 256
    .name:           _Z9sort_keysILj256ELj64ELj4EiN10test_utils4lessEEvPKT2_PS2_T3_
    .private_segment_fixed_size: 0
    .sgpr_count:     14
    .sgpr_spill_count: 0
    .symbol:         _Z9sort_keysILj256ELj64ELj4EiN10test_utils4lessEEvPKT2_PS2_T3_.kd
    .uniform_work_group_size: 1
    .uses_dynamic_stack: false
    .vgpr_count:     21
    .vgpr_spill_count: 0
    .wavefront_size: 32
    .workgroup_processor_mode: 1
  - .args:
      - .address_space:  global
        .offset:         0
        .size:           8
        .value_kind:     global_buffer
      - .address_space:  global
        .offset:         8
        .size:           8
        .value_kind:     global_buffer
      - .offset:         16
        .size:           1
        .value_kind:     by_value
    .group_segment_fixed_size: 4112
    .kernarg_segment_align: 8
    .kernarg_segment_size: 20
    .language:       OpenCL C
    .language_version:
      - 2
      - 0
    .max_flat_workgroup_size: 256
    .name:           _Z10sort_pairsILj256ELj64ELj4EiN10test_utils4lessEEvPKT2_PS2_T3_
    .private_segment_fixed_size: 0
    .sgpr_count:     16
    .sgpr_spill_count: 0
    .symbol:         _Z10sort_pairsILj256ELj64ELj4EiN10test_utils4lessEEvPKT2_PS2_T3_.kd
    .uniform_work_group_size: 1
    .uses_dynamic_stack: false
    .vgpr_count:     28
    .vgpr_spill_count: 0
    .wavefront_size: 32
    .workgroup_processor_mode: 1
  - .args:
      - .address_space:  global
        .offset:         0
        .size:           8
        .value_kind:     global_buffer
      - .address_space:  global
        .offset:         8
        .size:           8
        .value_kind:     global_buffer
      - .address_space:  global
        .offset:         16
        .size:           8
        .value_kind:     global_buffer
      - .offset:         24
        .size:           1
        .value_kind:     by_value
    .group_segment_fixed_size: 4112
    .kernarg_segment_align: 8
    .kernarg_segment_size: 28
    .language:       OpenCL C
    .language_version:
      - 2
      - 0
    .max_flat_workgroup_size: 256
    .name:           _Z19sort_keys_segmentedILj256ELj64ELj4EiN10test_utils4lessEEvPKT2_PS2_PKjT3_
    .private_segment_fixed_size: 0
    .sgpr_count:     14
    .sgpr_spill_count: 0
    .symbol:         _Z19sort_keys_segmentedILj256ELj64ELj4EiN10test_utils4lessEEvPKT2_PS2_PKjT3_.kd
    .uniform_work_group_size: 1
    .uses_dynamic_stack: false
    .vgpr_count:     25
    .vgpr_spill_count: 0
    .wavefront_size: 32
    .workgroup_processor_mode: 1
  - .args:
      - .address_space:  global
        .offset:         0
        .size:           8
        .value_kind:     global_buffer
      - .address_space:  global
        .offset:         8
        .size:           8
        .value_kind:     global_buffer
      - .address_space:  global
        .offset:         16
        .size:           8
        .value_kind:     global_buffer
      - .offset:         24
        .size:           1
        .value_kind:     by_value
    .group_segment_fixed_size: 4112
    .kernarg_segment_align: 8
    .kernarg_segment_size: 28
    .language:       OpenCL C
    .language_version:
      - 2
      - 0
    .max_flat_workgroup_size: 256
    .name:           _Z20sort_pairs_segmentedILj256ELj64ELj4EiN10test_utils4lessEEvPKT2_PS2_PKjT3_
    .private_segment_fixed_size: 0
    .sgpr_count:     14
    .sgpr_spill_count: 0
    .symbol:         _Z20sort_pairs_segmentedILj256ELj64ELj4EiN10test_utils4lessEEvPKT2_PS2_PKjT3_.kd
    .uniform_work_group_size: 1
    .uses_dynamic_stack: false
    .vgpr_count:     32
    .vgpr_spill_count: 0
    .wavefront_size: 32
    .workgroup_processor_mode: 1
  - .args:
      - .address_space:  global
        .offset:         0
        .size:           8
        .value_kind:     global_buffer
      - .address_space:  global
        .offset:         8
        .size:           8
        .value_kind:     global_buffer
      - .offset:         16
        .size:           1
        .value_kind:     by_value
    .group_segment_fixed_size: 8208
    .kernarg_segment_align: 8
    .kernarg_segment_size: 20
    .language:       OpenCL C
    .language_version:
      - 2
      - 0
    .max_flat_workgroup_size: 256
    .name:           _Z9sort_keysILj256ELj64ELj8EiN10test_utils4lessEEvPKT2_PS2_T3_
    .private_segment_fixed_size: 0
    .sgpr_count:     16
    .sgpr_spill_count: 0
    .symbol:         _Z9sort_keysILj256ELj64ELj8EiN10test_utils4lessEEvPKT2_PS2_T3_.kd
    .uniform_work_group_size: 1
    .uses_dynamic_stack: false
    .vgpr_count:     33
    .vgpr_spill_count: 0
    .wavefront_size: 32
    .workgroup_processor_mode: 1
  - .args:
      - .address_space:  global
        .offset:         0
        .size:           8
        .value_kind:     global_buffer
      - .address_space:  global
        .offset:         8
        .size:           8
        .value_kind:     global_buffer
      - .offset:         16
        .size:           1
        .value_kind:     by_value
    .group_segment_fixed_size: 8208
    .kernarg_segment_align: 8
    .kernarg_segment_size: 20
    .language:       OpenCL C
    .language_version:
      - 2
      - 0
    .max_flat_workgroup_size: 256
    .name:           _Z10sort_pairsILj256ELj64ELj8EiN10test_utils4lessEEvPKT2_PS2_T3_
    .private_segment_fixed_size: 0
    .sgpr_count:     28
    .sgpr_spill_count: 0
    .symbol:         _Z10sort_pairsILj256ELj64ELj8EiN10test_utils4lessEEvPKT2_PS2_T3_.kd
    .uniform_work_group_size: 1
    .uses_dynamic_stack: false
    .vgpr_count:     52
    .vgpr_spill_count: 0
    .wavefront_size: 32
    .workgroup_processor_mode: 1
  - .args:
      - .address_space:  global
        .offset:         0
        .size:           8
        .value_kind:     global_buffer
      - .address_space:  global
        .offset:         8
        .size:           8
        .value_kind:     global_buffer
      - .address_space:  global
        .offset:         16
        .size:           8
        .value_kind:     global_buffer
      - .offset:         24
        .size:           1
        .value_kind:     by_value
    .group_segment_fixed_size: 8208
    .kernarg_segment_align: 8
    .kernarg_segment_size: 28
    .language:       OpenCL C
    .language_version:
      - 2
      - 0
    .max_flat_workgroup_size: 256
    .name:           _Z19sort_keys_segmentedILj256ELj64ELj8EiN10test_utils4lessEEvPKT2_PS2_PKjT3_
    .private_segment_fixed_size: 0
    .sgpr_count:     22
    .sgpr_spill_count: 0
    .symbol:         _Z19sort_keys_segmentedILj256ELj64ELj8EiN10test_utils4lessEEvPKT2_PS2_PKjT3_.kd
    .uniform_work_group_size: 1
    .uses_dynamic_stack: false
    .vgpr_count:     31
    .vgpr_spill_count: 0
    .wavefront_size: 32
    .workgroup_processor_mode: 1
  - .args:
      - .address_space:  global
        .offset:         0
        .size:           8
        .value_kind:     global_buffer
      - .address_space:  global
        .offset:         8
        .size:           8
        .value_kind:     global_buffer
      - .address_space:  global
        .offset:         16
        .size:           8
        .value_kind:     global_buffer
      - .offset:         24
        .size:           1
        .value_kind:     by_value
    .group_segment_fixed_size: 8208
    .kernarg_segment_align: 8
    .kernarg_segment_size: 28
    .language:       OpenCL C
    .language_version:
      - 2
      - 0
    .max_flat_workgroup_size: 256
    .name:           _Z20sort_pairs_segmentedILj256ELj64ELj8EiN10test_utils4lessEEvPKT2_PS2_PKjT3_
    .private_segment_fixed_size: 0
    .sgpr_count:     22
    .sgpr_spill_count: 0
    .symbol:         _Z20sort_pairs_segmentedILj256ELj64ELj8EiN10test_utils4lessEEvPKT2_PS2_PKjT3_.kd
    .uniform_work_group_size: 1
    .uses_dynamic_stack: false
    .vgpr_count:     51
    .vgpr_spill_count: 0
    .wavefront_size: 32
    .workgroup_processor_mode: 1
  - .args:
      - .address_space:  global
        .offset:         0
        .size:           8
        .value_kind:     global_buffer
      - .address_space:  global
        .offset:         8
        .size:           8
        .value_kind:     global_buffer
      - .offset:         16
        .size:           1
        .value_kind:     by_value
    .group_segment_fixed_size: 320
    .kernarg_segment_align: 8
    .kernarg_segment_size: 20
    .language:       OpenCL C
    .language_version:
      - 2
      - 0
    .max_flat_workgroup_size: 256
    .name:           _Z9sort_keysILj256ELj4ELj1EaN10test_utils4lessEEvPKT2_PS2_T3_
    .private_segment_fixed_size: 0
    .sgpr_count:     9
    .sgpr_spill_count: 0
    .symbol:         _Z9sort_keysILj256ELj4ELj1EaN10test_utils4lessEEvPKT2_PS2_T3_.kd
    .uniform_work_group_size: 1
    .uses_dynamic_stack: false
    .vgpr_count:     15
    .vgpr_spill_count: 0
    .wavefront_size: 32
    .workgroup_processor_mode: 1
  - .args:
      - .address_space:  global
        .offset:         0
        .size:           8
        .value_kind:     global_buffer
      - .address_space:  global
        .offset:         8
        .size:           8
        .value_kind:     global_buffer
      - .offset:         16
        .size:           1
        .value_kind:     by_value
    .group_segment_fixed_size: 320
    .kernarg_segment_align: 8
    .kernarg_segment_size: 20
    .language:       OpenCL C
    .language_version:
      - 2
      - 0
    .max_flat_workgroup_size: 256
    .name:           _Z10sort_pairsILj256ELj4ELj1EaN10test_utils4lessEEvPKT2_PS2_T3_
    .private_segment_fixed_size: 0
    .sgpr_count:     9
    .sgpr_spill_count: 0
    .symbol:         _Z10sort_pairsILj256ELj4ELj1EaN10test_utils4lessEEvPKT2_PS2_T3_.kd
    .uniform_work_group_size: 1
    .uses_dynamic_stack: false
    .vgpr_count:     16
    .vgpr_spill_count: 0
    .wavefront_size: 32
    .workgroup_processor_mode: 1
  - .args:
      - .address_space:  global
        .offset:         0
        .size:           8
        .value_kind:     global_buffer
      - .address_space:  global
        .offset:         8
        .size:           8
        .value_kind:     global_buffer
      - .address_space:  global
        .offset:         16
        .size:           8
        .value_kind:     global_buffer
      - .offset:         24
        .size:           1
        .value_kind:     by_value
    .group_segment_fixed_size: 320
    .kernarg_segment_align: 8
    .kernarg_segment_size: 28
    .language:       OpenCL C
    .language_version:
      - 2
      - 0
    .max_flat_workgroup_size: 256
    .name:           _Z19sort_keys_segmentedILj256ELj4ELj1EaN10test_utils4lessEEvPKT2_PS2_PKjT3_
    .private_segment_fixed_size: 0
    .sgpr_count:     10
    .sgpr_spill_count: 0
    .symbol:         _Z19sort_keys_segmentedILj256ELj4ELj1EaN10test_utils4lessEEvPKT2_PS2_PKjT3_.kd
    .uniform_work_group_size: 1
    .uses_dynamic_stack: false
    .vgpr_count:     17
    .vgpr_spill_count: 0
    .wavefront_size: 32
    .workgroup_processor_mode: 1
  - .args:
      - .address_space:  global
        .offset:         0
        .size:           8
        .value_kind:     global_buffer
      - .address_space:  global
        .offset:         8
        .size:           8
        .value_kind:     global_buffer
      - .address_space:  global
        .offset:         16
        .size:           8
        .value_kind:     global_buffer
      - .offset:         24
        .size:           1
        .value_kind:     by_value
    .group_segment_fixed_size: 320
    .kernarg_segment_align: 8
    .kernarg_segment_size: 28
    .language:       OpenCL C
    .language_version:
      - 2
      - 0
    .max_flat_workgroup_size: 256
    .name:           _Z20sort_pairs_segmentedILj256ELj4ELj1EaN10test_utils4lessEEvPKT2_PS2_PKjT3_
    .private_segment_fixed_size: 0
    .sgpr_count:     10
    .sgpr_spill_count: 0
    .symbol:         _Z20sort_pairs_segmentedILj256ELj4ELj1EaN10test_utils4lessEEvPKT2_PS2_PKjT3_.kd
    .uniform_work_group_size: 1
    .uses_dynamic_stack: false
    .vgpr_count:     18
    .vgpr_spill_count: 0
    .wavefront_size: 32
    .workgroup_processor_mode: 1
  - .args:
      - .address_space:  global
        .offset:         0
        .size:           8
        .value_kind:     global_buffer
      - .address_space:  global
        .offset:         8
        .size:           8
        .value_kind:     global_buffer
      - .offset:         16
        .size:           1
        .value_kind:     by_value
    .group_segment_fixed_size: 1088
    .kernarg_segment_align: 8
    .kernarg_segment_size: 20
    .language:       OpenCL C
    .language_version:
      - 2
      - 0
    .max_flat_workgroup_size: 256
    .name:           _Z9sort_keysILj256ELj4ELj4EaN10test_utils4lessEEvPKT2_PS2_T3_
    .private_segment_fixed_size: 0
    .sgpr_count:     14
    .sgpr_spill_count: 0
    .symbol:         _Z9sort_keysILj256ELj4ELj4EaN10test_utils4lessEEvPKT2_PS2_T3_.kd
    .uniform_work_group_size: 1
    .uses_dynamic_stack: false
    .vgpr_count:     18
    .vgpr_spill_count: 0
    .wavefront_size: 32
    .workgroup_processor_mode: 1
  - .args:
      - .address_space:  global
        .offset:         0
        .size:           8
        .value_kind:     global_buffer
      - .address_space:  global
        .offset:         8
        .size:           8
        .value_kind:     global_buffer
      - .offset:         16
        .size:           1
        .value_kind:     by_value
    .group_segment_fixed_size: 1088
    .kernarg_segment_align: 8
    .kernarg_segment_size: 20
    .language:       OpenCL C
    .language_version:
      - 2
      - 0
    .max_flat_workgroup_size: 256
    .name:           _Z10sort_pairsILj256ELj4ELj4EaN10test_utils4lessEEvPKT2_PS2_T3_
    .private_segment_fixed_size: 0
    .sgpr_count:     15
    .sgpr_spill_count: 0
    .symbol:         _Z10sort_pairsILj256ELj4ELj4EaN10test_utils4lessEEvPKT2_PS2_T3_.kd
    .uniform_work_group_size: 1
    .uses_dynamic_stack: false
    .vgpr_count:     26
    .vgpr_spill_count: 0
    .wavefront_size: 32
    .workgroup_processor_mode: 1
  - .args:
      - .address_space:  global
        .offset:         0
        .size:           8
        .value_kind:     global_buffer
      - .address_space:  global
        .offset:         8
        .size:           8
        .value_kind:     global_buffer
      - .address_space:  global
        .offset:         16
        .size:           8
        .value_kind:     global_buffer
      - .offset:         24
        .size:           1
        .value_kind:     by_value
    .group_segment_fixed_size: 1088
    .kernarg_segment_align: 8
    .kernarg_segment_size: 28
    .language:       OpenCL C
    .language_version:
      - 2
      - 0
    .max_flat_workgroup_size: 256
    .name:           _Z19sort_keys_segmentedILj256ELj4ELj4EaN10test_utils4lessEEvPKT2_PS2_PKjT3_
    .private_segment_fixed_size: 0
    .sgpr_count:     14
    .sgpr_spill_count: 0
    .symbol:         _Z19sort_keys_segmentedILj256ELj4ELj4EaN10test_utils4lessEEvPKT2_PS2_PKjT3_.kd
    .uniform_work_group_size: 1
    .uses_dynamic_stack: false
    .vgpr_count:     20
    .vgpr_spill_count: 0
    .wavefront_size: 32
    .workgroup_processor_mode: 1
  - .args:
      - .address_space:  global
        .offset:         0
        .size:           8
        .value_kind:     global_buffer
      - .address_space:  global
        .offset:         8
        .size:           8
        .value_kind:     global_buffer
      - .address_space:  global
        .offset:         16
        .size:           8
        .value_kind:     global_buffer
      - .offset:         24
        .size:           1
        .value_kind:     by_value
    .group_segment_fixed_size: 1088
    .kernarg_segment_align: 8
    .kernarg_segment_size: 28
    .language:       OpenCL C
    .language_version:
      - 2
      - 0
    .max_flat_workgroup_size: 256
    .name:           _Z20sort_pairs_segmentedILj256ELj4ELj4EaN10test_utils4lessEEvPKT2_PS2_PKjT3_
    .private_segment_fixed_size: 0
    .sgpr_count:     14
    .sgpr_spill_count: 0
    .symbol:         _Z20sort_pairs_segmentedILj256ELj4ELj4EaN10test_utils4lessEEvPKT2_PS2_PKjT3_.kd
    .uniform_work_group_size: 1
    .uses_dynamic_stack: false
    .vgpr_count:     26
    .vgpr_spill_count: 0
    .wavefront_size: 32
    .workgroup_processor_mode: 1
  - .args:
      - .address_space:  global
        .offset:         0
        .size:           8
        .value_kind:     global_buffer
      - .address_space:  global
        .offset:         8
        .size:           8
        .value_kind:     global_buffer
      - .offset:         16
        .size:           1
        .value_kind:     by_value
    .group_segment_fixed_size: 2112
    .kernarg_segment_align: 8
    .kernarg_segment_size: 20
    .language:       OpenCL C
    .language_version:
      - 2
      - 0
    .max_flat_workgroup_size: 256
    .name:           _Z9sort_keysILj256ELj4ELj8EaN10test_utils4lessEEvPKT2_PS2_T3_
    .private_segment_fixed_size: 0
    .sgpr_count:     14
    .sgpr_spill_count: 0
    .symbol:         _Z9sort_keysILj256ELj4ELj8EaN10test_utils4lessEEvPKT2_PS2_T3_.kd
    .uniform_work_group_size: 1
    .uses_dynamic_stack: false
    .vgpr_count:     26
    .vgpr_spill_count: 0
    .wavefront_size: 32
    .workgroup_processor_mode: 1
  - .args:
      - .address_space:  global
        .offset:         0
        .size:           8
        .value_kind:     global_buffer
      - .address_space:  global
        .offset:         8
        .size:           8
        .value_kind:     global_buffer
      - .offset:         16
        .size:           1
        .value_kind:     by_value
    .group_segment_fixed_size: 2112
    .kernarg_segment_align: 8
    .kernarg_segment_size: 20
    .language:       OpenCL C
    .language_version:
      - 2
      - 0
    .max_flat_workgroup_size: 256
    .name:           _Z10sort_pairsILj256ELj4ELj8EaN10test_utils4lessEEvPKT2_PS2_T3_
    .private_segment_fixed_size: 0
    .sgpr_count:     43
    .sgpr_spill_count: 0
    .symbol:         _Z10sort_pairsILj256ELj4ELj8EaN10test_utils4lessEEvPKT2_PS2_T3_.kd
    .uniform_work_group_size: 1
    .uses_dynamic_stack: false
    .vgpr_count:     45
    .vgpr_spill_count: 0
    .wavefront_size: 32
    .workgroup_processor_mode: 1
  - .args:
      - .address_space:  global
        .offset:         0
        .size:           8
        .value_kind:     global_buffer
      - .address_space:  global
        .offset:         8
        .size:           8
        .value_kind:     global_buffer
      - .address_space:  global
        .offset:         16
        .size:           8
        .value_kind:     global_buffer
      - .offset:         24
        .size:           1
        .value_kind:     by_value
    .group_segment_fixed_size: 2112
    .kernarg_segment_align: 8
    .kernarg_segment_size: 28
    .language:       OpenCL C
    .language_version:
      - 2
      - 0
    .max_flat_workgroup_size: 256
    .name:           _Z19sort_keys_segmentedILj256ELj4ELj8EaN10test_utils4lessEEvPKT2_PS2_PKjT3_
    .private_segment_fixed_size: 0
    .sgpr_count:     22
    .sgpr_spill_count: 0
    .symbol:         _Z19sort_keys_segmentedILj256ELj4ELj8EaN10test_utils4lessEEvPKT2_PS2_PKjT3_.kd
    .uniform_work_group_size: 1
    .uses_dynamic_stack: false
    .vgpr_count:     29
    .vgpr_spill_count: 0
    .wavefront_size: 32
    .workgroup_processor_mode: 1
  - .args:
      - .address_space:  global
        .offset:         0
        .size:           8
        .value_kind:     global_buffer
      - .address_space:  global
        .offset:         8
        .size:           8
        .value_kind:     global_buffer
      - .address_space:  global
        .offset:         16
        .size:           8
        .value_kind:     global_buffer
      - .offset:         24
        .size:           1
        .value_kind:     by_value
    .group_segment_fixed_size: 2112
    .kernarg_segment_align: 8
    .kernarg_segment_size: 28
    .language:       OpenCL C
    .language_version:
      - 2
      - 0
    .max_flat_workgroup_size: 256
    .name:           _Z20sort_pairs_segmentedILj256ELj4ELj8EaN10test_utils4lessEEvPKT2_PS2_PKjT3_
    .private_segment_fixed_size: 0
    .sgpr_count:     22
    .sgpr_spill_count: 0
    .symbol:         _Z20sort_pairs_segmentedILj256ELj4ELj8EaN10test_utils4lessEEvPKT2_PS2_PKjT3_.kd
    .uniform_work_group_size: 1
    .uses_dynamic_stack: false
    .vgpr_count:     46
    .vgpr_spill_count: 0
    .wavefront_size: 32
    .workgroup_processor_mode: 1
  - .args:
      - .address_space:  global
        .offset:         0
        .size:           8
        .value_kind:     global_buffer
      - .address_space:  global
        .offset:         8
        .size:           8
        .value_kind:     global_buffer
      - .offset:         16
        .size:           1
        .value_kind:     by_value
    .group_segment_fixed_size: 272
    .kernarg_segment_align: 8
    .kernarg_segment_size: 20
    .language:       OpenCL C
    .language_version:
      - 2
      - 0
    .max_flat_workgroup_size: 256
    .name:           _Z9sort_keysILj256ELj16ELj1EaN10test_utils4lessEEvPKT2_PS2_T3_
    .private_segment_fixed_size: 0
    .sgpr_count:     9
    .sgpr_spill_count: 0
    .symbol:         _Z9sort_keysILj256ELj16ELj1EaN10test_utils4lessEEvPKT2_PS2_T3_.kd
    .uniform_work_group_size: 1
    .uses_dynamic_stack: false
    .vgpr_count:     16
    .vgpr_spill_count: 0
    .wavefront_size: 32
    .workgroup_processor_mode: 1
  - .args:
      - .address_space:  global
        .offset:         0
        .size:           8
        .value_kind:     global_buffer
      - .address_space:  global
        .offset:         8
        .size:           8
        .value_kind:     global_buffer
      - .offset:         16
        .size:           1
        .value_kind:     by_value
    .group_segment_fixed_size: 272
    .kernarg_segment_align: 8
    .kernarg_segment_size: 20
    .language:       OpenCL C
    .language_version:
      - 2
      - 0
    .max_flat_workgroup_size: 256
    .name:           _Z10sort_pairsILj256ELj16ELj1EaN10test_utils4lessEEvPKT2_PS2_T3_
    .private_segment_fixed_size: 0
    .sgpr_count:     9
    .sgpr_spill_count: 0
    .symbol:         _Z10sort_pairsILj256ELj16ELj1EaN10test_utils4lessEEvPKT2_PS2_T3_.kd
    .uniform_work_group_size: 1
    .uses_dynamic_stack: false
    .vgpr_count:     17
    .vgpr_spill_count: 0
    .wavefront_size: 32
    .workgroup_processor_mode: 1
  - .args:
      - .address_space:  global
        .offset:         0
        .size:           8
        .value_kind:     global_buffer
      - .address_space:  global
        .offset:         8
        .size:           8
        .value_kind:     global_buffer
      - .address_space:  global
        .offset:         16
        .size:           8
        .value_kind:     global_buffer
      - .offset:         24
        .size:           1
        .value_kind:     by_value
    .group_segment_fixed_size: 272
    .kernarg_segment_align: 8
    .kernarg_segment_size: 28
    .language:       OpenCL C
    .language_version:
      - 2
      - 0
    .max_flat_workgroup_size: 256
    .name:           _Z19sort_keys_segmentedILj256ELj16ELj1EaN10test_utils4lessEEvPKT2_PS2_PKjT3_
    .private_segment_fixed_size: 0
    .sgpr_count:     10
    .sgpr_spill_count: 0
    .symbol:         _Z19sort_keys_segmentedILj256ELj16ELj1EaN10test_utils4lessEEvPKT2_PS2_PKjT3_.kd
    .uniform_work_group_size: 1
    .uses_dynamic_stack: false
    .vgpr_count:     19
    .vgpr_spill_count: 0
    .wavefront_size: 32
    .workgroup_processor_mode: 1
  - .args:
      - .address_space:  global
        .offset:         0
        .size:           8
        .value_kind:     global_buffer
      - .address_space:  global
        .offset:         8
        .size:           8
        .value_kind:     global_buffer
      - .address_space:  global
        .offset:         16
        .size:           8
        .value_kind:     global_buffer
      - .offset:         24
        .size:           1
        .value_kind:     by_value
    .group_segment_fixed_size: 272
    .kernarg_segment_align: 8
    .kernarg_segment_size: 28
    .language:       OpenCL C
    .language_version:
      - 2
      - 0
    .max_flat_workgroup_size: 256
    .name:           _Z20sort_pairs_segmentedILj256ELj16ELj1EaN10test_utils4lessEEvPKT2_PS2_PKjT3_
    .private_segment_fixed_size: 0
    .sgpr_count:     10
    .sgpr_spill_count: 0
    .symbol:         _Z20sort_pairs_segmentedILj256ELj16ELj1EaN10test_utils4lessEEvPKT2_PS2_PKjT3_.kd
    .uniform_work_group_size: 1
    .uses_dynamic_stack: false
    .vgpr_count:     20
    .vgpr_spill_count: 0
    .wavefront_size: 32
    .workgroup_processor_mode: 1
  - .args:
      - .address_space:  global
        .offset:         0
        .size:           8
        .value_kind:     global_buffer
      - .address_space:  global
        .offset:         8
        .size:           8
        .value_kind:     global_buffer
      - .offset:         16
        .size:           1
        .value_kind:     by_value
    .group_segment_fixed_size: 1040
    .kernarg_segment_align: 8
    .kernarg_segment_size: 20
    .language:       OpenCL C
    .language_version:
      - 2
      - 0
    .max_flat_workgroup_size: 256
    .name:           _Z9sort_keysILj256ELj16ELj4EaN10test_utils4lessEEvPKT2_PS2_T3_
    .private_segment_fixed_size: 0
    .sgpr_count:     14
    .sgpr_spill_count: 0
    .symbol:         _Z9sort_keysILj256ELj16ELj4EaN10test_utils4lessEEvPKT2_PS2_T3_.kd
    .uniform_work_group_size: 1
    .uses_dynamic_stack: false
    .vgpr_count:     19
    .vgpr_spill_count: 0
    .wavefront_size: 32
    .workgroup_processor_mode: 1
  - .args:
      - .address_space:  global
        .offset:         0
        .size:           8
        .value_kind:     global_buffer
      - .address_space:  global
        .offset:         8
        .size:           8
        .value_kind:     global_buffer
      - .offset:         16
        .size:           1
        .value_kind:     by_value
    .group_segment_fixed_size: 1040
    .kernarg_segment_align: 8
    .kernarg_segment_size: 20
    .language:       OpenCL C
    .language_version:
      - 2
      - 0
    .max_flat_workgroup_size: 256
    .name:           _Z10sort_pairsILj256ELj16ELj4EaN10test_utils4lessEEvPKT2_PS2_T3_
    .private_segment_fixed_size: 0
    .sgpr_count:     15
    .sgpr_spill_count: 0
    .symbol:         _Z10sort_pairsILj256ELj16ELj4EaN10test_utils4lessEEvPKT2_PS2_T3_.kd
    .uniform_work_group_size: 1
    .uses_dynamic_stack: false
    .vgpr_count:     28
    .vgpr_spill_count: 0
    .wavefront_size: 32
    .workgroup_processor_mode: 1
  - .args:
      - .address_space:  global
        .offset:         0
        .size:           8
        .value_kind:     global_buffer
      - .address_space:  global
        .offset:         8
        .size:           8
        .value_kind:     global_buffer
      - .address_space:  global
        .offset:         16
        .size:           8
        .value_kind:     global_buffer
      - .offset:         24
        .size:           1
        .value_kind:     by_value
    .group_segment_fixed_size: 1040
    .kernarg_segment_align: 8
    .kernarg_segment_size: 28
    .language:       OpenCL C
    .language_version:
      - 2
      - 0
    .max_flat_workgroup_size: 256
    .name:           _Z19sort_keys_segmentedILj256ELj16ELj4EaN10test_utils4lessEEvPKT2_PS2_PKjT3_
    .private_segment_fixed_size: 0
    .sgpr_count:     14
    .sgpr_spill_count: 0
    .symbol:         _Z19sort_keys_segmentedILj256ELj16ELj4EaN10test_utils4lessEEvPKT2_PS2_PKjT3_.kd
    .uniform_work_group_size: 1
    .uses_dynamic_stack: false
    .vgpr_count:     22
    .vgpr_spill_count: 0
    .wavefront_size: 32
    .workgroup_processor_mode: 1
  - .args:
      - .address_space:  global
        .offset:         0
        .size:           8
        .value_kind:     global_buffer
      - .address_space:  global
        .offset:         8
        .size:           8
        .value_kind:     global_buffer
      - .address_space:  global
        .offset:         16
        .size:           8
        .value_kind:     global_buffer
      - .offset:         24
        .size:           1
        .value_kind:     by_value
    .group_segment_fixed_size: 1040
    .kernarg_segment_align: 8
    .kernarg_segment_size: 28
    .language:       OpenCL C
    .language_version:
      - 2
      - 0
    .max_flat_workgroup_size: 256
    .name:           _Z20sort_pairs_segmentedILj256ELj16ELj4EaN10test_utils4lessEEvPKT2_PS2_PKjT3_
    .private_segment_fixed_size: 0
    .sgpr_count:     14
    .sgpr_spill_count: 0
    .symbol:         _Z20sort_pairs_segmentedILj256ELj16ELj4EaN10test_utils4lessEEvPKT2_PS2_PKjT3_.kd
    .uniform_work_group_size: 1
    .uses_dynamic_stack: false
    .vgpr_count:     30
    .vgpr_spill_count: 0
    .wavefront_size: 32
    .workgroup_processor_mode: 1
  - .args:
      - .address_space:  global
        .offset:         0
        .size:           8
        .value_kind:     global_buffer
      - .address_space:  global
        .offset:         8
        .size:           8
        .value_kind:     global_buffer
      - .offset:         16
        .size:           1
        .value_kind:     by_value
    .group_segment_fixed_size: 2064
    .kernarg_segment_align: 8
    .kernarg_segment_size: 20
    .language:       OpenCL C
    .language_version:
      - 2
      - 0
    .max_flat_workgroup_size: 256
    .name:           _Z9sort_keysILj256ELj16ELj8EaN10test_utils4lessEEvPKT2_PS2_T3_
    .private_segment_fixed_size: 0
    .sgpr_count:     14
    .sgpr_spill_count: 0
    .symbol:         _Z9sort_keysILj256ELj16ELj8EaN10test_utils4lessEEvPKT2_PS2_T3_.kd
    .uniform_work_group_size: 1
    .uses_dynamic_stack: false
    .vgpr_count:     27
    .vgpr_spill_count: 0
    .wavefront_size: 32
    .workgroup_processor_mode: 1
  - .args:
      - .address_space:  global
        .offset:         0
        .size:           8
        .value_kind:     global_buffer
      - .address_space:  global
        .offset:         8
        .size:           8
        .value_kind:     global_buffer
      - .offset:         16
        .size:           1
        .value_kind:     by_value
    .group_segment_fixed_size: 2064
    .kernarg_segment_align: 8
    .kernarg_segment_size: 20
    .language:       OpenCL C
    .language_version:
      - 2
      - 0
    .max_flat_workgroup_size: 256
    .name:           _Z10sort_pairsILj256ELj16ELj8EaN10test_utils4lessEEvPKT2_PS2_T3_
    .private_segment_fixed_size: 0
    .sgpr_count:     43
    .sgpr_spill_count: 0
    .symbol:         _Z10sort_pairsILj256ELj16ELj8EaN10test_utils4lessEEvPKT2_PS2_T3_.kd
    .uniform_work_group_size: 1
    .uses_dynamic_stack: false
    .vgpr_count:     47
    .vgpr_spill_count: 0
    .wavefront_size: 32
    .workgroup_processor_mode: 1
  - .args:
      - .address_space:  global
        .offset:         0
        .size:           8
        .value_kind:     global_buffer
      - .address_space:  global
        .offset:         8
        .size:           8
        .value_kind:     global_buffer
      - .address_space:  global
        .offset:         16
        .size:           8
        .value_kind:     global_buffer
      - .offset:         24
        .size:           1
        .value_kind:     by_value
    .group_segment_fixed_size: 2064
    .kernarg_segment_align: 8
    .kernarg_segment_size: 28
    .language:       OpenCL C
    .language_version:
      - 2
      - 0
    .max_flat_workgroup_size: 256
    .name:           _Z19sort_keys_segmentedILj256ELj16ELj8EaN10test_utils4lessEEvPKT2_PS2_PKjT3_
    .private_segment_fixed_size: 0
    .sgpr_count:     22
    .sgpr_spill_count: 0
    .symbol:         _Z19sort_keys_segmentedILj256ELj16ELj8EaN10test_utils4lessEEvPKT2_PS2_PKjT3_.kd
    .uniform_work_group_size: 1
    .uses_dynamic_stack: false
    .vgpr_count:     29
    .vgpr_spill_count: 0
    .wavefront_size: 32
    .workgroup_processor_mode: 1
  - .args:
      - .address_space:  global
        .offset:         0
        .size:           8
        .value_kind:     global_buffer
      - .address_space:  global
        .offset:         8
        .size:           8
        .value_kind:     global_buffer
      - .address_space:  global
        .offset:         16
        .size:           8
        .value_kind:     global_buffer
      - .offset:         24
        .size:           1
        .value_kind:     by_value
    .group_segment_fixed_size: 2064
    .kernarg_segment_align: 8
    .kernarg_segment_size: 28
    .language:       OpenCL C
    .language_version:
      - 2
      - 0
    .max_flat_workgroup_size: 256
    .name:           _Z20sort_pairs_segmentedILj256ELj16ELj8EaN10test_utils4lessEEvPKT2_PS2_PKjT3_
    .private_segment_fixed_size: 0
    .sgpr_count:     22
    .sgpr_spill_count: 0
    .symbol:         _Z20sort_pairs_segmentedILj256ELj16ELj8EaN10test_utils4lessEEvPKT2_PS2_PKjT3_.kd
    .uniform_work_group_size: 1
    .uses_dynamic_stack: false
    .vgpr_count:     48
    .vgpr_spill_count: 0
    .wavefront_size: 32
    .workgroup_processor_mode: 1
  - .args:
      - .address_space:  global
        .offset:         0
        .size:           8
        .value_kind:     global_buffer
      - .address_space:  global
        .offset:         8
        .size:           8
        .value_kind:     global_buffer
      - .offset:         16
        .size:           1
        .value_kind:     by_value
    .group_segment_fixed_size: 264
    .kernarg_segment_align: 8
    .kernarg_segment_size: 20
    .language:       OpenCL C
    .language_version:
      - 2
      - 0
    .max_flat_workgroup_size: 256
    .name:           _Z9sort_keysILj256ELj32ELj1EaN10test_utils4lessEEvPKT2_PS2_T3_
    .private_segment_fixed_size: 0
    .sgpr_count:     9
    .sgpr_spill_count: 0
    .symbol:         _Z9sort_keysILj256ELj32ELj1EaN10test_utils4lessEEvPKT2_PS2_T3_.kd
    .uniform_work_group_size: 1
    .uses_dynamic_stack: false
    .vgpr_count:     15
    .vgpr_spill_count: 0
    .wavefront_size: 32
    .workgroup_processor_mode: 1
  - .args:
      - .address_space:  global
        .offset:         0
        .size:           8
        .value_kind:     global_buffer
      - .address_space:  global
        .offset:         8
        .size:           8
        .value_kind:     global_buffer
      - .offset:         16
        .size:           1
        .value_kind:     by_value
    .group_segment_fixed_size: 264
    .kernarg_segment_align: 8
    .kernarg_segment_size: 20
    .language:       OpenCL C
    .language_version:
      - 2
      - 0
    .max_flat_workgroup_size: 256
    .name:           _Z10sort_pairsILj256ELj32ELj1EaN10test_utils4lessEEvPKT2_PS2_T3_
    .private_segment_fixed_size: 0
    .sgpr_count:     9
    .sgpr_spill_count: 0
    .symbol:         _Z10sort_pairsILj256ELj32ELj1EaN10test_utils4lessEEvPKT2_PS2_T3_.kd
    .uniform_work_group_size: 1
    .uses_dynamic_stack: false
    .vgpr_count:     16
    .vgpr_spill_count: 0
    .wavefront_size: 32
    .workgroup_processor_mode: 1
  - .args:
      - .address_space:  global
        .offset:         0
        .size:           8
        .value_kind:     global_buffer
      - .address_space:  global
        .offset:         8
        .size:           8
        .value_kind:     global_buffer
      - .address_space:  global
        .offset:         16
        .size:           8
        .value_kind:     global_buffer
      - .offset:         24
        .size:           1
        .value_kind:     by_value
    .group_segment_fixed_size: 264
    .kernarg_segment_align: 8
    .kernarg_segment_size: 28
    .language:       OpenCL C
    .language_version:
      - 2
      - 0
    .max_flat_workgroup_size: 256
    .name:           _Z19sort_keys_segmentedILj256ELj32ELj1EaN10test_utils4lessEEvPKT2_PS2_PKjT3_
    .private_segment_fixed_size: 0
    .sgpr_count:     10
    .sgpr_spill_count: 0
    .symbol:         _Z19sort_keys_segmentedILj256ELj32ELj1EaN10test_utils4lessEEvPKT2_PS2_PKjT3_.kd
    .uniform_work_group_size: 1
    .uses_dynamic_stack: false
    .vgpr_count:     18
    .vgpr_spill_count: 0
    .wavefront_size: 32
    .workgroup_processor_mode: 1
  - .args:
      - .address_space:  global
        .offset:         0
        .size:           8
        .value_kind:     global_buffer
      - .address_space:  global
        .offset:         8
        .size:           8
        .value_kind:     global_buffer
      - .address_space:  global
        .offset:         16
        .size:           8
        .value_kind:     global_buffer
      - .offset:         24
        .size:           1
        .value_kind:     by_value
    .group_segment_fixed_size: 264
    .kernarg_segment_align: 8
    .kernarg_segment_size: 28
    .language:       OpenCL C
    .language_version:
      - 2
      - 0
    .max_flat_workgroup_size: 256
    .name:           _Z20sort_pairs_segmentedILj256ELj32ELj1EaN10test_utils4lessEEvPKT2_PS2_PKjT3_
    .private_segment_fixed_size: 0
    .sgpr_count:     10
    .sgpr_spill_count: 0
    .symbol:         _Z20sort_pairs_segmentedILj256ELj32ELj1EaN10test_utils4lessEEvPKT2_PS2_PKjT3_.kd
    .uniform_work_group_size: 1
    .uses_dynamic_stack: false
    .vgpr_count:     19
    .vgpr_spill_count: 0
    .wavefront_size: 32
    .workgroup_processor_mode: 1
  - .args:
      - .address_space:  global
        .offset:         0
        .size:           8
        .value_kind:     global_buffer
      - .address_space:  global
        .offset:         8
        .size:           8
        .value_kind:     global_buffer
      - .offset:         16
        .size:           1
        .value_kind:     by_value
    .group_segment_fixed_size: 1032
    .kernarg_segment_align: 8
    .kernarg_segment_size: 20
    .language:       OpenCL C
    .language_version:
      - 2
      - 0
    .max_flat_workgroup_size: 256
    .name:           _Z9sort_keysILj256ELj32ELj4EaN10test_utils4lessEEvPKT2_PS2_T3_
    .private_segment_fixed_size: 0
    .sgpr_count:     14
    .sgpr_spill_count: 0
    .symbol:         _Z9sort_keysILj256ELj32ELj4EaN10test_utils4lessEEvPKT2_PS2_T3_.kd
    .uniform_work_group_size: 1
    .uses_dynamic_stack: false
    .vgpr_count:     18
    .vgpr_spill_count: 0
    .wavefront_size: 32
    .workgroup_processor_mode: 1
  - .args:
      - .address_space:  global
        .offset:         0
        .size:           8
        .value_kind:     global_buffer
      - .address_space:  global
        .offset:         8
        .size:           8
        .value_kind:     global_buffer
      - .offset:         16
        .size:           1
        .value_kind:     by_value
    .group_segment_fixed_size: 1032
    .kernarg_segment_align: 8
    .kernarg_segment_size: 20
    .language:       OpenCL C
    .language_version:
      - 2
      - 0
    .max_flat_workgroup_size: 256
    .name:           _Z10sort_pairsILj256ELj32ELj4EaN10test_utils4lessEEvPKT2_PS2_T3_
    .private_segment_fixed_size: 0
    .sgpr_count:     15
    .sgpr_spill_count: 0
    .symbol:         _Z10sort_pairsILj256ELj32ELj4EaN10test_utils4lessEEvPKT2_PS2_T3_.kd
    .uniform_work_group_size: 1
    .uses_dynamic_stack: false
    .vgpr_count:     27
    .vgpr_spill_count: 0
    .wavefront_size: 32
    .workgroup_processor_mode: 1
  - .args:
      - .address_space:  global
        .offset:         0
        .size:           8
        .value_kind:     global_buffer
      - .address_space:  global
        .offset:         8
        .size:           8
        .value_kind:     global_buffer
      - .address_space:  global
        .offset:         16
        .size:           8
        .value_kind:     global_buffer
      - .offset:         24
        .size:           1
        .value_kind:     by_value
    .group_segment_fixed_size: 1032
    .kernarg_segment_align: 8
    .kernarg_segment_size: 28
    .language:       OpenCL C
    .language_version:
      - 2
      - 0
    .max_flat_workgroup_size: 256
    .name:           _Z19sort_keys_segmentedILj256ELj32ELj4EaN10test_utils4lessEEvPKT2_PS2_PKjT3_
    .private_segment_fixed_size: 0
    .sgpr_count:     14
    .sgpr_spill_count: 0
    .symbol:         _Z19sort_keys_segmentedILj256ELj32ELj4EaN10test_utils4lessEEvPKT2_PS2_PKjT3_.kd
    .uniform_work_group_size: 1
    .uses_dynamic_stack: false
    .vgpr_count:     22
    .vgpr_spill_count: 0
    .wavefront_size: 32
    .workgroup_processor_mode: 1
  - .args:
      - .address_space:  global
        .offset:         0
        .size:           8
        .value_kind:     global_buffer
      - .address_space:  global
        .offset:         8
        .size:           8
        .value_kind:     global_buffer
      - .address_space:  global
        .offset:         16
        .size:           8
        .value_kind:     global_buffer
      - .offset:         24
        .size:           1
        .value_kind:     by_value
    .group_segment_fixed_size: 1032
    .kernarg_segment_align: 8
    .kernarg_segment_size: 28
    .language:       OpenCL C
    .language_version:
      - 2
      - 0
    .max_flat_workgroup_size: 256
    .name:           _Z20sort_pairs_segmentedILj256ELj32ELj4EaN10test_utils4lessEEvPKT2_PS2_PKjT3_
    .private_segment_fixed_size: 0
    .sgpr_count:     14
    .sgpr_spill_count: 0
    .symbol:         _Z20sort_pairs_segmentedILj256ELj32ELj4EaN10test_utils4lessEEvPKT2_PS2_PKjT3_.kd
    .uniform_work_group_size: 1
    .uses_dynamic_stack: false
    .vgpr_count:     29
    .vgpr_spill_count: 0
    .wavefront_size: 32
    .workgroup_processor_mode: 1
  - .args:
      - .address_space:  global
        .offset:         0
        .size:           8
        .value_kind:     global_buffer
      - .address_space:  global
        .offset:         8
        .size:           8
        .value_kind:     global_buffer
      - .offset:         16
        .size:           1
        .value_kind:     by_value
    .group_segment_fixed_size: 2056
    .kernarg_segment_align: 8
    .kernarg_segment_size: 20
    .language:       OpenCL C
    .language_version:
      - 2
      - 0
    .max_flat_workgroup_size: 256
    .name:           _Z9sort_keysILj256ELj32ELj8EaN10test_utils4lessEEvPKT2_PS2_T3_
    .private_segment_fixed_size: 0
    .sgpr_count:     14
    .sgpr_spill_count: 0
    .symbol:         _Z9sort_keysILj256ELj32ELj8EaN10test_utils4lessEEvPKT2_PS2_T3_.kd
    .uniform_work_group_size: 1
    .uses_dynamic_stack: false
    .vgpr_count:     26
    .vgpr_spill_count: 0
    .wavefront_size: 32
    .workgroup_processor_mode: 1
  - .args:
      - .address_space:  global
        .offset:         0
        .size:           8
        .value_kind:     global_buffer
      - .address_space:  global
        .offset:         8
        .size:           8
        .value_kind:     global_buffer
      - .offset:         16
        .size:           1
        .value_kind:     by_value
    .group_segment_fixed_size: 2056
    .kernarg_segment_align: 8
    .kernarg_segment_size: 20
    .language:       OpenCL C
    .language_version:
      - 2
      - 0
    .max_flat_workgroup_size: 256
    .name:           _Z10sort_pairsILj256ELj32ELj8EaN10test_utils4lessEEvPKT2_PS2_T3_
    .private_segment_fixed_size: 0
    .sgpr_count:     43
    .sgpr_spill_count: 0
    .symbol:         _Z10sort_pairsILj256ELj32ELj8EaN10test_utils4lessEEvPKT2_PS2_T3_.kd
    .uniform_work_group_size: 1
    .uses_dynamic_stack: false
    .vgpr_count:     46
    .vgpr_spill_count: 0
    .wavefront_size: 32
    .workgroup_processor_mode: 1
  - .args:
      - .address_space:  global
        .offset:         0
        .size:           8
        .value_kind:     global_buffer
      - .address_space:  global
        .offset:         8
        .size:           8
        .value_kind:     global_buffer
      - .address_space:  global
        .offset:         16
        .size:           8
        .value_kind:     global_buffer
      - .offset:         24
        .size:           1
        .value_kind:     by_value
    .group_segment_fixed_size: 2056
    .kernarg_segment_align: 8
    .kernarg_segment_size: 28
    .language:       OpenCL C
    .language_version:
      - 2
      - 0
    .max_flat_workgroup_size: 256
    .name:           _Z19sort_keys_segmentedILj256ELj32ELj8EaN10test_utils4lessEEvPKT2_PS2_PKjT3_
    .private_segment_fixed_size: 0
    .sgpr_count:     22
    .sgpr_spill_count: 0
    .symbol:         _Z19sort_keys_segmentedILj256ELj32ELj8EaN10test_utils4lessEEvPKT2_PS2_PKjT3_.kd
    .uniform_work_group_size: 1
    .uses_dynamic_stack: false
    .vgpr_count:     28
    .vgpr_spill_count: 0
    .wavefront_size: 32
    .workgroup_processor_mode: 1
  - .args:
      - .address_space:  global
        .offset:         0
        .size:           8
        .value_kind:     global_buffer
      - .address_space:  global
        .offset:         8
        .size:           8
        .value_kind:     global_buffer
      - .address_space:  global
        .offset:         16
        .size:           8
        .value_kind:     global_buffer
      - .offset:         24
        .size:           1
        .value_kind:     by_value
    .group_segment_fixed_size: 2056
    .kernarg_segment_align: 8
    .kernarg_segment_size: 28
    .language:       OpenCL C
    .language_version:
      - 2
      - 0
    .max_flat_workgroup_size: 256
    .name:           _Z20sort_pairs_segmentedILj256ELj32ELj8EaN10test_utils4lessEEvPKT2_PS2_PKjT3_
    .private_segment_fixed_size: 0
    .sgpr_count:     22
    .sgpr_spill_count: 0
    .symbol:         _Z20sort_pairs_segmentedILj256ELj32ELj8EaN10test_utils4lessEEvPKT2_PS2_PKjT3_.kd
    .uniform_work_group_size: 1
    .uses_dynamic_stack: false
    .vgpr_count:     47
    .vgpr_spill_count: 0
    .wavefront_size: 32
    .workgroup_processor_mode: 1
  - .args:
      - .address_space:  global
        .offset:         0
        .size:           8
        .value_kind:     global_buffer
      - .address_space:  global
        .offset:         8
        .size:           8
        .value_kind:     global_buffer
      - .offset:         16
        .size:           1
        .value_kind:     by_value
    .group_segment_fixed_size: 260
    .kernarg_segment_align: 8
    .kernarg_segment_size: 20
    .language:       OpenCL C
    .language_version:
      - 2
      - 0
    .max_flat_workgroup_size: 256
    .name:           _Z9sort_keysILj256ELj64ELj1EaN10test_utils4lessEEvPKT2_PS2_T3_
    .private_segment_fixed_size: 0
    .sgpr_count:     9
    .sgpr_spill_count: 0
    .symbol:         _Z9sort_keysILj256ELj64ELj1EaN10test_utils4lessEEvPKT2_PS2_T3_.kd
    .uniform_work_group_size: 1
    .uses_dynamic_stack: false
    .vgpr_count:     16
    .vgpr_spill_count: 0
    .wavefront_size: 32
    .workgroup_processor_mode: 1
  - .args:
      - .address_space:  global
        .offset:         0
        .size:           8
        .value_kind:     global_buffer
      - .address_space:  global
        .offset:         8
        .size:           8
        .value_kind:     global_buffer
      - .offset:         16
        .size:           1
        .value_kind:     by_value
    .group_segment_fixed_size: 260
    .kernarg_segment_align: 8
    .kernarg_segment_size: 20
    .language:       OpenCL C
    .language_version:
      - 2
      - 0
    .max_flat_workgroup_size: 256
    .name:           _Z10sort_pairsILj256ELj64ELj1EaN10test_utils4lessEEvPKT2_PS2_T3_
    .private_segment_fixed_size: 0
    .sgpr_count:     9
    .sgpr_spill_count: 0
    .symbol:         _Z10sort_pairsILj256ELj64ELj1EaN10test_utils4lessEEvPKT2_PS2_T3_.kd
    .uniform_work_group_size: 1
    .uses_dynamic_stack: false
    .vgpr_count:     17
    .vgpr_spill_count: 0
    .wavefront_size: 32
    .workgroup_processor_mode: 1
  - .args:
      - .address_space:  global
        .offset:         0
        .size:           8
        .value_kind:     global_buffer
      - .address_space:  global
        .offset:         8
        .size:           8
        .value_kind:     global_buffer
      - .address_space:  global
        .offset:         16
        .size:           8
        .value_kind:     global_buffer
      - .offset:         24
        .size:           1
        .value_kind:     by_value
    .group_segment_fixed_size: 260
    .kernarg_segment_align: 8
    .kernarg_segment_size: 28
    .language:       OpenCL C
    .language_version:
      - 2
      - 0
    .max_flat_workgroup_size: 256
    .name:           _Z19sort_keys_segmentedILj256ELj64ELj1EaN10test_utils4lessEEvPKT2_PS2_PKjT3_
    .private_segment_fixed_size: 0
    .sgpr_count:     9
    .sgpr_spill_count: 0
    .symbol:         _Z19sort_keys_segmentedILj256ELj64ELj1EaN10test_utils4lessEEvPKT2_PS2_PKjT3_.kd
    .uniform_work_group_size: 1
    .uses_dynamic_stack: false
    .vgpr_count:     17
    .vgpr_spill_count: 0
    .wavefront_size: 32
    .workgroup_processor_mode: 1
  - .args:
      - .address_space:  global
        .offset:         0
        .size:           8
        .value_kind:     global_buffer
      - .address_space:  global
        .offset:         8
        .size:           8
        .value_kind:     global_buffer
      - .address_space:  global
        .offset:         16
        .size:           8
        .value_kind:     global_buffer
      - .offset:         24
        .size:           1
        .value_kind:     by_value
    .group_segment_fixed_size: 260
    .kernarg_segment_align: 8
    .kernarg_segment_size: 28
    .language:       OpenCL C
    .language_version:
      - 2
      - 0
    .max_flat_workgroup_size: 256
    .name:           _Z20sort_pairs_segmentedILj256ELj64ELj1EaN10test_utils4lessEEvPKT2_PS2_PKjT3_
    .private_segment_fixed_size: 0
    .sgpr_count:     9
    .sgpr_spill_count: 0
    .symbol:         _Z20sort_pairs_segmentedILj256ELj64ELj1EaN10test_utils4lessEEvPKT2_PS2_PKjT3_.kd
    .uniform_work_group_size: 1
    .uses_dynamic_stack: false
    .vgpr_count:     18
    .vgpr_spill_count: 0
    .wavefront_size: 32
    .workgroup_processor_mode: 1
  - .args:
      - .address_space:  global
        .offset:         0
        .size:           8
        .value_kind:     global_buffer
      - .address_space:  global
        .offset:         8
        .size:           8
        .value_kind:     global_buffer
      - .offset:         16
        .size:           1
        .value_kind:     by_value
    .group_segment_fixed_size: 1028
    .kernarg_segment_align: 8
    .kernarg_segment_size: 20
    .language:       OpenCL C
    .language_version:
      - 2
      - 0
    .max_flat_workgroup_size: 256
    .name:           _Z9sort_keysILj256ELj64ELj4EaN10test_utils4lessEEvPKT2_PS2_T3_
    .private_segment_fixed_size: 0
    .sgpr_count:     14
    .sgpr_spill_count: 0
    .symbol:         _Z9sort_keysILj256ELj64ELj4EaN10test_utils4lessEEvPKT2_PS2_T3_.kd
    .uniform_work_group_size: 1
    .uses_dynamic_stack: false
    .vgpr_count:     19
    .vgpr_spill_count: 0
    .wavefront_size: 32
    .workgroup_processor_mode: 1
  - .args:
      - .address_space:  global
        .offset:         0
        .size:           8
        .value_kind:     global_buffer
      - .address_space:  global
        .offset:         8
        .size:           8
        .value_kind:     global_buffer
      - .offset:         16
        .size:           1
        .value_kind:     by_value
    .group_segment_fixed_size: 1028
    .kernarg_segment_align: 8
    .kernarg_segment_size: 20
    .language:       OpenCL C
    .language_version:
      - 2
      - 0
    .max_flat_workgroup_size: 256
    .name:           _Z10sort_pairsILj256ELj64ELj4EaN10test_utils4lessEEvPKT2_PS2_T3_
    .private_segment_fixed_size: 0
    .sgpr_count:     15
    .sgpr_spill_count: 0
    .symbol:         _Z10sort_pairsILj256ELj64ELj4EaN10test_utils4lessEEvPKT2_PS2_T3_.kd
    .uniform_work_group_size: 1
    .uses_dynamic_stack: false
    .vgpr_count:     27
    .vgpr_spill_count: 0
    .wavefront_size: 32
    .workgroup_processor_mode: 1
  - .args:
      - .address_space:  global
        .offset:         0
        .size:           8
        .value_kind:     global_buffer
      - .address_space:  global
        .offset:         8
        .size:           8
        .value_kind:     global_buffer
      - .address_space:  global
        .offset:         16
        .size:           8
        .value_kind:     global_buffer
      - .offset:         24
        .size:           1
        .value_kind:     by_value
    .group_segment_fixed_size: 1028
    .kernarg_segment_align: 8
    .kernarg_segment_size: 28
    .language:       OpenCL C
    .language_version:
      - 2
      - 0
    .max_flat_workgroup_size: 256
    .name:           _Z19sort_keys_segmentedILj256ELj64ELj4EaN10test_utils4lessEEvPKT2_PS2_PKjT3_
    .private_segment_fixed_size: 0
    .sgpr_count:     14
    .sgpr_spill_count: 0
    .symbol:         _Z19sort_keys_segmentedILj256ELj64ELj4EaN10test_utils4lessEEvPKT2_PS2_PKjT3_.kd
    .uniform_work_group_size: 1
    .uses_dynamic_stack: false
    .vgpr_count:     23
    .vgpr_spill_count: 0
    .wavefront_size: 32
    .workgroup_processor_mode: 1
  - .args:
      - .address_space:  global
        .offset:         0
        .size:           8
        .value_kind:     global_buffer
      - .address_space:  global
        .offset:         8
        .size:           8
        .value_kind:     global_buffer
      - .address_space:  global
        .offset:         16
        .size:           8
        .value_kind:     global_buffer
      - .offset:         24
        .size:           1
        .value_kind:     by_value
    .group_segment_fixed_size: 1028
    .kernarg_segment_align: 8
    .kernarg_segment_size: 28
    .language:       OpenCL C
    .language_version:
      - 2
      - 0
    .max_flat_workgroup_size: 256
    .name:           _Z20sort_pairs_segmentedILj256ELj64ELj4EaN10test_utils4lessEEvPKT2_PS2_PKjT3_
    .private_segment_fixed_size: 0
    .sgpr_count:     14
    .sgpr_spill_count: 0
    .symbol:         _Z20sort_pairs_segmentedILj256ELj64ELj4EaN10test_utils4lessEEvPKT2_PS2_PKjT3_.kd
    .uniform_work_group_size: 1
    .uses_dynamic_stack: false
    .vgpr_count:     30
    .vgpr_spill_count: 0
    .wavefront_size: 32
    .workgroup_processor_mode: 1
  - .args:
      - .address_space:  global
        .offset:         0
        .size:           8
        .value_kind:     global_buffer
      - .address_space:  global
        .offset:         8
        .size:           8
        .value_kind:     global_buffer
      - .offset:         16
        .size:           1
        .value_kind:     by_value
    .group_segment_fixed_size: 2052
    .kernarg_segment_align: 8
    .kernarg_segment_size: 20
    .language:       OpenCL C
    .language_version:
      - 2
      - 0
    .max_flat_workgroup_size: 256
    .name:           _Z9sort_keysILj256ELj64ELj8EaN10test_utils4lessEEvPKT2_PS2_T3_
    .private_segment_fixed_size: 0
    .sgpr_count:     14
    .sgpr_spill_count: 0
    .symbol:         _Z9sort_keysILj256ELj64ELj8EaN10test_utils4lessEEvPKT2_PS2_T3_.kd
    .uniform_work_group_size: 1
    .uses_dynamic_stack: false
    .vgpr_count:     26
    .vgpr_spill_count: 0
    .wavefront_size: 32
    .workgroup_processor_mode: 1
  - .args:
      - .address_space:  global
        .offset:         0
        .size:           8
        .value_kind:     global_buffer
      - .address_space:  global
        .offset:         8
        .size:           8
        .value_kind:     global_buffer
      - .offset:         16
        .size:           1
        .value_kind:     by_value
    .group_segment_fixed_size: 2052
    .kernarg_segment_align: 8
    .kernarg_segment_size: 20
    .language:       OpenCL C
    .language_version:
      - 2
      - 0
    .max_flat_workgroup_size: 256
    .name:           _Z10sort_pairsILj256ELj64ELj8EaN10test_utils4lessEEvPKT2_PS2_T3_
    .private_segment_fixed_size: 0
    .sgpr_count:     43
    .sgpr_spill_count: 0
    .symbol:         _Z10sort_pairsILj256ELj64ELj8EaN10test_utils4lessEEvPKT2_PS2_T3_.kd
    .uniform_work_group_size: 1
    .uses_dynamic_stack: false
    .vgpr_count:     46
    .vgpr_spill_count: 0
    .wavefront_size: 32
    .workgroup_processor_mode: 1
  - .args:
      - .address_space:  global
        .offset:         0
        .size:           8
        .value_kind:     global_buffer
      - .address_space:  global
        .offset:         8
        .size:           8
        .value_kind:     global_buffer
      - .address_space:  global
        .offset:         16
        .size:           8
        .value_kind:     global_buffer
      - .offset:         24
        .size:           1
        .value_kind:     by_value
    .group_segment_fixed_size: 2052
    .kernarg_segment_align: 8
    .kernarg_segment_size: 28
    .language:       OpenCL C
    .language_version:
      - 2
      - 0
    .max_flat_workgroup_size: 256
    .name:           _Z19sort_keys_segmentedILj256ELj64ELj8EaN10test_utils4lessEEvPKT2_PS2_PKjT3_
    .private_segment_fixed_size: 0
    .sgpr_count:     22
    .sgpr_spill_count: 0
    .symbol:         _Z19sort_keys_segmentedILj256ELj64ELj8EaN10test_utils4lessEEvPKT2_PS2_PKjT3_.kd
    .uniform_work_group_size: 1
    .uses_dynamic_stack: false
    .vgpr_count:     30
    .vgpr_spill_count: 0
    .wavefront_size: 32
    .workgroup_processor_mode: 1
  - .args:
      - .address_space:  global
        .offset:         0
        .size:           8
        .value_kind:     global_buffer
      - .address_space:  global
        .offset:         8
        .size:           8
        .value_kind:     global_buffer
      - .address_space:  global
        .offset:         16
        .size:           8
        .value_kind:     global_buffer
      - .offset:         24
        .size:           1
        .value_kind:     by_value
    .group_segment_fixed_size: 2052
    .kernarg_segment_align: 8
    .kernarg_segment_size: 28
    .language:       OpenCL C
    .language_version:
      - 2
      - 0
    .max_flat_workgroup_size: 256
    .name:           _Z20sort_pairs_segmentedILj256ELj64ELj8EaN10test_utils4lessEEvPKT2_PS2_PKjT3_
    .private_segment_fixed_size: 0
    .sgpr_count:     22
    .sgpr_spill_count: 0
    .symbol:         _Z20sort_pairs_segmentedILj256ELj64ELj8EaN10test_utils4lessEEvPKT2_PS2_PKjT3_.kd
    .uniform_work_group_size: 1
    .uses_dynamic_stack: false
    .vgpr_count:     49
    .vgpr_spill_count: 0
    .wavefront_size: 32
    .workgroup_processor_mode: 1
  - .args:
      - .address_space:  global
        .offset:         0
        .size:           8
        .value_kind:     global_buffer
      - .address_space:  global
        .offset:         8
        .size:           8
        .value_kind:     global_buffer
      - .offset:         16
        .size:           1
        .value_kind:     by_value
    .group_segment_fixed_size: 320
    .kernarg_segment_align: 8
    .kernarg_segment_size: 20
    .language:       OpenCL C
    .language_version:
      - 2
      - 0
    .max_flat_workgroup_size: 256
    .name:           _Z9sort_keysILj256ELj4ELj1EhN10test_utils4lessEEvPKT2_PS2_T3_
    .private_segment_fixed_size: 0
    .sgpr_count:     9
    .sgpr_spill_count: 0
    .symbol:         _Z9sort_keysILj256ELj4ELj1EhN10test_utils4lessEEvPKT2_PS2_T3_.kd
    .uniform_work_group_size: 1
    .uses_dynamic_stack: false
    .vgpr_count:     15
    .vgpr_spill_count: 0
    .wavefront_size: 32
    .workgroup_processor_mode: 1
  - .args:
      - .address_space:  global
        .offset:         0
        .size:           8
        .value_kind:     global_buffer
      - .address_space:  global
        .offset:         8
        .size:           8
        .value_kind:     global_buffer
      - .offset:         16
        .size:           1
        .value_kind:     by_value
    .group_segment_fixed_size: 320
    .kernarg_segment_align: 8
    .kernarg_segment_size: 20
    .language:       OpenCL C
    .language_version:
      - 2
      - 0
    .max_flat_workgroup_size: 256
    .name:           _Z10sort_pairsILj256ELj4ELj1EhN10test_utils4lessEEvPKT2_PS2_T3_
    .private_segment_fixed_size: 0
    .sgpr_count:     9
    .sgpr_spill_count: 0
    .symbol:         _Z10sort_pairsILj256ELj4ELj1EhN10test_utils4lessEEvPKT2_PS2_T3_.kd
    .uniform_work_group_size: 1
    .uses_dynamic_stack: false
    .vgpr_count:     16
    .vgpr_spill_count: 0
    .wavefront_size: 32
    .workgroup_processor_mode: 1
  - .args:
      - .address_space:  global
        .offset:         0
        .size:           8
        .value_kind:     global_buffer
      - .address_space:  global
        .offset:         8
        .size:           8
        .value_kind:     global_buffer
      - .address_space:  global
        .offset:         16
        .size:           8
        .value_kind:     global_buffer
      - .offset:         24
        .size:           1
        .value_kind:     by_value
    .group_segment_fixed_size: 320
    .kernarg_segment_align: 8
    .kernarg_segment_size: 28
    .language:       OpenCL C
    .language_version:
      - 2
      - 0
    .max_flat_workgroup_size: 256
    .name:           _Z19sort_keys_segmentedILj256ELj4ELj1EhN10test_utils4lessEEvPKT2_PS2_PKjT3_
    .private_segment_fixed_size: 0
    .sgpr_count:     10
    .sgpr_spill_count: 0
    .symbol:         _Z19sort_keys_segmentedILj256ELj4ELj1EhN10test_utils4lessEEvPKT2_PS2_PKjT3_.kd
    .uniform_work_group_size: 1
    .uses_dynamic_stack: false
    .vgpr_count:     17
    .vgpr_spill_count: 0
    .wavefront_size: 32
    .workgroup_processor_mode: 1
  - .args:
      - .address_space:  global
        .offset:         0
        .size:           8
        .value_kind:     global_buffer
      - .address_space:  global
        .offset:         8
        .size:           8
        .value_kind:     global_buffer
      - .address_space:  global
        .offset:         16
        .size:           8
        .value_kind:     global_buffer
      - .offset:         24
        .size:           1
        .value_kind:     by_value
    .group_segment_fixed_size: 320
    .kernarg_segment_align: 8
    .kernarg_segment_size: 28
    .language:       OpenCL C
    .language_version:
      - 2
      - 0
    .max_flat_workgroup_size: 256
    .name:           _Z20sort_pairs_segmentedILj256ELj4ELj1EhN10test_utils4lessEEvPKT2_PS2_PKjT3_
    .private_segment_fixed_size: 0
    .sgpr_count:     10
    .sgpr_spill_count: 0
    .symbol:         _Z20sort_pairs_segmentedILj256ELj4ELj1EhN10test_utils4lessEEvPKT2_PS2_PKjT3_.kd
    .uniform_work_group_size: 1
    .uses_dynamic_stack: false
    .vgpr_count:     18
    .vgpr_spill_count: 0
    .wavefront_size: 32
    .workgroup_processor_mode: 1
  - .args:
      - .address_space:  global
        .offset:         0
        .size:           8
        .value_kind:     global_buffer
      - .address_space:  global
        .offset:         8
        .size:           8
        .value_kind:     global_buffer
      - .offset:         16
        .size:           1
        .value_kind:     by_value
    .group_segment_fixed_size: 1088
    .kernarg_segment_align: 8
    .kernarg_segment_size: 20
    .language:       OpenCL C
    .language_version:
      - 2
      - 0
    .max_flat_workgroup_size: 256
    .name:           _Z9sort_keysILj256ELj4ELj4EhN10test_utils4lessEEvPKT2_PS2_T3_
    .private_segment_fixed_size: 0
    .sgpr_count:     14
    .sgpr_spill_count: 0
    .symbol:         _Z9sort_keysILj256ELj4ELj4EhN10test_utils4lessEEvPKT2_PS2_T3_.kd
    .uniform_work_group_size: 1
    .uses_dynamic_stack: false
    .vgpr_count:     18
    .vgpr_spill_count: 0
    .wavefront_size: 32
    .workgroup_processor_mode: 1
  - .args:
      - .address_space:  global
        .offset:         0
        .size:           8
        .value_kind:     global_buffer
      - .address_space:  global
        .offset:         8
        .size:           8
        .value_kind:     global_buffer
      - .offset:         16
        .size:           1
        .value_kind:     by_value
    .group_segment_fixed_size: 1088
    .kernarg_segment_align: 8
    .kernarg_segment_size: 20
    .language:       OpenCL C
    .language_version:
      - 2
      - 0
    .max_flat_workgroup_size: 256
    .name:           _Z10sort_pairsILj256ELj4ELj4EhN10test_utils4lessEEvPKT2_PS2_T3_
    .private_segment_fixed_size: 0
    .sgpr_count:     15
    .sgpr_spill_count: 0
    .symbol:         _Z10sort_pairsILj256ELj4ELj4EhN10test_utils4lessEEvPKT2_PS2_T3_.kd
    .uniform_work_group_size: 1
    .uses_dynamic_stack: false
    .vgpr_count:     26
    .vgpr_spill_count: 0
    .wavefront_size: 32
    .workgroup_processor_mode: 1
  - .args:
      - .address_space:  global
        .offset:         0
        .size:           8
        .value_kind:     global_buffer
      - .address_space:  global
        .offset:         8
        .size:           8
        .value_kind:     global_buffer
      - .address_space:  global
        .offset:         16
        .size:           8
        .value_kind:     global_buffer
      - .offset:         24
        .size:           1
        .value_kind:     by_value
    .group_segment_fixed_size: 1088
    .kernarg_segment_align: 8
    .kernarg_segment_size: 28
    .language:       OpenCL C
    .language_version:
      - 2
      - 0
    .max_flat_workgroup_size: 256
    .name:           _Z19sort_keys_segmentedILj256ELj4ELj4EhN10test_utils4lessEEvPKT2_PS2_PKjT3_
    .private_segment_fixed_size: 0
    .sgpr_count:     14
    .sgpr_spill_count: 0
    .symbol:         _Z19sort_keys_segmentedILj256ELj4ELj4EhN10test_utils4lessEEvPKT2_PS2_PKjT3_.kd
    .uniform_work_group_size: 1
    .uses_dynamic_stack: false
    .vgpr_count:     20
    .vgpr_spill_count: 0
    .wavefront_size: 32
    .workgroup_processor_mode: 1
  - .args:
      - .address_space:  global
        .offset:         0
        .size:           8
        .value_kind:     global_buffer
      - .address_space:  global
        .offset:         8
        .size:           8
        .value_kind:     global_buffer
      - .address_space:  global
        .offset:         16
        .size:           8
        .value_kind:     global_buffer
      - .offset:         24
        .size:           1
        .value_kind:     by_value
    .group_segment_fixed_size: 1088
    .kernarg_segment_align: 8
    .kernarg_segment_size: 28
    .language:       OpenCL C
    .language_version:
      - 2
      - 0
    .max_flat_workgroup_size: 256
    .name:           _Z20sort_pairs_segmentedILj256ELj4ELj4EhN10test_utils4lessEEvPKT2_PS2_PKjT3_
    .private_segment_fixed_size: 0
    .sgpr_count:     14
    .sgpr_spill_count: 0
    .symbol:         _Z20sort_pairs_segmentedILj256ELj4ELj4EhN10test_utils4lessEEvPKT2_PS2_PKjT3_.kd
    .uniform_work_group_size: 1
    .uses_dynamic_stack: false
    .vgpr_count:     26
    .vgpr_spill_count: 0
    .wavefront_size: 32
    .workgroup_processor_mode: 1
  - .args:
      - .address_space:  global
        .offset:         0
        .size:           8
        .value_kind:     global_buffer
      - .address_space:  global
        .offset:         8
        .size:           8
        .value_kind:     global_buffer
      - .offset:         16
        .size:           1
        .value_kind:     by_value
    .group_segment_fixed_size: 2112
    .kernarg_segment_align: 8
    .kernarg_segment_size: 20
    .language:       OpenCL C
    .language_version:
      - 2
      - 0
    .max_flat_workgroup_size: 256
    .name:           _Z9sort_keysILj256ELj4ELj8EhN10test_utils4lessEEvPKT2_PS2_T3_
    .private_segment_fixed_size: 0
    .sgpr_count:     14
    .sgpr_spill_count: 0
    .symbol:         _Z9sort_keysILj256ELj4ELj8EhN10test_utils4lessEEvPKT2_PS2_T3_.kd
    .uniform_work_group_size: 1
    .uses_dynamic_stack: false
    .vgpr_count:     26
    .vgpr_spill_count: 0
    .wavefront_size: 32
    .workgroup_processor_mode: 1
  - .args:
      - .address_space:  global
        .offset:         0
        .size:           8
        .value_kind:     global_buffer
      - .address_space:  global
        .offset:         8
        .size:           8
        .value_kind:     global_buffer
      - .offset:         16
        .size:           1
        .value_kind:     by_value
    .group_segment_fixed_size: 2112
    .kernarg_segment_align: 8
    .kernarg_segment_size: 20
    .language:       OpenCL C
    .language_version:
      - 2
      - 0
    .max_flat_workgroup_size: 256
    .name:           _Z10sort_pairsILj256ELj4ELj8EhN10test_utils4lessEEvPKT2_PS2_T3_
    .private_segment_fixed_size: 0
    .sgpr_count:     43
    .sgpr_spill_count: 0
    .symbol:         _Z10sort_pairsILj256ELj4ELj8EhN10test_utils4lessEEvPKT2_PS2_T3_.kd
    .uniform_work_group_size: 1
    .uses_dynamic_stack: false
    .vgpr_count:     45
    .vgpr_spill_count: 0
    .wavefront_size: 32
    .workgroup_processor_mode: 1
  - .args:
      - .address_space:  global
        .offset:         0
        .size:           8
        .value_kind:     global_buffer
      - .address_space:  global
        .offset:         8
        .size:           8
        .value_kind:     global_buffer
      - .address_space:  global
        .offset:         16
        .size:           8
        .value_kind:     global_buffer
      - .offset:         24
        .size:           1
        .value_kind:     by_value
    .group_segment_fixed_size: 2112
    .kernarg_segment_align: 8
    .kernarg_segment_size: 28
    .language:       OpenCL C
    .language_version:
      - 2
      - 0
    .max_flat_workgroup_size: 256
    .name:           _Z19sort_keys_segmentedILj256ELj4ELj8EhN10test_utils4lessEEvPKT2_PS2_PKjT3_
    .private_segment_fixed_size: 0
    .sgpr_count:     22
    .sgpr_spill_count: 0
    .symbol:         _Z19sort_keys_segmentedILj256ELj4ELj8EhN10test_utils4lessEEvPKT2_PS2_PKjT3_.kd
    .uniform_work_group_size: 1
    .uses_dynamic_stack: false
    .vgpr_count:     27
    .vgpr_spill_count: 0
    .wavefront_size: 32
    .workgroup_processor_mode: 1
  - .args:
      - .address_space:  global
        .offset:         0
        .size:           8
        .value_kind:     global_buffer
      - .address_space:  global
        .offset:         8
        .size:           8
        .value_kind:     global_buffer
      - .address_space:  global
        .offset:         16
        .size:           8
        .value_kind:     global_buffer
      - .offset:         24
        .size:           1
        .value_kind:     by_value
    .group_segment_fixed_size: 2112
    .kernarg_segment_align: 8
    .kernarg_segment_size: 28
    .language:       OpenCL C
    .language_version:
      - 2
      - 0
    .max_flat_workgroup_size: 256
    .name:           _Z20sort_pairs_segmentedILj256ELj4ELj8EhN10test_utils4lessEEvPKT2_PS2_PKjT3_
    .private_segment_fixed_size: 0
    .sgpr_count:     22
    .sgpr_spill_count: 0
    .symbol:         _Z20sort_pairs_segmentedILj256ELj4ELj8EhN10test_utils4lessEEvPKT2_PS2_PKjT3_.kd
    .uniform_work_group_size: 1
    .uses_dynamic_stack: false
    .vgpr_count:     46
    .vgpr_spill_count: 0
    .wavefront_size: 32
    .workgroup_processor_mode: 1
  - .args:
      - .address_space:  global
        .offset:         0
        .size:           8
        .value_kind:     global_buffer
      - .address_space:  global
        .offset:         8
        .size:           8
        .value_kind:     global_buffer
      - .offset:         16
        .size:           1
        .value_kind:     by_value
    .group_segment_fixed_size: 272
    .kernarg_segment_align: 8
    .kernarg_segment_size: 20
    .language:       OpenCL C
    .language_version:
      - 2
      - 0
    .max_flat_workgroup_size: 256
    .name:           _Z9sort_keysILj256ELj16ELj1EhN10test_utils4lessEEvPKT2_PS2_T3_
    .private_segment_fixed_size: 0
    .sgpr_count:     9
    .sgpr_spill_count: 0
    .symbol:         _Z9sort_keysILj256ELj16ELj1EhN10test_utils4lessEEvPKT2_PS2_T3_.kd
    .uniform_work_group_size: 1
    .uses_dynamic_stack: false
    .vgpr_count:     16
    .vgpr_spill_count: 0
    .wavefront_size: 32
    .workgroup_processor_mode: 1
  - .args:
      - .address_space:  global
        .offset:         0
        .size:           8
        .value_kind:     global_buffer
      - .address_space:  global
        .offset:         8
        .size:           8
        .value_kind:     global_buffer
      - .offset:         16
        .size:           1
        .value_kind:     by_value
    .group_segment_fixed_size: 272
    .kernarg_segment_align: 8
    .kernarg_segment_size: 20
    .language:       OpenCL C
    .language_version:
      - 2
      - 0
    .max_flat_workgroup_size: 256
    .name:           _Z10sort_pairsILj256ELj16ELj1EhN10test_utils4lessEEvPKT2_PS2_T3_
    .private_segment_fixed_size: 0
    .sgpr_count:     9
    .sgpr_spill_count: 0
    .symbol:         _Z10sort_pairsILj256ELj16ELj1EhN10test_utils4lessEEvPKT2_PS2_T3_.kd
    .uniform_work_group_size: 1
    .uses_dynamic_stack: false
    .vgpr_count:     17
    .vgpr_spill_count: 0
    .wavefront_size: 32
    .workgroup_processor_mode: 1
  - .args:
      - .address_space:  global
        .offset:         0
        .size:           8
        .value_kind:     global_buffer
      - .address_space:  global
        .offset:         8
        .size:           8
        .value_kind:     global_buffer
      - .address_space:  global
        .offset:         16
        .size:           8
        .value_kind:     global_buffer
      - .offset:         24
        .size:           1
        .value_kind:     by_value
    .group_segment_fixed_size: 272
    .kernarg_segment_align: 8
    .kernarg_segment_size: 28
    .language:       OpenCL C
    .language_version:
      - 2
      - 0
    .max_flat_workgroup_size: 256
    .name:           _Z19sort_keys_segmentedILj256ELj16ELj1EhN10test_utils4lessEEvPKT2_PS2_PKjT3_
    .private_segment_fixed_size: 0
    .sgpr_count:     10
    .sgpr_spill_count: 0
    .symbol:         _Z19sort_keys_segmentedILj256ELj16ELj1EhN10test_utils4lessEEvPKT2_PS2_PKjT3_.kd
    .uniform_work_group_size: 1
    .uses_dynamic_stack: false
    .vgpr_count:     19
    .vgpr_spill_count: 0
    .wavefront_size: 32
    .workgroup_processor_mode: 1
  - .args:
      - .address_space:  global
        .offset:         0
        .size:           8
        .value_kind:     global_buffer
      - .address_space:  global
        .offset:         8
        .size:           8
        .value_kind:     global_buffer
      - .address_space:  global
        .offset:         16
        .size:           8
        .value_kind:     global_buffer
      - .offset:         24
        .size:           1
        .value_kind:     by_value
    .group_segment_fixed_size: 272
    .kernarg_segment_align: 8
    .kernarg_segment_size: 28
    .language:       OpenCL C
    .language_version:
      - 2
      - 0
    .max_flat_workgroup_size: 256
    .name:           _Z20sort_pairs_segmentedILj256ELj16ELj1EhN10test_utils4lessEEvPKT2_PS2_PKjT3_
    .private_segment_fixed_size: 0
    .sgpr_count:     10
    .sgpr_spill_count: 0
    .symbol:         _Z20sort_pairs_segmentedILj256ELj16ELj1EhN10test_utils4lessEEvPKT2_PS2_PKjT3_.kd
    .uniform_work_group_size: 1
    .uses_dynamic_stack: false
    .vgpr_count:     20
    .vgpr_spill_count: 0
    .wavefront_size: 32
    .workgroup_processor_mode: 1
  - .args:
      - .address_space:  global
        .offset:         0
        .size:           8
        .value_kind:     global_buffer
      - .address_space:  global
        .offset:         8
        .size:           8
        .value_kind:     global_buffer
      - .offset:         16
        .size:           1
        .value_kind:     by_value
    .group_segment_fixed_size: 1040
    .kernarg_segment_align: 8
    .kernarg_segment_size: 20
    .language:       OpenCL C
    .language_version:
      - 2
      - 0
    .max_flat_workgroup_size: 256
    .name:           _Z9sort_keysILj256ELj16ELj4EhN10test_utils4lessEEvPKT2_PS2_T3_
    .private_segment_fixed_size: 0
    .sgpr_count:     14
    .sgpr_spill_count: 0
    .symbol:         _Z9sort_keysILj256ELj16ELj4EhN10test_utils4lessEEvPKT2_PS2_T3_.kd
    .uniform_work_group_size: 1
    .uses_dynamic_stack: false
    .vgpr_count:     19
    .vgpr_spill_count: 0
    .wavefront_size: 32
    .workgroup_processor_mode: 1
  - .args:
      - .address_space:  global
        .offset:         0
        .size:           8
        .value_kind:     global_buffer
      - .address_space:  global
        .offset:         8
        .size:           8
        .value_kind:     global_buffer
      - .offset:         16
        .size:           1
        .value_kind:     by_value
    .group_segment_fixed_size: 1040
    .kernarg_segment_align: 8
    .kernarg_segment_size: 20
    .language:       OpenCL C
    .language_version:
      - 2
      - 0
    .max_flat_workgroup_size: 256
    .name:           _Z10sort_pairsILj256ELj16ELj4EhN10test_utils4lessEEvPKT2_PS2_T3_
    .private_segment_fixed_size: 0
    .sgpr_count:     15
    .sgpr_spill_count: 0
    .symbol:         _Z10sort_pairsILj256ELj16ELj4EhN10test_utils4lessEEvPKT2_PS2_T3_.kd
    .uniform_work_group_size: 1
    .uses_dynamic_stack: false
    .vgpr_count:     28
    .vgpr_spill_count: 0
    .wavefront_size: 32
    .workgroup_processor_mode: 1
  - .args:
      - .address_space:  global
        .offset:         0
        .size:           8
        .value_kind:     global_buffer
      - .address_space:  global
        .offset:         8
        .size:           8
        .value_kind:     global_buffer
      - .address_space:  global
        .offset:         16
        .size:           8
        .value_kind:     global_buffer
      - .offset:         24
        .size:           1
        .value_kind:     by_value
    .group_segment_fixed_size: 1040
    .kernarg_segment_align: 8
    .kernarg_segment_size: 28
    .language:       OpenCL C
    .language_version:
      - 2
      - 0
    .max_flat_workgroup_size: 256
    .name:           _Z19sort_keys_segmentedILj256ELj16ELj4EhN10test_utils4lessEEvPKT2_PS2_PKjT3_
    .private_segment_fixed_size: 0
    .sgpr_count:     14
    .sgpr_spill_count: 0
    .symbol:         _Z19sort_keys_segmentedILj256ELj16ELj4EhN10test_utils4lessEEvPKT2_PS2_PKjT3_.kd
    .uniform_work_group_size: 1
    .uses_dynamic_stack: false
    .vgpr_count:     22
    .vgpr_spill_count: 0
    .wavefront_size: 32
    .workgroup_processor_mode: 1
  - .args:
      - .address_space:  global
        .offset:         0
        .size:           8
        .value_kind:     global_buffer
      - .address_space:  global
        .offset:         8
        .size:           8
        .value_kind:     global_buffer
      - .address_space:  global
        .offset:         16
        .size:           8
        .value_kind:     global_buffer
      - .offset:         24
        .size:           1
        .value_kind:     by_value
    .group_segment_fixed_size: 1040
    .kernarg_segment_align: 8
    .kernarg_segment_size: 28
    .language:       OpenCL C
    .language_version:
      - 2
      - 0
    .max_flat_workgroup_size: 256
    .name:           _Z20sort_pairs_segmentedILj256ELj16ELj4EhN10test_utils4lessEEvPKT2_PS2_PKjT3_
    .private_segment_fixed_size: 0
    .sgpr_count:     14
    .sgpr_spill_count: 0
    .symbol:         _Z20sort_pairs_segmentedILj256ELj16ELj4EhN10test_utils4lessEEvPKT2_PS2_PKjT3_.kd
    .uniform_work_group_size: 1
    .uses_dynamic_stack: false
    .vgpr_count:     30
    .vgpr_spill_count: 0
    .wavefront_size: 32
    .workgroup_processor_mode: 1
  - .args:
      - .address_space:  global
        .offset:         0
        .size:           8
        .value_kind:     global_buffer
      - .address_space:  global
        .offset:         8
        .size:           8
        .value_kind:     global_buffer
      - .offset:         16
        .size:           1
        .value_kind:     by_value
    .group_segment_fixed_size: 2064
    .kernarg_segment_align: 8
    .kernarg_segment_size: 20
    .language:       OpenCL C
    .language_version:
      - 2
      - 0
    .max_flat_workgroup_size: 256
    .name:           _Z9sort_keysILj256ELj16ELj8EhN10test_utils4lessEEvPKT2_PS2_T3_
    .private_segment_fixed_size: 0
    .sgpr_count:     14
    .sgpr_spill_count: 0
    .symbol:         _Z9sort_keysILj256ELj16ELj8EhN10test_utils4lessEEvPKT2_PS2_T3_.kd
    .uniform_work_group_size: 1
    .uses_dynamic_stack: false
    .vgpr_count:     27
    .vgpr_spill_count: 0
    .wavefront_size: 32
    .workgroup_processor_mode: 1
  - .args:
      - .address_space:  global
        .offset:         0
        .size:           8
        .value_kind:     global_buffer
      - .address_space:  global
        .offset:         8
        .size:           8
        .value_kind:     global_buffer
      - .offset:         16
        .size:           1
        .value_kind:     by_value
    .group_segment_fixed_size: 2064
    .kernarg_segment_align: 8
    .kernarg_segment_size: 20
    .language:       OpenCL C
    .language_version:
      - 2
      - 0
    .max_flat_workgroup_size: 256
    .name:           _Z10sort_pairsILj256ELj16ELj8EhN10test_utils4lessEEvPKT2_PS2_T3_
    .private_segment_fixed_size: 0
    .sgpr_count:     43
    .sgpr_spill_count: 0
    .symbol:         _Z10sort_pairsILj256ELj16ELj8EhN10test_utils4lessEEvPKT2_PS2_T3_.kd
    .uniform_work_group_size: 1
    .uses_dynamic_stack: false
    .vgpr_count:     47
    .vgpr_spill_count: 0
    .wavefront_size: 32
    .workgroup_processor_mode: 1
  - .args:
      - .address_space:  global
        .offset:         0
        .size:           8
        .value_kind:     global_buffer
      - .address_space:  global
        .offset:         8
        .size:           8
        .value_kind:     global_buffer
      - .address_space:  global
        .offset:         16
        .size:           8
        .value_kind:     global_buffer
      - .offset:         24
        .size:           1
        .value_kind:     by_value
    .group_segment_fixed_size: 2064
    .kernarg_segment_align: 8
    .kernarg_segment_size: 28
    .language:       OpenCL C
    .language_version:
      - 2
      - 0
    .max_flat_workgroup_size: 256
    .name:           _Z19sort_keys_segmentedILj256ELj16ELj8EhN10test_utils4lessEEvPKT2_PS2_PKjT3_
    .private_segment_fixed_size: 0
    .sgpr_count:     22
    .sgpr_spill_count: 0
    .symbol:         _Z19sort_keys_segmentedILj256ELj16ELj8EhN10test_utils4lessEEvPKT2_PS2_PKjT3_.kd
    .uniform_work_group_size: 1
    .uses_dynamic_stack: false
    .vgpr_count:     28
    .vgpr_spill_count: 0
    .wavefront_size: 32
    .workgroup_processor_mode: 1
  - .args:
      - .address_space:  global
        .offset:         0
        .size:           8
        .value_kind:     global_buffer
      - .address_space:  global
        .offset:         8
        .size:           8
        .value_kind:     global_buffer
      - .address_space:  global
        .offset:         16
        .size:           8
        .value_kind:     global_buffer
      - .offset:         24
        .size:           1
        .value_kind:     by_value
    .group_segment_fixed_size: 2064
    .kernarg_segment_align: 8
    .kernarg_segment_size: 28
    .language:       OpenCL C
    .language_version:
      - 2
      - 0
    .max_flat_workgroup_size: 256
    .name:           _Z20sort_pairs_segmentedILj256ELj16ELj8EhN10test_utils4lessEEvPKT2_PS2_PKjT3_
    .private_segment_fixed_size: 0
    .sgpr_count:     22
    .sgpr_spill_count: 0
    .symbol:         _Z20sort_pairs_segmentedILj256ELj16ELj8EhN10test_utils4lessEEvPKT2_PS2_PKjT3_.kd
    .uniform_work_group_size: 1
    .uses_dynamic_stack: false
    .vgpr_count:     48
    .vgpr_spill_count: 0
    .wavefront_size: 32
    .workgroup_processor_mode: 1
  - .args:
      - .address_space:  global
        .offset:         0
        .size:           8
        .value_kind:     global_buffer
      - .address_space:  global
        .offset:         8
        .size:           8
        .value_kind:     global_buffer
      - .offset:         16
        .size:           1
        .value_kind:     by_value
    .group_segment_fixed_size: 264
    .kernarg_segment_align: 8
    .kernarg_segment_size: 20
    .language:       OpenCL C
    .language_version:
      - 2
      - 0
    .max_flat_workgroup_size: 256
    .name:           _Z9sort_keysILj256ELj32ELj1EhN10test_utils4lessEEvPKT2_PS2_T3_
    .private_segment_fixed_size: 0
    .sgpr_count:     9
    .sgpr_spill_count: 0
    .symbol:         _Z9sort_keysILj256ELj32ELj1EhN10test_utils4lessEEvPKT2_PS2_T3_.kd
    .uniform_work_group_size: 1
    .uses_dynamic_stack: false
    .vgpr_count:     15
    .vgpr_spill_count: 0
    .wavefront_size: 32
    .workgroup_processor_mode: 1
  - .args:
      - .address_space:  global
        .offset:         0
        .size:           8
        .value_kind:     global_buffer
      - .address_space:  global
        .offset:         8
        .size:           8
        .value_kind:     global_buffer
      - .offset:         16
        .size:           1
        .value_kind:     by_value
    .group_segment_fixed_size: 264
    .kernarg_segment_align: 8
    .kernarg_segment_size: 20
    .language:       OpenCL C
    .language_version:
      - 2
      - 0
    .max_flat_workgroup_size: 256
    .name:           _Z10sort_pairsILj256ELj32ELj1EhN10test_utils4lessEEvPKT2_PS2_T3_
    .private_segment_fixed_size: 0
    .sgpr_count:     9
    .sgpr_spill_count: 0
    .symbol:         _Z10sort_pairsILj256ELj32ELj1EhN10test_utils4lessEEvPKT2_PS2_T3_.kd
    .uniform_work_group_size: 1
    .uses_dynamic_stack: false
    .vgpr_count:     16
    .vgpr_spill_count: 0
    .wavefront_size: 32
    .workgroup_processor_mode: 1
  - .args:
      - .address_space:  global
        .offset:         0
        .size:           8
        .value_kind:     global_buffer
      - .address_space:  global
        .offset:         8
        .size:           8
        .value_kind:     global_buffer
      - .address_space:  global
        .offset:         16
        .size:           8
        .value_kind:     global_buffer
      - .offset:         24
        .size:           1
        .value_kind:     by_value
    .group_segment_fixed_size: 264
    .kernarg_segment_align: 8
    .kernarg_segment_size: 28
    .language:       OpenCL C
    .language_version:
      - 2
      - 0
    .max_flat_workgroup_size: 256
    .name:           _Z19sort_keys_segmentedILj256ELj32ELj1EhN10test_utils4lessEEvPKT2_PS2_PKjT3_
    .private_segment_fixed_size: 0
    .sgpr_count:     10
    .sgpr_spill_count: 0
    .symbol:         _Z19sort_keys_segmentedILj256ELj32ELj1EhN10test_utils4lessEEvPKT2_PS2_PKjT3_.kd
    .uniform_work_group_size: 1
    .uses_dynamic_stack: false
    .vgpr_count:     18
    .vgpr_spill_count: 0
    .wavefront_size: 32
    .workgroup_processor_mode: 1
  - .args:
      - .address_space:  global
        .offset:         0
        .size:           8
        .value_kind:     global_buffer
      - .address_space:  global
        .offset:         8
        .size:           8
        .value_kind:     global_buffer
      - .address_space:  global
        .offset:         16
        .size:           8
        .value_kind:     global_buffer
      - .offset:         24
        .size:           1
        .value_kind:     by_value
    .group_segment_fixed_size: 264
    .kernarg_segment_align: 8
    .kernarg_segment_size: 28
    .language:       OpenCL C
    .language_version:
      - 2
      - 0
    .max_flat_workgroup_size: 256
    .name:           _Z20sort_pairs_segmentedILj256ELj32ELj1EhN10test_utils4lessEEvPKT2_PS2_PKjT3_
    .private_segment_fixed_size: 0
    .sgpr_count:     10
    .sgpr_spill_count: 0
    .symbol:         _Z20sort_pairs_segmentedILj256ELj32ELj1EhN10test_utils4lessEEvPKT2_PS2_PKjT3_.kd
    .uniform_work_group_size: 1
    .uses_dynamic_stack: false
    .vgpr_count:     19
    .vgpr_spill_count: 0
    .wavefront_size: 32
    .workgroup_processor_mode: 1
  - .args:
      - .address_space:  global
        .offset:         0
        .size:           8
        .value_kind:     global_buffer
      - .address_space:  global
        .offset:         8
        .size:           8
        .value_kind:     global_buffer
      - .offset:         16
        .size:           1
        .value_kind:     by_value
    .group_segment_fixed_size: 1032
    .kernarg_segment_align: 8
    .kernarg_segment_size: 20
    .language:       OpenCL C
    .language_version:
      - 2
      - 0
    .max_flat_workgroup_size: 256
    .name:           _Z9sort_keysILj256ELj32ELj4EhN10test_utils4lessEEvPKT2_PS2_T3_
    .private_segment_fixed_size: 0
    .sgpr_count:     14
    .sgpr_spill_count: 0
    .symbol:         _Z9sort_keysILj256ELj32ELj4EhN10test_utils4lessEEvPKT2_PS2_T3_.kd
    .uniform_work_group_size: 1
    .uses_dynamic_stack: false
    .vgpr_count:     18
    .vgpr_spill_count: 0
    .wavefront_size: 32
    .workgroup_processor_mode: 1
  - .args:
      - .address_space:  global
        .offset:         0
        .size:           8
        .value_kind:     global_buffer
      - .address_space:  global
        .offset:         8
        .size:           8
        .value_kind:     global_buffer
      - .offset:         16
        .size:           1
        .value_kind:     by_value
    .group_segment_fixed_size: 1032
    .kernarg_segment_align: 8
    .kernarg_segment_size: 20
    .language:       OpenCL C
    .language_version:
      - 2
      - 0
    .max_flat_workgroup_size: 256
    .name:           _Z10sort_pairsILj256ELj32ELj4EhN10test_utils4lessEEvPKT2_PS2_T3_
    .private_segment_fixed_size: 0
    .sgpr_count:     15
    .sgpr_spill_count: 0
    .symbol:         _Z10sort_pairsILj256ELj32ELj4EhN10test_utils4lessEEvPKT2_PS2_T3_.kd
    .uniform_work_group_size: 1
    .uses_dynamic_stack: false
    .vgpr_count:     27
    .vgpr_spill_count: 0
    .wavefront_size: 32
    .workgroup_processor_mode: 1
  - .args:
      - .address_space:  global
        .offset:         0
        .size:           8
        .value_kind:     global_buffer
      - .address_space:  global
        .offset:         8
        .size:           8
        .value_kind:     global_buffer
      - .address_space:  global
        .offset:         16
        .size:           8
        .value_kind:     global_buffer
      - .offset:         24
        .size:           1
        .value_kind:     by_value
    .group_segment_fixed_size: 1032
    .kernarg_segment_align: 8
    .kernarg_segment_size: 28
    .language:       OpenCL C
    .language_version:
      - 2
      - 0
    .max_flat_workgroup_size: 256
    .name:           _Z19sort_keys_segmentedILj256ELj32ELj4EhN10test_utils4lessEEvPKT2_PS2_PKjT3_
    .private_segment_fixed_size: 0
    .sgpr_count:     14
    .sgpr_spill_count: 0
    .symbol:         _Z19sort_keys_segmentedILj256ELj32ELj4EhN10test_utils4lessEEvPKT2_PS2_PKjT3_.kd
    .uniform_work_group_size: 1
    .uses_dynamic_stack: false
    .vgpr_count:     22
    .vgpr_spill_count: 0
    .wavefront_size: 32
    .workgroup_processor_mode: 1
  - .args:
      - .address_space:  global
        .offset:         0
        .size:           8
        .value_kind:     global_buffer
      - .address_space:  global
        .offset:         8
        .size:           8
        .value_kind:     global_buffer
      - .address_space:  global
        .offset:         16
        .size:           8
        .value_kind:     global_buffer
      - .offset:         24
        .size:           1
        .value_kind:     by_value
    .group_segment_fixed_size: 1032
    .kernarg_segment_align: 8
    .kernarg_segment_size: 28
    .language:       OpenCL C
    .language_version:
      - 2
      - 0
    .max_flat_workgroup_size: 256
    .name:           _Z20sort_pairs_segmentedILj256ELj32ELj4EhN10test_utils4lessEEvPKT2_PS2_PKjT3_
    .private_segment_fixed_size: 0
    .sgpr_count:     14
    .sgpr_spill_count: 0
    .symbol:         _Z20sort_pairs_segmentedILj256ELj32ELj4EhN10test_utils4lessEEvPKT2_PS2_PKjT3_.kd
    .uniform_work_group_size: 1
    .uses_dynamic_stack: false
    .vgpr_count:     29
    .vgpr_spill_count: 0
    .wavefront_size: 32
    .workgroup_processor_mode: 1
  - .args:
      - .address_space:  global
        .offset:         0
        .size:           8
        .value_kind:     global_buffer
      - .address_space:  global
        .offset:         8
        .size:           8
        .value_kind:     global_buffer
      - .offset:         16
        .size:           1
        .value_kind:     by_value
    .group_segment_fixed_size: 2056
    .kernarg_segment_align: 8
    .kernarg_segment_size: 20
    .language:       OpenCL C
    .language_version:
      - 2
      - 0
    .max_flat_workgroup_size: 256
    .name:           _Z9sort_keysILj256ELj32ELj8EhN10test_utils4lessEEvPKT2_PS2_T3_
    .private_segment_fixed_size: 0
    .sgpr_count:     14
    .sgpr_spill_count: 0
    .symbol:         _Z9sort_keysILj256ELj32ELj8EhN10test_utils4lessEEvPKT2_PS2_T3_.kd
    .uniform_work_group_size: 1
    .uses_dynamic_stack: false
    .vgpr_count:     26
    .vgpr_spill_count: 0
    .wavefront_size: 32
    .workgroup_processor_mode: 1
  - .args:
      - .address_space:  global
        .offset:         0
        .size:           8
        .value_kind:     global_buffer
      - .address_space:  global
        .offset:         8
        .size:           8
        .value_kind:     global_buffer
      - .offset:         16
        .size:           1
        .value_kind:     by_value
    .group_segment_fixed_size: 2056
    .kernarg_segment_align: 8
    .kernarg_segment_size: 20
    .language:       OpenCL C
    .language_version:
      - 2
      - 0
    .max_flat_workgroup_size: 256
    .name:           _Z10sort_pairsILj256ELj32ELj8EhN10test_utils4lessEEvPKT2_PS2_T3_
    .private_segment_fixed_size: 0
    .sgpr_count:     43
    .sgpr_spill_count: 0
    .symbol:         _Z10sort_pairsILj256ELj32ELj8EhN10test_utils4lessEEvPKT2_PS2_T3_.kd
    .uniform_work_group_size: 1
    .uses_dynamic_stack: false
    .vgpr_count:     46
    .vgpr_spill_count: 0
    .wavefront_size: 32
    .workgroup_processor_mode: 1
  - .args:
      - .address_space:  global
        .offset:         0
        .size:           8
        .value_kind:     global_buffer
      - .address_space:  global
        .offset:         8
        .size:           8
        .value_kind:     global_buffer
      - .address_space:  global
        .offset:         16
        .size:           8
        .value_kind:     global_buffer
      - .offset:         24
        .size:           1
        .value_kind:     by_value
    .group_segment_fixed_size: 2056
    .kernarg_segment_align: 8
    .kernarg_segment_size: 28
    .language:       OpenCL C
    .language_version:
      - 2
      - 0
    .max_flat_workgroup_size: 256
    .name:           _Z19sort_keys_segmentedILj256ELj32ELj8EhN10test_utils4lessEEvPKT2_PS2_PKjT3_
    .private_segment_fixed_size: 0
    .sgpr_count:     22
    .sgpr_spill_count: 0
    .symbol:         _Z19sort_keys_segmentedILj256ELj32ELj8EhN10test_utils4lessEEvPKT2_PS2_PKjT3_.kd
    .uniform_work_group_size: 1
    .uses_dynamic_stack: false
    .vgpr_count:     28
    .vgpr_spill_count: 0
    .wavefront_size: 32
    .workgroup_processor_mode: 1
  - .args:
      - .address_space:  global
        .offset:         0
        .size:           8
        .value_kind:     global_buffer
      - .address_space:  global
        .offset:         8
        .size:           8
        .value_kind:     global_buffer
      - .address_space:  global
        .offset:         16
        .size:           8
        .value_kind:     global_buffer
      - .offset:         24
        .size:           1
        .value_kind:     by_value
    .group_segment_fixed_size: 2056
    .kernarg_segment_align: 8
    .kernarg_segment_size: 28
    .language:       OpenCL C
    .language_version:
      - 2
      - 0
    .max_flat_workgroup_size: 256
    .name:           _Z20sort_pairs_segmentedILj256ELj32ELj8EhN10test_utils4lessEEvPKT2_PS2_PKjT3_
    .private_segment_fixed_size: 0
    .sgpr_count:     22
    .sgpr_spill_count: 0
    .symbol:         _Z20sort_pairs_segmentedILj256ELj32ELj8EhN10test_utils4lessEEvPKT2_PS2_PKjT3_.kd
    .uniform_work_group_size: 1
    .uses_dynamic_stack: false
    .vgpr_count:     47
    .vgpr_spill_count: 0
    .wavefront_size: 32
    .workgroup_processor_mode: 1
  - .args:
      - .address_space:  global
        .offset:         0
        .size:           8
        .value_kind:     global_buffer
      - .address_space:  global
        .offset:         8
        .size:           8
        .value_kind:     global_buffer
      - .offset:         16
        .size:           1
        .value_kind:     by_value
    .group_segment_fixed_size: 260
    .kernarg_segment_align: 8
    .kernarg_segment_size: 20
    .language:       OpenCL C
    .language_version:
      - 2
      - 0
    .max_flat_workgroup_size: 256
    .name:           _Z9sort_keysILj256ELj64ELj1EhN10test_utils4lessEEvPKT2_PS2_T3_
    .private_segment_fixed_size: 0
    .sgpr_count:     9
    .sgpr_spill_count: 0
    .symbol:         _Z9sort_keysILj256ELj64ELj1EhN10test_utils4lessEEvPKT2_PS2_T3_.kd
    .uniform_work_group_size: 1
    .uses_dynamic_stack: false
    .vgpr_count:     16
    .vgpr_spill_count: 0
    .wavefront_size: 32
    .workgroup_processor_mode: 1
  - .args:
      - .address_space:  global
        .offset:         0
        .size:           8
        .value_kind:     global_buffer
      - .address_space:  global
        .offset:         8
        .size:           8
        .value_kind:     global_buffer
      - .offset:         16
        .size:           1
        .value_kind:     by_value
    .group_segment_fixed_size: 260
    .kernarg_segment_align: 8
    .kernarg_segment_size: 20
    .language:       OpenCL C
    .language_version:
      - 2
      - 0
    .max_flat_workgroup_size: 256
    .name:           _Z10sort_pairsILj256ELj64ELj1EhN10test_utils4lessEEvPKT2_PS2_T3_
    .private_segment_fixed_size: 0
    .sgpr_count:     9
    .sgpr_spill_count: 0
    .symbol:         _Z10sort_pairsILj256ELj64ELj1EhN10test_utils4lessEEvPKT2_PS2_T3_.kd
    .uniform_work_group_size: 1
    .uses_dynamic_stack: false
    .vgpr_count:     17
    .vgpr_spill_count: 0
    .wavefront_size: 32
    .workgroup_processor_mode: 1
  - .args:
      - .address_space:  global
        .offset:         0
        .size:           8
        .value_kind:     global_buffer
      - .address_space:  global
        .offset:         8
        .size:           8
        .value_kind:     global_buffer
      - .address_space:  global
        .offset:         16
        .size:           8
        .value_kind:     global_buffer
      - .offset:         24
        .size:           1
        .value_kind:     by_value
    .group_segment_fixed_size: 260
    .kernarg_segment_align: 8
    .kernarg_segment_size: 28
    .language:       OpenCL C
    .language_version:
      - 2
      - 0
    .max_flat_workgroup_size: 256
    .name:           _Z19sort_keys_segmentedILj256ELj64ELj1EhN10test_utils4lessEEvPKT2_PS2_PKjT3_
    .private_segment_fixed_size: 0
    .sgpr_count:     9
    .sgpr_spill_count: 0
    .symbol:         _Z19sort_keys_segmentedILj256ELj64ELj1EhN10test_utils4lessEEvPKT2_PS2_PKjT3_.kd
    .uniform_work_group_size: 1
    .uses_dynamic_stack: false
    .vgpr_count:     17
    .vgpr_spill_count: 0
    .wavefront_size: 32
    .workgroup_processor_mode: 1
  - .args:
      - .address_space:  global
        .offset:         0
        .size:           8
        .value_kind:     global_buffer
      - .address_space:  global
        .offset:         8
        .size:           8
        .value_kind:     global_buffer
      - .address_space:  global
        .offset:         16
        .size:           8
        .value_kind:     global_buffer
      - .offset:         24
        .size:           1
        .value_kind:     by_value
    .group_segment_fixed_size: 260
    .kernarg_segment_align: 8
    .kernarg_segment_size: 28
    .language:       OpenCL C
    .language_version:
      - 2
      - 0
    .max_flat_workgroup_size: 256
    .name:           _Z20sort_pairs_segmentedILj256ELj64ELj1EhN10test_utils4lessEEvPKT2_PS2_PKjT3_
    .private_segment_fixed_size: 0
    .sgpr_count:     9
    .sgpr_spill_count: 0
    .symbol:         _Z20sort_pairs_segmentedILj256ELj64ELj1EhN10test_utils4lessEEvPKT2_PS2_PKjT3_.kd
    .uniform_work_group_size: 1
    .uses_dynamic_stack: false
    .vgpr_count:     18
    .vgpr_spill_count: 0
    .wavefront_size: 32
    .workgroup_processor_mode: 1
  - .args:
      - .address_space:  global
        .offset:         0
        .size:           8
        .value_kind:     global_buffer
      - .address_space:  global
        .offset:         8
        .size:           8
        .value_kind:     global_buffer
      - .offset:         16
        .size:           1
        .value_kind:     by_value
    .group_segment_fixed_size: 1028
    .kernarg_segment_align: 8
    .kernarg_segment_size: 20
    .language:       OpenCL C
    .language_version:
      - 2
      - 0
    .max_flat_workgroup_size: 256
    .name:           _Z9sort_keysILj256ELj64ELj4EhN10test_utils4lessEEvPKT2_PS2_T3_
    .private_segment_fixed_size: 0
    .sgpr_count:     14
    .sgpr_spill_count: 0
    .symbol:         _Z9sort_keysILj256ELj64ELj4EhN10test_utils4lessEEvPKT2_PS2_T3_.kd
    .uniform_work_group_size: 1
    .uses_dynamic_stack: false
    .vgpr_count:     19
    .vgpr_spill_count: 0
    .wavefront_size: 32
    .workgroup_processor_mode: 1
  - .args:
      - .address_space:  global
        .offset:         0
        .size:           8
        .value_kind:     global_buffer
      - .address_space:  global
        .offset:         8
        .size:           8
        .value_kind:     global_buffer
      - .offset:         16
        .size:           1
        .value_kind:     by_value
    .group_segment_fixed_size: 1028
    .kernarg_segment_align: 8
    .kernarg_segment_size: 20
    .language:       OpenCL C
    .language_version:
      - 2
      - 0
    .max_flat_workgroup_size: 256
    .name:           _Z10sort_pairsILj256ELj64ELj4EhN10test_utils4lessEEvPKT2_PS2_T3_
    .private_segment_fixed_size: 0
    .sgpr_count:     15
    .sgpr_spill_count: 0
    .symbol:         _Z10sort_pairsILj256ELj64ELj4EhN10test_utils4lessEEvPKT2_PS2_T3_.kd
    .uniform_work_group_size: 1
    .uses_dynamic_stack: false
    .vgpr_count:     27
    .vgpr_spill_count: 0
    .wavefront_size: 32
    .workgroup_processor_mode: 1
  - .args:
      - .address_space:  global
        .offset:         0
        .size:           8
        .value_kind:     global_buffer
      - .address_space:  global
        .offset:         8
        .size:           8
        .value_kind:     global_buffer
      - .address_space:  global
        .offset:         16
        .size:           8
        .value_kind:     global_buffer
      - .offset:         24
        .size:           1
        .value_kind:     by_value
    .group_segment_fixed_size: 1028
    .kernarg_segment_align: 8
    .kernarg_segment_size: 28
    .language:       OpenCL C
    .language_version:
      - 2
      - 0
    .max_flat_workgroup_size: 256
    .name:           _Z19sort_keys_segmentedILj256ELj64ELj4EhN10test_utils4lessEEvPKT2_PS2_PKjT3_
    .private_segment_fixed_size: 0
    .sgpr_count:     14
    .sgpr_spill_count: 0
    .symbol:         _Z19sort_keys_segmentedILj256ELj64ELj4EhN10test_utils4lessEEvPKT2_PS2_PKjT3_.kd
    .uniform_work_group_size: 1
    .uses_dynamic_stack: false
    .vgpr_count:     23
    .vgpr_spill_count: 0
    .wavefront_size: 32
    .workgroup_processor_mode: 1
  - .args:
      - .address_space:  global
        .offset:         0
        .size:           8
        .value_kind:     global_buffer
      - .address_space:  global
        .offset:         8
        .size:           8
        .value_kind:     global_buffer
      - .address_space:  global
        .offset:         16
        .size:           8
        .value_kind:     global_buffer
      - .offset:         24
        .size:           1
        .value_kind:     by_value
    .group_segment_fixed_size: 1028
    .kernarg_segment_align: 8
    .kernarg_segment_size: 28
    .language:       OpenCL C
    .language_version:
      - 2
      - 0
    .max_flat_workgroup_size: 256
    .name:           _Z20sort_pairs_segmentedILj256ELj64ELj4EhN10test_utils4lessEEvPKT2_PS2_PKjT3_
    .private_segment_fixed_size: 0
    .sgpr_count:     14
    .sgpr_spill_count: 0
    .symbol:         _Z20sort_pairs_segmentedILj256ELj64ELj4EhN10test_utils4lessEEvPKT2_PS2_PKjT3_.kd
    .uniform_work_group_size: 1
    .uses_dynamic_stack: false
    .vgpr_count:     30
    .vgpr_spill_count: 0
    .wavefront_size: 32
    .workgroup_processor_mode: 1
  - .args:
      - .address_space:  global
        .offset:         0
        .size:           8
        .value_kind:     global_buffer
      - .address_space:  global
        .offset:         8
        .size:           8
        .value_kind:     global_buffer
      - .offset:         16
        .size:           1
        .value_kind:     by_value
    .group_segment_fixed_size: 2052
    .kernarg_segment_align: 8
    .kernarg_segment_size: 20
    .language:       OpenCL C
    .language_version:
      - 2
      - 0
    .max_flat_workgroup_size: 256
    .name:           _Z9sort_keysILj256ELj64ELj8EhN10test_utils4lessEEvPKT2_PS2_T3_
    .private_segment_fixed_size: 0
    .sgpr_count:     14
    .sgpr_spill_count: 0
    .symbol:         _Z9sort_keysILj256ELj64ELj8EhN10test_utils4lessEEvPKT2_PS2_T3_.kd
    .uniform_work_group_size: 1
    .uses_dynamic_stack: false
    .vgpr_count:     26
    .vgpr_spill_count: 0
    .wavefront_size: 32
    .workgroup_processor_mode: 1
  - .args:
      - .address_space:  global
        .offset:         0
        .size:           8
        .value_kind:     global_buffer
      - .address_space:  global
        .offset:         8
        .size:           8
        .value_kind:     global_buffer
      - .offset:         16
        .size:           1
        .value_kind:     by_value
    .group_segment_fixed_size: 2052
    .kernarg_segment_align: 8
    .kernarg_segment_size: 20
    .language:       OpenCL C
    .language_version:
      - 2
      - 0
    .max_flat_workgroup_size: 256
    .name:           _Z10sort_pairsILj256ELj64ELj8EhN10test_utils4lessEEvPKT2_PS2_T3_
    .private_segment_fixed_size: 0
    .sgpr_count:     43
    .sgpr_spill_count: 0
    .symbol:         _Z10sort_pairsILj256ELj64ELj8EhN10test_utils4lessEEvPKT2_PS2_T3_.kd
    .uniform_work_group_size: 1
    .uses_dynamic_stack: false
    .vgpr_count:     46
    .vgpr_spill_count: 0
    .wavefront_size: 32
    .workgroup_processor_mode: 1
  - .args:
      - .address_space:  global
        .offset:         0
        .size:           8
        .value_kind:     global_buffer
      - .address_space:  global
        .offset:         8
        .size:           8
        .value_kind:     global_buffer
      - .address_space:  global
        .offset:         16
        .size:           8
        .value_kind:     global_buffer
      - .offset:         24
        .size:           1
        .value_kind:     by_value
    .group_segment_fixed_size: 2052
    .kernarg_segment_align: 8
    .kernarg_segment_size: 28
    .language:       OpenCL C
    .language_version:
      - 2
      - 0
    .max_flat_workgroup_size: 256
    .name:           _Z19sort_keys_segmentedILj256ELj64ELj8EhN10test_utils4lessEEvPKT2_PS2_PKjT3_
    .private_segment_fixed_size: 0
    .sgpr_count:     22
    .sgpr_spill_count: 0
    .symbol:         _Z19sort_keys_segmentedILj256ELj64ELj8EhN10test_utils4lessEEvPKT2_PS2_PKjT3_.kd
    .uniform_work_group_size: 1
    .uses_dynamic_stack: false
    .vgpr_count:     30
    .vgpr_spill_count: 0
    .wavefront_size: 32
    .workgroup_processor_mode: 1
  - .args:
      - .address_space:  global
        .offset:         0
        .size:           8
        .value_kind:     global_buffer
      - .address_space:  global
        .offset:         8
        .size:           8
        .value_kind:     global_buffer
      - .address_space:  global
        .offset:         16
        .size:           8
        .value_kind:     global_buffer
      - .offset:         24
        .size:           1
        .value_kind:     by_value
    .group_segment_fixed_size: 2052
    .kernarg_segment_align: 8
    .kernarg_segment_size: 28
    .language:       OpenCL C
    .language_version:
      - 2
      - 0
    .max_flat_workgroup_size: 256
    .name:           _Z20sort_pairs_segmentedILj256ELj64ELj8EhN10test_utils4lessEEvPKT2_PS2_PKjT3_
    .private_segment_fixed_size: 0
    .sgpr_count:     22
    .sgpr_spill_count: 0
    .symbol:         _Z20sort_pairs_segmentedILj256ELj64ELj8EhN10test_utils4lessEEvPKT2_PS2_PKjT3_.kd
    .uniform_work_group_size: 1
    .uses_dynamic_stack: false
    .vgpr_count:     49
    .vgpr_spill_count: 0
    .wavefront_size: 32
    .workgroup_processor_mode: 1
  - .args:
      - .address_space:  global
        .offset:         0
        .size:           8
        .value_kind:     global_buffer
      - .address_space:  global
        .offset:         8
        .size:           8
        .value_kind:     global_buffer
      - .offset:         16
        .size:           1
        .value_kind:     by_value
    .group_segment_fixed_size: 2560
    .kernarg_segment_align: 8
    .kernarg_segment_size: 20
    .language:       OpenCL C
    .language_version:
      - 2
      - 0
    .max_flat_workgroup_size: 256
    .name:           _Z9sort_keysILj256ELj4ELj1ExN10test_utils4lessEEvPKT2_PS2_T3_
    .private_segment_fixed_size: 0
    .sgpr_count:     10
    .sgpr_spill_count: 0
    .symbol:         _Z9sort_keysILj256ELj4ELj1ExN10test_utils4lessEEvPKT2_PS2_T3_.kd
    .uniform_work_group_size: 1
    .uses_dynamic_stack: false
    .vgpr_count:     16
    .vgpr_spill_count: 0
    .wavefront_size: 32
    .workgroup_processor_mode: 1
  - .args:
      - .address_space:  global
        .offset:         0
        .size:           8
        .value_kind:     global_buffer
      - .address_space:  global
        .offset:         8
        .size:           8
        .value_kind:     global_buffer
      - .offset:         16
        .size:           1
        .value_kind:     by_value
    .group_segment_fixed_size: 2560
    .kernarg_segment_align: 8
    .kernarg_segment_size: 20
    .language:       OpenCL C
    .language_version:
      - 2
      - 0
    .max_flat_workgroup_size: 256
    .name:           _Z10sort_pairsILj256ELj4ELj1ExN10test_utils4lessEEvPKT2_PS2_T3_
    .private_segment_fixed_size: 0
    .sgpr_count:     10
    .sgpr_spill_count: 0
    .symbol:         _Z10sort_pairsILj256ELj4ELj1ExN10test_utils4lessEEvPKT2_PS2_T3_.kd
    .uniform_work_group_size: 1
    .uses_dynamic_stack: false
    .vgpr_count:     18
    .vgpr_spill_count: 0
    .wavefront_size: 32
    .workgroup_processor_mode: 1
  - .args:
      - .address_space:  global
        .offset:         0
        .size:           8
        .value_kind:     global_buffer
      - .address_space:  global
        .offset:         8
        .size:           8
        .value_kind:     global_buffer
      - .address_space:  global
        .offset:         16
        .size:           8
        .value_kind:     global_buffer
      - .offset:         24
        .size:           1
        .value_kind:     by_value
    .group_segment_fixed_size: 2560
    .kernarg_segment_align: 8
    .kernarg_segment_size: 28
    .language:       OpenCL C
    .language_version:
      - 2
      - 0
    .max_flat_workgroup_size: 256
    .name:           _Z19sort_keys_segmentedILj256ELj4ELj1ExN10test_utils4lessEEvPKT2_PS2_PKjT3_
    .private_segment_fixed_size: 0
    .sgpr_count:     10
    .sgpr_spill_count: 0
    .symbol:         _Z19sort_keys_segmentedILj256ELj4ELj1ExN10test_utils4lessEEvPKT2_PS2_PKjT3_.kd
    .uniform_work_group_size: 1
    .uses_dynamic_stack: false
    .vgpr_count:     20
    .vgpr_spill_count: 0
    .wavefront_size: 32
    .workgroup_processor_mode: 1
  - .args:
      - .address_space:  global
        .offset:         0
        .size:           8
        .value_kind:     global_buffer
      - .address_space:  global
        .offset:         8
        .size:           8
        .value_kind:     global_buffer
      - .address_space:  global
        .offset:         16
        .size:           8
        .value_kind:     global_buffer
      - .offset:         24
        .size:           1
        .value_kind:     by_value
    .group_segment_fixed_size: 2560
    .kernarg_segment_align: 8
    .kernarg_segment_size: 28
    .language:       OpenCL C
    .language_version:
      - 2
      - 0
    .max_flat_workgroup_size: 256
    .name:           _Z20sort_pairs_segmentedILj256ELj4ELj1ExN10test_utils4lessEEvPKT2_PS2_PKjT3_
    .private_segment_fixed_size: 0
    .sgpr_count:     10
    .sgpr_spill_count: 0
    .symbol:         _Z20sort_pairs_segmentedILj256ELj4ELj1ExN10test_utils4lessEEvPKT2_PS2_PKjT3_.kd
    .uniform_work_group_size: 1
    .uses_dynamic_stack: false
    .vgpr_count:     22
    .vgpr_spill_count: 0
    .wavefront_size: 32
    .workgroup_processor_mode: 1
  - .args:
      - .address_space:  global
        .offset:         0
        .size:           8
        .value_kind:     global_buffer
      - .address_space:  global
        .offset:         8
        .size:           8
        .value_kind:     global_buffer
      - .offset:         16
        .size:           1
        .value_kind:     by_value
    .group_segment_fixed_size: 8704
    .kernarg_segment_align: 8
    .kernarg_segment_size: 20
    .language:       OpenCL C
    .language_version:
      - 2
      - 0
    .max_flat_workgroup_size: 256
    .name:           _Z9sort_keysILj256ELj4ELj4ExN10test_utils4lessEEvPKT2_PS2_T3_
    .private_segment_fixed_size: 0
    .sgpr_count:     14
    .sgpr_spill_count: 0
    .symbol:         _Z9sort_keysILj256ELj4ELj4ExN10test_utils4lessEEvPKT2_PS2_T3_.kd
    .uniform_work_group_size: 1
    .uses_dynamic_stack: false
    .vgpr_count:     30
    .vgpr_spill_count: 0
    .wavefront_size: 32
    .workgroup_processor_mode: 1
  - .args:
      - .address_space:  global
        .offset:         0
        .size:           8
        .value_kind:     global_buffer
      - .address_space:  global
        .offset:         8
        .size:           8
        .value_kind:     global_buffer
      - .offset:         16
        .size:           1
        .value_kind:     by_value
    .group_segment_fixed_size: 8704
    .kernarg_segment_align: 8
    .kernarg_segment_size: 20
    .language:       OpenCL C
    .language_version:
      - 2
      - 0
    .max_flat_workgroup_size: 256
    .name:           _Z10sort_pairsILj256ELj4ELj4ExN10test_utils4lessEEvPKT2_PS2_T3_
    .private_segment_fixed_size: 0
    .sgpr_count:     14
    .sgpr_spill_count: 0
    .symbol:         _Z10sort_pairsILj256ELj4ELj4ExN10test_utils4lessEEvPKT2_PS2_T3_.kd
    .uniform_work_group_size: 1
    .uses_dynamic_stack: false
    .vgpr_count:     41
    .vgpr_spill_count: 0
    .wavefront_size: 32
    .workgroup_processor_mode: 1
  - .args:
      - .address_space:  global
        .offset:         0
        .size:           8
        .value_kind:     global_buffer
      - .address_space:  global
        .offset:         8
        .size:           8
        .value_kind:     global_buffer
      - .address_space:  global
        .offset:         16
        .size:           8
        .value_kind:     global_buffer
      - .offset:         24
        .size:           1
        .value_kind:     by_value
    .group_segment_fixed_size: 8704
    .kernarg_segment_align: 8
    .kernarg_segment_size: 28
    .language:       OpenCL C
    .language_version:
      - 2
      - 0
    .max_flat_workgroup_size: 256
    .name:           _Z19sort_keys_segmentedILj256ELj4ELj4ExN10test_utils4lessEEvPKT2_PS2_PKjT3_
    .private_segment_fixed_size: 0
    .sgpr_count:     14
    .sgpr_spill_count: 0
    .symbol:         _Z19sort_keys_segmentedILj256ELj4ELj4ExN10test_utils4lessEEvPKT2_PS2_PKjT3_.kd
    .uniform_work_group_size: 1
    .uses_dynamic_stack: false
    .vgpr_count:     31
    .vgpr_spill_count: 0
    .wavefront_size: 32
    .workgroup_processor_mode: 1
  - .args:
      - .address_space:  global
        .offset:         0
        .size:           8
        .value_kind:     global_buffer
      - .address_space:  global
        .offset:         8
        .size:           8
        .value_kind:     global_buffer
      - .address_space:  global
        .offset:         16
        .size:           8
        .value_kind:     global_buffer
      - .offset:         24
        .size:           1
        .value_kind:     by_value
    .group_segment_fixed_size: 8704
    .kernarg_segment_align: 8
    .kernarg_segment_size: 28
    .language:       OpenCL C
    .language_version:
      - 2
      - 0
    .max_flat_workgroup_size: 256
    .name:           _Z20sort_pairs_segmentedILj256ELj4ELj4ExN10test_utils4lessEEvPKT2_PS2_PKjT3_
    .private_segment_fixed_size: 0
    .sgpr_count:     14
    .sgpr_spill_count: 0
    .symbol:         _Z20sort_pairs_segmentedILj256ELj4ELj4ExN10test_utils4lessEEvPKT2_PS2_PKjT3_.kd
    .uniform_work_group_size: 1
    .uses_dynamic_stack: false
    .vgpr_count:     42
    .vgpr_spill_count: 0
    .wavefront_size: 32
    .workgroup_processor_mode: 1
  - .args:
      - .address_space:  global
        .offset:         0
        .size:           8
        .value_kind:     global_buffer
      - .address_space:  global
        .offset:         8
        .size:           8
        .value_kind:     global_buffer
      - .offset:         16
        .size:           1
        .value_kind:     by_value
    .group_segment_fixed_size: 16896
    .kernarg_segment_align: 8
    .kernarg_segment_size: 20
    .language:       OpenCL C
    .language_version:
      - 2
      - 0
    .max_flat_workgroup_size: 256
    .name:           _Z9sort_keysILj256ELj4ELj8ExN10test_utils4lessEEvPKT2_PS2_T3_
    .private_segment_fixed_size: 0
    .sgpr_count:     16
    .sgpr_spill_count: 0
    .symbol:         _Z9sort_keysILj256ELj4ELj8ExN10test_utils4lessEEvPKT2_PS2_T3_.kd
    .uniform_work_group_size: 1
    .uses_dynamic_stack: false
    .vgpr_count:     42
    .vgpr_spill_count: 0
    .wavefront_size: 32
    .workgroup_processor_mode: 1
  - .args:
      - .address_space:  global
        .offset:         0
        .size:           8
        .value_kind:     global_buffer
      - .address_space:  global
        .offset:         8
        .size:           8
        .value_kind:     global_buffer
      - .offset:         16
        .size:           1
        .value_kind:     by_value
    .group_segment_fixed_size: 16896
    .kernarg_segment_align: 8
    .kernarg_segment_size: 20
    .language:       OpenCL C
    .language_version:
      - 2
      - 0
    .max_flat_workgroup_size: 256
    .name:           _Z10sort_pairsILj256ELj4ELj8ExN10test_utils4lessEEvPKT2_PS2_T3_
    .private_segment_fixed_size: 0
    .sgpr_count:     16
    .sgpr_spill_count: 0
    .symbol:         _Z10sort_pairsILj256ELj4ELj8ExN10test_utils4lessEEvPKT2_PS2_T3_.kd
    .uniform_work_group_size: 1
    .uses_dynamic_stack: false
    .vgpr_count:     70
    .vgpr_spill_count: 0
    .wavefront_size: 32
    .workgroup_processor_mode: 1
  - .args:
      - .address_space:  global
        .offset:         0
        .size:           8
        .value_kind:     global_buffer
      - .address_space:  global
        .offset:         8
        .size:           8
        .value_kind:     global_buffer
      - .address_space:  global
        .offset:         16
        .size:           8
        .value_kind:     global_buffer
      - .offset:         24
        .size:           1
        .value_kind:     by_value
    .group_segment_fixed_size: 16896
    .kernarg_segment_align: 8
    .kernarg_segment_size: 28
    .language:       OpenCL C
    .language_version:
      - 2
      - 0
    .max_flat_workgroup_size: 256
    .name:           _Z19sort_keys_segmentedILj256ELj4ELj8ExN10test_utils4lessEEvPKT2_PS2_PKjT3_
    .private_segment_fixed_size: 0
    .sgpr_count:     22
    .sgpr_spill_count: 0
    .symbol:         _Z19sort_keys_segmentedILj256ELj4ELj8ExN10test_utils4lessEEvPKT2_PS2_PKjT3_.kd
    .uniform_work_group_size: 1
    .uses_dynamic_stack: false
    .vgpr_count:     46
    .vgpr_spill_count: 0
    .wavefront_size: 32
    .workgroup_processor_mode: 1
  - .args:
      - .address_space:  global
        .offset:         0
        .size:           8
        .value_kind:     global_buffer
      - .address_space:  global
        .offset:         8
        .size:           8
        .value_kind:     global_buffer
      - .address_space:  global
        .offset:         16
        .size:           8
        .value_kind:     global_buffer
      - .offset:         24
        .size:           1
        .value_kind:     by_value
    .group_segment_fixed_size: 16896
    .kernarg_segment_align: 8
    .kernarg_segment_size: 28
    .language:       OpenCL C
    .language_version:
      - 2
      - 0
    .max_flat_workgroup_size: 256
    .name:           _Z20sort_pairs_segmentedILj256ELj4ELj8ExN10test_utils4lessEEvPKT2_PS2_PKjT3_
    .private_segment_fixed_size: 0
    .sgpr_count:     22
    .sgpr_spill_count: 0
    .symbol:         _Z20sort_pairs_segmentedILj256ELj4ELj8ExN10test_utils4lessEEvPKT2_PS2_PKjT3_.kd
    .uniform_work_group_size: 1
    .uses_dynamic_stack: false
    .vgpr_count:     73
    .vgpr_spill_count: 0
    .wavefront_size: 32
    .workgroup_processor_mode: 1
  - .args:
      - .address_space:  global
        .offset:         0
        .size:           8
        .value_kind:     global_buffer
      - .address_space:  global
        .offset:         8
        .size:           8
        .value_kind:     global_buffer
      - .offset:         16
        .size:           1
        .value_kind:     by_value
    .group_segment_fixed_size: 2176
    .kernarg_segment_align: 8
    .kernarg_segment_size: 20
    .language:       OpenCL C
    .language_version:
      - 2
      - 0
    .max_flat_workgroup_size: 256
    .name:           _Z9sort_keysILj256ELj16ELj1ExN10test_utils4lessEEvPKT2_PS2_T3_
    .private_segment_fixed_size: 0
    .sgpr_count:     10
    .sgpr_spill_count: 0
    .symbol:         _Z9sort_keysILj256ELj16ELj1ExN10test_utils4lessEEvPKT2_PS2_T3_.kd
    .uniform_work_group_size: 1
    .uses_dynamic_stack: false
    .vgpr_count:     17
    .vgpr_spill_count: 0
    .wavefront_size: 32
    .workgroup_processor_mode: 1
  - .args:
      - .address_space:  global
        .offset:         0
        .size:           8
        .value_kind:     global_buffer
      - .address_space:  global
        .offset:         8
        .size:           8
        .value_kind:     global_buffer
      - .offset:         16
        .size:           1
        .value_kind:     by_value
    .group_segment_fixed_size: 2176
    .kernarg_segment_align: 8
    .kernarg_segment_size: 20
    .language:       OpenCL C
    .language_version:
      - 2
      - 0
    .max_flat_workgroup_size: 256
    .name:           _Z10sort_pairsILj256ELj16ELj1ExN10test_utils4lessEEvPKT2_PS2_T3_
    .private_segment_fixed_size: 0
    .sgpr_count:     10
    .sgpr_spill_count: 0
    .symbol:         _Z10sort_pairsILj256ELj16ELj1ExN10test_utils4lessEEvPKT2_PS2_T3_.kd
    .uniform_work_group_size: 1
    .uses_dynamic_stack: false
    .vgpr_count:     19
    .vgpr_spill_count: 0
    .wavefront_size: 32
    .workgroup_processor_mode: 1
  - .args:
      - .address_space:  global
        .offset:         0
        .size:           8
        .value_kind:     global_buffer
      - .address_space:  global
        .offset:         8
        .size:           8
        .value_kind:     global_buffer
      - .address_space:  global
        .offset:         16
        .size:           8
        .value_kind:     global_buffer
      - .offset:         24
        .size:           1
        .value_kind:     by_value
    .group_segment_fixed_size: 2176
    .kernarg_segment_align: 8
    .kernarg_segment_size: 28
    .language:       OpenCL C
    .language_version:
      - 2
      - 0
    .max_flat_workgroup_size: 256
    .name:           _Z19sort_keys_segmentedILj256ELj16ELj1ExN10test_utils4lessEEvPKT2_PS2_PKjT3_
    .private_segment_fixed_size: 0
    .sgpr_count:     10
    .sgpr_spill_count: 0
    .symbol:         _Z19sort_keys_segmentedILj256ELj16ELj1ExN10test_utils4lessEEvPKT2_PS2_PKjT3_.kd
    .uniform_work_group_size: 1
    .uses_dynamic_stack: false
    .vgpr_count:     22
    .vgpr_spill_count: 0
    .wavefront_size: 32
    .workgroup_processor_mode: 1
  - .args:
      - .address_space:  global
        .offset:         0
        .size:           8
        .value_kind:     global_buffer
      - .address_space:  global
        .offset:         8
        .size:           8
        .value_kind:     global_buffer
      - .address_space:  global
        .offset:         16
        .size:           8
        .value_kind:     global_buffer
      - .offset:         24
        .size:           1
        .value_kind:     by_value
    .group_segment_fixed_size: 2176
    .kernarg_segment_align: 8
    .kernarg_segment_size: 28
    .language:       OpenCL C
    .language_version:
      - 2
      - 0
    .max_flat_workgroup_size: 256
    .name:           _Z20sort_pairs_segmentedILj256ELj16ELj1ExN10test_utils4lessEEvPKT2_PS2_PKjT3_
    .private_segment_fixed_size: 0
    .sgpr_count:     10
    .sgpr_spill_count: 0
    .symbol:         _Z20sort_pairs_segmentedILj256ELj16ELj1ExN10test_utils4lessEEvPKT2_PS2_PKjT3_.kd
    .uniform_work_group_size: 1
    .uses_dynamic_stack: false
    .vgpr_count:     23
    .vgpr_spill_count: 0
    .wavefront_size: 32
    .workgroup_processor_mode: 1
  - .args:
      - .address_space:  global
        .offset:         0
        .size:           8
        .value_kind:     global_buffer
      - .address_space:  global
        .offset:         8
        .size:           8
        .value_kind:     global_buffer
      - .offset:         16
        .size:           1
        .value_kind:     by_value
    .group_segment_fixed_size: 8320
    .kernarg_segment_align: 8
    .kernarg_segment_size: 20
    .language:       OpenCL C
    .language_version:
      - 2
      - 0
    .max_flat_workgroup_size: 256
    .name:           _Z9sort_keysILj256ELj16ELj4ExN10test_utils4lessEEvPKT2_PS2_T3_
    .private_segment_fixed_size: 0
    .sgpr_count:     14
    .sgpr_spill_count: 0
    .symbol:         _Z9sort_keysILj256ELj16ELj4ExN10test_utils4lessEEvPKT2_PS2_T3_.kd
    .uniform_work_group_size: 1
    .uses_dynamic_stack: false
    .vgpr_count:     31
    .vgpr_spill_count: 0
    .wavefront_size: 32
    .workgroup_processor_mode: 1
  - .args:
      - .address_space:  global
        .offset:         0
        .size:           8
        .value_kind:     global_buffer
      - .address_space:  global
        .offset:         8
        .size:           8
        .value_kind:     global_buffer
      - .offset:         16
        .size:           1
        .value_kind:     by_value
    .group_segment_fixed_size: 8320
    .kernarg_segment_align: 8
    .kernarg_segment_size: 20
    .language:       OpenCL C
    .language_version:
      - 2
      - 0
    .max_flat_workgroup_size: 256
    .name:           _Z10sort_pairsILj256ELj16ELj4ExN10test_utils4lessEEvPKT2_PS2_T3_
    .private_segment_fixed_size: 0
    .sgpr_count:     14
    .sgpr_spill_count: 0
    .symbol:         _Z10sort_pairsILj256ELj16ELj4ExN10test_utils4lessEEvPKT2_PS2_T3_.kd
    .uniform_work_group_size: 1
    .uses_dynamic_stack: false
    .vgpr_count:     42
    .vgpr_spill_count: 0
    .wavefront_size: 32
    .workgroup_processor_mode: 1
  - .args:
      - .address_space:  global
        .offset:         0
        .size:           8
        .value_kind:     global_buffer
      - .address_space:  global
        .offset:         8
        .size:           8
        .value_kind:     global_buffer
      - .address_space:  global
        .offset:         16
        .size:           8
        .value_kind:     global_buffer
      - .offset:         24
        .size:           1
        .value_kind:     by_value
    .group_segment_fixed_size: 8320
    .kernarg_segment_align: 8
    .kernarg_segment_size: 28
    .language:       OpenCL C
    .language_version:
      - 2
      - 0
    .max_flat_workgroup_size: 256
    .name:           _Z19sort_keys_segmentedILj256ELj16ELj4ExN10test_utils4lessEEvPKT2_PS2_PKjT3_
    .private_segment_fixed_size: 0
    .sgpr_count:     14
    .sgpr_spill_count: 0
    .symbol:         _Z19sort_keys_segmentedILj256ELj16ELj4ExN10test_utils4lessEEvPKT2_PS2_PKjT3_.kd
    .uniform_work_group_size: 1
    .uses_dynamic_stack: false
    .vgpr_count:     31
    .vgpr_spill_count: 0
    .wavefront_size: 32
    .workgroup_processor_mode: 1
  - .args:
      - .address_space:  global
        .offset:         0
        .size:           8
        .value_kind:     global_buffer
      - .address_space:  global
        .offset:         8
        .size:           8
        .value_kind:     global_buffer
      - .address_space:  global
        .offset:         16
        .size:           8
        .value_kind:     global_buffer
      - .offset:         24
        .size:           1
        .value_kind:     by_value
    .group_segment_fixed_size: 8320
    .kernarg_segment_align: 8
    .kernarg_segment_size: 28
    .language:       OpenCL C
    .language_version:
      - 2
      - 0
    .max_flat_workgroup_size: 256
    .name:           _Z20sort_pairs_segmentedILj256ELj16ELj4ExN10test_utils4lessEEvPKT2_PS2_PKjT3_
    .private_segment_fixed_size: 0
    .sgpr_count:     14
    .sgpr_spill_count: 0
    .symbol:         _Z20sort_pairs_segmentedILj256ELj16ELj4ExN10test_utils4lessEEvPKT2_PS2_PKjT3_.kd
    .uniform_work_group_size: 1
    .uses_dynamic_stack: false
    .vgpr_count:     45
    .vgpr_spill_count: 0
    .wavefront_size: 32
    .workgroup_processor_mode: 1
  - .args:
      - .address_space:  global
        .offset:         0
        .size:           8
        .value_kind:     global_buffer
      - .address_space:  global
        .offset:         8
        .size:           8
        .value_kind:     global_buffer
      - .offset:         16
        .size:           1
        .value_kind:     by_value
    .group_segment_fixed_size: 16512
    .kernarg_segment_align: 8
    .kernarg_segment_size: 20
    .language:       OpenCL C
    .language_version:
      - 2
      - 0
    .max_flat_workgroup_size: 256
    .name:           _Z9sort_keysILj256ELj16ELj8ExN10test_utils4lessEEvPKT2_PS2_T3_
    .private_segment_fixed_size: 0
    .sgpr_count:     16
    .sgpr_spill_count: 0
    .symbol:         _Z9sort_keysILj256ELj16ELj8ExN10test_utils4lessEEvPKT2_PS2_T3_.kd
    .uniform_work_group_size: 1
    .uses_dynamic_stack: false
    .vgpr_count:     43
    .vgpr_spill_count: 0
    .wavefront_size: 32
    .workgroup_processor_mode: 1
  - .args:
      - .address_space:  global
        .offset:         0
        .size:           8
        .value_kind:     global_buffer
      - .address_space:  global
        .offset:         8
        .size:           8
        .value_kind:     global_buffer
      - .offset:         16
        .size:           1
        .value_kind:     by_value
    .group_segment_fixed_size: 16512
    .kernarg_segment_align: 8
    .kernarg_segment_size: 20
    .language:       OpenCL C
    .language_version:
      - 2
      - 0
    .max_flat_workgroup_size: 256
    .name:           _Z10sort_pairsILj256ELj16ELj8ExN10test_utils4lessEEvPKT2_PS2_T3_
    .private_segment_fixed_size: 0
    .sgpr_count:     16
    .sgpr_spill_count: 0
    .symbol:         _Z10sort_pairsILj256ELj16ELj8ExN10test_utils4lessEEvPKT2_PS2_T3_.kd
    .uniform_work_group_size: 1
    .uses_dynamic_stack: false
    .vgpr_count:     71
    .vgpr_spill_count: 0
    .wavefront_size: 32
    .workgroup_processor_mode: 1
  - .args:
      - .address_space:  global
        .offset:         0
        .size:           8
        .value_kind:     global_buffer
      - .address_space:  global
        .offset:         8
        .size:           8
        .value_kind:     global_buffer
      - .address_space:  global
        .offset:         16
        .size:           8
        .value_kind:     global_buffer
      - .offset:         24
        .size:           1
        .value_kind:     by_value
    .group_segment_fixed_size: 16512
    .kernarg_segment_align: 8
    .kernarg_segment_size: 28
    .language:       OpenCL C
    .language_version:
      - 2
      - 0
    .max_flat_workgroup_size: 256
    .name:           _Z19sort_keys_segmentedILj256ELj16ELj8ExN10test_utils4lessEEvPKT2_PS2_PKjT3_
    .private_segment_fixed_size: 0
    .sgpr_count:     22
    .sgpr_spill_count: 0
    .symbol:         _Z19sort_keys_segmentedILj256ELj16ELj8ExN10test_utils4lessEEvPKT2_PS2_PKjT3_.kd
    .uniform_work_group_size: 1
    .uses_dynamic_stack: false
    .vgpr_count:     46
    .vgpr_spill_count: 0
    .wavefront_size: 32
    .workgroup_processor_mode: 1
  - .args:
      - .address_space:  global
        .offset:         0
        .size:           8
        .value_kind:     global_buffer
      - .address_space:  global
        .offset:         8
        .size:           8
        .value_kind:     global_buffer
      - .address_space:  global
        .offset:         16
        .size:           8
        .value_kind:     global_buffer
      - .offset:         24
        .size:           1
        .value_kind:     by_value
    .group_segment_fixed_size: 16512
    .kernarg_segment_align: 8
    .kernarg_segment_size: 28
    .language:       OpenCL C
    .language_version:
      - 2
      - 0
    .max_flat_workgroup_size: 256
    .name:           _Z20sort_pairs_segmentedILj256ELj16ELj8ExN10test_utils4lessEEvPKT2_PS2_PKjT3_
    .private_segment_fixed_size: 0
    .sgpr_count:     22
    .sgpr_spill_count: 0
    .symbol:         _Z20sort_pairs_segmentedILj256ELj16ELj8ExN10test_utils4lessEEvPKT2_PS2_PKjT3_.kd
    .uniform_work_group_size: 1
    .uses_dynamic_stack: false
    .vgpr_count:     74
    .vgpr_spill_count: 0
    .wavefront_size: 32
    .workgroup_processor_mode: 1
  - .args:
      - .address_space:  global
        .offset:         0
        .size:           8
        .value_kind:     global_buffer
      - .address_space:  global
        .offset:         8
        .size:           8
        .value_kind:     global_buffer
      - .offset:         16
        .size:           1
        .value_kind:     by_value
    .group_segment_fixed_size: 2112
    .kernarg_segment_align: 8
    .kernarg_segment_size: 20
    .language:       OpenCL C
    .language_version:
      - 2
      - 0
    .max_flat_workgroup_size: 256
    .name:           _Z9sort_keysILj256ELj32ELj1ExN10test_utils4lessEEvPKT2_PS2_T3_
    .private_segment_fixed_size: 0
    .sgpr_count:     10
    .sgpr_spill_count: 0
    .symbol:         _Z9sort_keysILj256ELj32ELj1ExN10test_utils4lessEEvPKT2_PS2_T3_.kd
    .uniform_work_group_size: 1
    .uses_dynamic_stack: false
    .vgpr_count:     16
    .vgpr_spill_count: 0
    .wavefront_size: 32
    .workgroup_processor_mode: 1
  - .args:
      - .address_space:  global
        .offset:         0
        .size:           8
        .value_kind:     global_buffer
      - .address_space:  global
        .offset:         8
        .size:           8
        .value_kind:     global_buffer
      - .offset:         16
        .size:           1
        .value_kind:     by_value
    .group_segment_fixed_size: 2112
    .kernarg_segment_align: 8
    .kernarg_segment_size: 20
    .language:       OpenCL C
    .language_version:
      - 2
      - 0
    .max_flat_workgroup_size: 256
    .name:           _Z10sort_pairsILj256ELj32ELj1ExN10test_utils4lessEEvPKT2_PS2_T3_
    .private_segment_fixed_size: 0
    .sgpr_count:     10
    .sgpr_spill_count: 0
    .symbol:         _Z10sort_pairsILj256ELj32ELj1ExN10test_utils4lessEEvPKT2_PS2_T3_.kd
    .uniform_work_group_size: 1
    .uses_dynamic_stack: false
    .vgpr_count:     18
    .vgpr_spill_count: 0
    .wavefront_size: 32
    .workgroup_processor_mode: 1
  - .args:
      - .address_space:  global
        .offset:         0
        .size:           8
        .value_kind:     global_buffer
      - .address_space:  global
        .offset:         8
        .size:           8
        .value_kind:     global_buffer
      - .address_space:  global
        .offset:         16
        .size:           8
        .value_kind:     global_buffer
      - .offset:         24
        .size:           1
        .value_kind:     by_value
    .group_segment_fixed_size: 2112
    .kernarg_segment_align: 8
    .kernarg_segment_size: 28
    .language:       OpenCL C
    .language_version:
      - 2
      - 0
    .max_flat_workgroup_size: 256
    .name:           _Z19sort_keys_segmentedILj256ELj32ELj1ExN10test_utils4lessEEvPKT2_PS2_PKjT3_
    .private_segment_fixed_size: 0
    .sgpr_count:     10
    .sgpr_spill_count: 0
    .symbol:         _Z19sort_keys_segmentedILj256ELj32ELj1ExN10test_utils4lessEEvPKT2_PS2_PKjT3_.kd
    .uniform_work_group_size: 1
    .uses_dynamic_stack: false
    .vgpr_count:     21
    .vgpr_spill_count: 0
    .wavefront_size: 32
    .workgroup_processor_mode: 1
  - .args:
      - .address_space:  global
        .offset:         0
        .size:           8
        .value_kind:     global_buffer
      - .address_space:  global
        .offset:         8
        .size:           8
        .value_kind:     global_buffer
      - .address_space:  global
        .offset:         16
        .size:           8
        .value_kind:     global_buffer
      - .offset:         24
        .size:           1
        .value_kind:     by_value
    .group_segment_fixed_size: 2112
    .kernarg_segment_align: 8
    .kernarg_segment_size: 28
    .language:       OpenCL C
    .language_version:
      - 2
      - 0
    .max_flat_workgroup_size: 256
    .name:           _Z20sort_pairs_segmentedILj256ELj32ELj1ExN10test_utils4lessEEvPKT2_PS2_PKjT3_
    .private_segment_fixed_size: 0
    .sgpr_count:     10
    .sgpr_spill_count: 0
    .symbol:         _Z20sort_pairs_segmentedILj256ELj32ELj1ExN10test_utils4lessEEvPKT2_PS2_PKjT3_.kd
    .uniform_work_group_size: 1
    .uses_dynamic_stack: false
    .vgpr_count:     22
    .vgpr_spill_count: 0
    .wavefront_size: 32
    .workgroup_processor_mode: 1
  - .args:
      - .address_space:  global
        .offset:         0
        .size:           8
        .value_kind:     global_buffer
      - .address_space:  global
        .offset:         8
        .size:           8
        .value_kind:     global_buffer
      - .offset:         16
        .size:           1
        .value_kind:     by_value
    .group_segment_fixed_size: 8256
    .kernarg_segment_align: 8
    .kernarg_segment_size: 20
    .language:       OpenCL C
    .language_version:
      - 2
      - 0
    .max_flat_workgroup_size: 256
    .name:           _Z9sort_keysILj256ELj32ELj4ExN10test_utils4lessEEvPKT2_PS2_T3_
    .private_segment_fixed_size: 0
    .sgpr_count:     14
    .sgpr_spill_count: 0
    .symbol:         _Z9sort_keysILj256ELj32ELj4ExN10test_utils4lessEEvPKT2_PS2_T3_.kd
    .uniform_work_group_size: 1
    .uses_dynamic_stack: false
    .vgpr_count:     30
    .vgpr_spill_count: 0
    .wavefront_size: 32
    .workgroup_processor_mode: 1
  - .args:
      - .address_space:  global
        .offset:         0
        .size:           8
        .value_kind:     global_buffer
      - .address_space:  global
        .offset:         8
        .size:           8
        .value_kind:     global_buffer
      - .offset:         16
        .size:           1
        .value_kind:     by_value
    .group_segment_fixed_size: 8256
    .kernarg_segment_align: 8
    .kernarg_segment_size: 20
    .language:       OpenCL C
    .language_version:
      - 2
      - 0
    .max_flat_workgroup_size: 256
    .name:           _Z10sort_pairsILj256ELj32ELj4ExN10test_utils4lessEEvPKT2_PS2_T3_
    .private_segment_fixed_size: 0
    .sgpr_count:     14
    .sgpr_spill_count: 0
    .symbol:         _Z10sort_pairsILj256ELj32ELj4ExN10test_utils4lessEEvPKT2_PS2_T3_.kd
    .uniform_work_group_size: 1
    .uses_dynamic_stack: false
    .vgpr_count:     41
    .vgpr_spill_count: 0
    .wavefront_size: 32
    .workgroup_processor_mode: 1
  - .args:
      - .address_space:  global
        .offset:         0
        .size:           8
        .value_kind:     global_buffer
      - .address_space:  global
        .offset:         8
        .size:           8
        .value_kind:     global_buffer
      - .address_space:  global
        .offset:         16
        .size:           8
        .value_kind:     global_buffer
      - .offset:         24
        .size:           1
        .value_kind:     by_value
    .group_segment_fixed_size: 8256
    .kernarg_segment_align: 8
    .kernarg_segment_size: 28
    .language:       OpenCL C
    .language_version:
      - 2
      - 0
    .max_flat_workgroup_size: 256
    .name:           _Z19sort_keys_segmentedILj256ELj32ELj4ExN10test_utils4lessEEvPKT2_PS2_PKjT3_
    .private_segment_fixed_size: 0
    .sgpr_count:     14
    .sgpr_spill_count: 0
    .symbol:         _Z19sort_keys_segmentedILj256ELj32ELj4ExN10test_utils4lessEEvPKT2_PS2_PKjT3_.kd
    .uniform_work_group_size: 1
    .uses_dynamic_stack: false
    .vgpr_count:     31
    .vgpr_spill_count: 0
    .wavefront_size: 32
    .workgroup_processor_mode: 1
  - .args:
      - .address_space:  global
        .offset:         0
        .size:           8
        .value_kind:     global_buffer
      - .address_space:  global
        .offset:         8
        .size:           8
        .value_kind:     global_buffer
      - .address_space:  global
        .offset:         16
        .size:           8
        .value_kind:     global_buffer
      - .offset:         24
        .size:           1
        .value_kind:     by_value
    .group_segment_fixed_size: 8256
    .kernarg_segment_align: 8
    .kernarg_segment_size: 28
    .language:       OpenCL C
    .language_version:
      - 2
      - 0
    .max_flat_workgroup_size: 256
    .name:           _Z20sort_pairs_segmentedILj256ELj32ELj4ExN10test_utils4lessEEvPKT2_PS2_PKjT3_
    .private_segment_fixed_size: 0
    .sgpr_count:     14
    .sgpr_spill_count: 0
    .symbol:         _Z20sort_pairs_segmentedILj256ELj32ELj4ExN10test_utils4lessEEvPKT2_PS2_PKjT3_.kd
    .uniform_work_group_size: 1
    .uses_dynamic_stack: false
    .vgpr_count:     44
    .vgpr_spill_count: 0
    .wavefront_size: 32
    .workgroup_processor_mode: 1
  - .args:
      - .address_space:  global
        .offset:         0
        .size:           8
        .value_kind:     global_buffer
      - .address_space:  global
        .offset:         8
        .size:           8
        .value_kind:     global_buffer
      - .offset:         16
        .size:           1
        .value_kind:     by_value
    .group_segment_fixed_size: 16448
    .kernarg_segment_align: 8
    .kernarg_segment_size: 20
    .language:       OpenCL C
    .language_version:
      - 2
      - 0
    .max_flat_workgroup_size: 256
    .name:           _Z9sort_keysILj256ELj32ELj8ExN10test_utils4lessEEvPKT2_PS2_T3_
    .private_segment_fixed_size: 0
    .sgpr_count:     16
    .sgpr_spill_count: 0
    .symbol:         _Z9sort_keysILj256ELj32ELj8ExN10test_utils4lessEEvPKT2_PS2_T3_.kd
    .uniform_work_group_size: 1
    .uses_dynamic_stack: false
    .vgpr_count:     42
    .vgpr_spill_count: 0
    .wavefront_size: 32
    .workgroup_processor_mode: 1
  - .args:
      - .address_space:  global
        .offset:         0
        .size:           8
        .value_kind:     global_buffer
      - .address_space:  global
        .offset:         8
        .size:           8
        .value_kind:     global_buffer
      - .offset:         16
        .size:           1
        .value_kind:     by_value
    .group_segment_fixed_size: 16448
    .kernarg_segment_align: 8
    .kernarg_segment_size: 20
    .language:       OpenCL C
    .language_version:
      - 2
      - 0
    .max_flat_workgroup_size: 256
    .name:           _Z10sort_pairsILj256ELj32ELj8ExN10test_utils4lessEEvPKT2_PS2_T3_
    .private_segment_fixed_size: 0
    .sgpr_count:     16
    .sgpr_spill_count: 0
    .symbol:         _Z10sort_pairsILj256ELj32ELj8ExN10test_utils4lessEEvPKT2_PS2_T3_.kd
    .uniform_work_group_size: 1
    .uses_dynamic_stack: false
    .vgpr_count:     70
    .vgpr_spill_count: 0
    .wavefront_size: 32
    .workgroup_processor_mode: 1
  - .args:
      - .address_space:  global
        .offset:         0
        .size:           8
        .value_kind:     global_buffer
      - .address_space:  global
        .offset:         8
        .size:           8
        .value_kind:     global_buffer
      - .address_space:  global
        .offset:         16
        .size:           8
        .value_kind:     global_buffer
      - .offset:         24
        .size:           1
        .value_kind:     by_value
    .group_segment_fixed_size: 16448
    .kernarg_segment_align: 8
    .kernarg_segment_size: 28
    .language:       OpenCL C
    .language_version:
      - 2
      - 0
    .max_flat_workgroup_size: 256
    .name:           _Z19sort_keys_segmentedILj256ELj32ELj8ExN10test_utils4lessEEvPKT2_PS2_PKjT3_
    .private_segment_fixed_size: 0
    .sgpr_count:     22
    .sgpr_spill_count: 0
    .symbol:         _Z19sort_keys_segmentedILj256ELj32ELj8ExN10test_utils4lessEEvPKT2_PS2_PKjT3_.kd
    .uniform_work_group_size: 1
    .uses_dynamic_stack: false
    .vgpr_count:     46
    .vgpr_spill_count: 0
    .wavefront_size: 32
    .workgroup_processor_mode: 1
  - .args:
      - .address_space:  global
        .offset:         0
        .size:           8
        .value_kind:     global_buffer
      - .address_space:  global
        .offset:         8
        .size:           8
        .value_kind:     global_buffer
      - .address_space:  global
        .offset:         16
        .size:           8
        .value_kind:     global_buffer
      - .offset:         24
        .size:           1
        .value_kind:     by_value
    .group_segment_fixed_size: 16448
    .kernarg_segment_align: 8
    .kernarg_segment_size: 28
    .language:       OpenCL C
    .language_version:
      - 2
      - 0
    .max_flat_workgroup_size: 256
    .name:           _Z20sort_pairs_segmentedILj256ELj32ELj8ExN10test_utils4lessEEvPKT2_PS2_PKjT3_
    .private_segment_fixed_size: 0
    .sgpr_count:     22
    .sgpr_spill_count: 0
    .symbol:         _Z20sort_pairs_segmentedILj256ELj32ELj8ExN10test_utils4lessEEvPKT2_PS2_PKjT3_.kd
    .uniform_work_group_size: 1
    .uses_dynamic_stack: false
    .vgpr_count:     73
    .vgpr_spill_count: 0
    .wavefront_size: 32
    .workgroup_processor_mode: 1
  - .args:
      - .address_space:  global
        .offset:         0
        .size:           8
        .value_kind:     global_buffer
      - .address_space:  global
        .offset:         8
        .size:           8
        .value_kind:     global_buffer
      - .offset:         16
        .size:           1
        .value_kind:     by_value
    .group_segment_fixed_size: 2080
    .kernarg_segment_align: 8
    .kernarg_segment_size: 20
    .language:       OpenCL C
    .language_version:
      - 2
      - 0
    .max_flat_workgroup_size: 256
    .name:           _Z9sort_keysILj256ELj64ELj1ExN10test_utils4lessEEvPKT2_PS2_T3_
    .private_segment_fixed_size: 0
    .sgpr_count:     10
    .sgpr_spill_count: 0
    .symbol:         _Z9sort_keysILj256ELj64ELj1ExN10test_utils4lessEEvPKT2_PS2_T3_.kd
    .uniform_work_group_size: 1
    .uses_dynamic_stack: false
    .vgpr_count:     19
    .vgpr_spill_count: 0
    .wavefront_size: 32
    .workgroup_processor_mode: 1
  - .args:
      - .address_space:  global
        .offset:         0
        .size:           8
        .value_kind:     global_buffer
      - .address_space:  global
        .offset:         8
        .size:           8
        .value_kind:     global_buffer
      - .offset:         16
        .size:           1
        .value_kind:     by_value
    .group_segment_fixed_size: 2080
    .kernarg_segment_align: 8
    .kernarg_segment_size: 20
    .language:       OpenCL C
    .language_version:
      - 2
      - 0
    .max_flat_workgroup_size: 256
    .name:           _Z10sort_pairsILj256ELj64ELj1ExN10test_utils4lessEEvPKT2_PS2_T3_
    .private_segment_fixed_size: 0
    .sgpr_count:     14
    .sgpr_spill_count: 0
    .symbol:         _Z10sort_pairsILj256ELj64ELj1ExN10test_utils4lessEEvPKT2_PS2_T3_.kd
    .uniform_work_group_size: 1
    .uses_dynamic_stack: false
    .vgpr_count:     20
    .vgpr_spill_count: 0
    .wavefront_size: 32
    .workgroup_processor_mode: 1
  - .args:
      - .address_space:  global
        .offset:         0
        .size:           8
        .value_kind:     global_buffer
      - .address_space:  global
        .offset:         8
        .size:           8
        .value_kind:     global_buffer
      - .address_space:  global
        .offset:         16
        .size:           8
        .value_kind:     global_buffer
      - .offset:         24
        .size:           1
        .value_kind:     by_value
    .group_segment_fixed_size: 2080
    .kernarg_segment_align: 8
    .kernarg_segment_size: 28
    .language:       OpenCL C
    .language_version:
      - 2
      - 0
    .max_flat_workgroup_size: 256
    .name:           _Z19sort_keys_segmentedILj256ELj64ELj1ExN10test_utils4lessEEvPKT2_PS2_PKjT3_
    .private_segment_fixed_size: 0
    .sgpr_count:     10
    .sgpr_spill_count: 0
    .symbol:         _Z19sort_keys_segmentedILj256ELj64ELj1ExN10test_utils4lessEEvPKT2_PS2_PKjT3_.kd
    .uniform_work_group_size: 1
    .uses_dynamic_stack: false
    .vgpr_count:     21
    .vgpr_spill_count: 0
    .wavefront_size: 32
    .workgroup_processor_mode: 1
  - .args:
      - .address_space:  global
        .offset:         0
        .size:           8
        .value_kind:     global_buffer
      - .address_space:  global
        .offset:         8
        .size:           8
        .value_kind:     global_buffer
      - .address_space:  global
        .offset:         16
        .size:           8
        .value_kind:     global_buffer
      - .offset:         24
        .size:           1
        .value_kind:     by_value
    .group_segment_fixed_size: 2080
    .kernarg_segment_align: 8
    .kernarg_segment_size: 28
    .language:       OpenCL C
    .language_version:
      - 2
      - 0
    .max_flat_workgroup_size: 256
    .name:           _Z20sort_pairs_segmentedILj256ELj64ELj1ExN10test_utils4lessEEvPKT2_PS2_PKjT3_
    .private_segment_fixed_size: 0
    .sgpr_count:     10
    .sgpr_spill_count: 0
    .symbol:         _Z20sort_pairs_segmentedILj256ELj64ELj1ExN10test_utils4lessEEvPKT2_PS2_PKjT3_.kd
    .uniform_work_group_size: 1
    .uses_dynamic_stack: false
    .vgpr_count:     22
    .vgpr_spill_count: 0
    .wavefront_size: 32
    .workgroup_processor_mode: 1
  - .args:
      - .address_space:  global
        .offset:         0
        .size:           8
        .value_kind:     global_buffer
      - .address_space:  global
        .offset:         8
        .size:           8
        .value_kind:     global_buffer
      - .offset:         16
        .size:           1
        .value_kind:     by_value
    .group_segment_fixed_size: 8224
    .kernarg_segment_align: 8
    .kernarg_segment_size: 20
    .language:       OpenCL C
    .language_version:
      - 2
      - 0
    .max_flat_workgroup_size: 256
    .name:           _Z9sort_keysILj256ELj64ELj4ExN10test_utils4lessEEvPKT2_PS2_T3_
    .private_segment_fixed_size: 0
    .sgpr_count:     14
    .sgpr_spill_count: 0
    .symbol:         _Z9sort_keysILj256ELj64ELj4ExN10test_utils4lessEEvPKT2_PS2_T3_.kd
    .uniform_work_group_size: 1
    .uses_dynamic_stack: false
    .vgpr_count:     32
    .vgpr_spill_count: 0
    .wavefront_size: 32
    .workgroup_processor_mode: 1
  - .args:
      - .address_space:  global
        .offset:         0
        .size:           8
        .value_kind:     global_buffer
      - .address_space:  global
        .offset:         8
        .size:           8
        .value_kind:     global_buffer
      - .offset:         16
        .size:           1
        .value_kind:     by_value
    .group_segment_fixed_size: 8224
    .kernarg_segment_align: 8
    .kernarg_segment_size: 20
    .language:       OpenCL C
    .language_version:
      - 2
      - 0
    .max_flat_workgroup_size: 256
    .name:           _Z10sort_pairsILj256ELj64ELj4ExN10test_utils4lessEEvPKT2_PS2_T3_
    .private_segment_fixed_size: 0
    .sgpr_count:     14
    .sgpr_spill_count: 0
    .symbol:         _Z10sort_pairsILj256ELj64ELj4ExN10test_utils4lessEEvPKT2_PS2_T3_.kd
    .uniform_work_group_size: 1
    .uses_dynamic_stack: false
    .vgpr_count:     41
    .vgpr_spill_count: 0
    .wavefront_size: 32
    .workgroup_processor_mode: 1
  - .args:
      - .address_space:  global
        .offset:         0
        .size:           8
        .value_kind:     global_buffer
      - .address_space:  global
        .offset:         8
        .size:           8
        .value_kind:     global_buffer
      - .address_space:  global
        .offset:         16
        .size:           8
        .value_kind:     global_buffer
      - .offset:         24
        .size:           1
        .value_kind:     by_value
    .group_segment_fixed_size: 8224
    .kernarg_segment_align: 8
    .kernarg_segment_size: 28
    .language:       OpenCL C
    .language_version:
      - 2
      - 0
    .max_flat_workgroup_size: 256
    .name:           _Z19sort_keys_segmentedILj256ELj64ELj4ExN10test_utils4lessEEvPKT2_PS2_PKjT3_
    .private_segment_fixed_size: 0
    .sgpr_count:     14
    .sgpr_spill_count: 0
    .symbol:         _Z19sort_keys_segmentedILj256ELj64ELj4ExN10test_utils4lessEEvPKT2_PS2_PKjT3_.kd
    .uniform_work_group_size: 1
    .uses_dynamic_stack: false
    .vgpr_count:     31
    .vgpr_spill_count: 0
    .wavefront_size: 32
    .workgroup_processor_mode: 1
  - .args:
      - .address_space:  global
        .offset:         0
        .size:           8
        .value_kind:     global_buffer
      - .address_space:  global
        .offset:         8
        .size:           8
        .value_kind:     global_buffer
      - .address_space:  global
        .offset:         16
        .size:           8
        .value_kind:     global_buffer
      - .offset:         24
        .size:           1
        .value_kind:     by_value
    .group_segment_fixed_size: 8224
    .kernarg_segment_align: 8
    .kernarg_segment_size: 28
    .language:       OpenCL C
    .language_version:
      - 2
      - 0
    .max_flat_workgroup_size: 256
    .name:           _Z20sort_pairs_segmentedILj256ELj64ELj4ExN10test_utils4lessEEvPKT2_PS2_PKjT3_
    .private_segment_fixed_size: 0
    .sgpr_count:     14
    .sgpr_spill_count: 0
    .symbol:         _Z20sort_pairs_segmentedILj256ELj64ELj4ExN10test_utils4lessEEvPKT2_PS2_PKjT3_.kd
    .uniform_work_group_size: 1
    .uses_dynamic_stack: false
    .vgpr_count:     44
    .vgpr_spill_count: 0
    .wavefront_size: 32
    .workgroup_processor_mode: 1
  - .args:
      - .address_space:  global
        .offset:         0
        .size:           8
        .value_kind:     global_buffer
      - .address_space:  global
        .offset:         8
        .size:           8
        .value_kind:     global_buffer
      - .offset:         16
        .size:           1
        .value_kind:     by_value
    .group_segment_fixed_size: 16416
    .kernarg_segment_align: 8
    .kernarg_segment_size: 20
    .language:       OpenCL C
    .language_version:
      - 2
      - 0
    .max_flat_workgroup_size: 256
    .name:           _Z9sort_keysILj256ELj64ELj8ExN10test_utils4lessEEvPKT2_PS2_T3_
    .private_segment_fixed_size: 0
    .sgpr_count:     16
    .sgpr_spill_count: 0
    .symbol:         _Z9sort_keysILj256ELj64ELj8ExN10test_utils4lessEEvPKT2_PS2_T3_.kd
    .uniform_work_group_size: 1
    .uses_dynamic_stack: false
    .vgpr_count:     42
    .vgpr_spill_count: 0
    .wavefront_size: 32
    .workgroup_processor_mode: 1
  - .args:
      - .address_space:  global
        .offset:         0
        .size:           8
        .value_kind:     global_buffer
      - .address_space:  global
        .offset:         8
        .size:           8
        .value_kind:     global_buffer
      - .offset:         16
        .size:           1
        .value_kind:     by_value
    .group_segment_fixed_size: 16416
    .kernarg_segment_align: 8
    .kernarg_segment_size: 20
    .language:       OpenCL C
    .language_version:
      - 2
      - 0
    .max_flat_workgroup_size: 256
    .name:           _Z10sort_pairsILj256ELj64ELj8ExN10test_utils4lessEEvPKT2_PS2_T3_
    .private_segment_fixed_size: 0
    .sgpr_count:     16
    .sgpr_spill_count: 0
    .symbol:         _Z10sort_pairsILj256ELj64ELj8ExN10test_utils4lessEEvPKT2_PS2_T3_.kd
    .uniform_work_group_size: 1
    .uses_dynamic_stack: false
    .vgpr_count:     70
    .vgpr_spill_count: 0
    .wavefront_size: 32
    .workgroup_processor_mode: 1
  - .args:
      - .address_space:  global
        .offset:         0
        .size:           8
        .value_kind:     global_buffer
      - .address_space:  global
        .offset:         8
        .size:           8
        .value_kind:     global_buffer
      - .address_space:  global
        .offset:         16
        .size:           8
        .value_kind:     global_buffer
      - .offset:         24
        .size:           1
        .value_kind:     by_value
    .group_segment_fixed_size: 16416
    .kernarg_segment_align: 8
    .kernarg_segment_size: 28
    .language:       OpenCL C
    .language_version:
      - 2
      - 0
    .max_flat_workgroup_size: 256
    .name:           _Z19sort_keys_segmentedILj256ELj64ELj8ExN10test_utils4lessEEvPKT2_PS2_PKjT3_
    .private_segment_fixed_size: 0
    .sgpr_count:     22
    .sgpr_spill_count: 0
    .symbol:         _Z19sort_keys_segmentedILj256ELj64ELj8ExN10test_utils4lessEEvPKT2_PS2_PKjT3_.kd
    .uniform_work_group_size: 1
    .uses_dynamic_stack: false
    .vgpr_count:     47
    .vgpr_spill_count: 0
    .wavefront_size: 32
    .workgroup_processor_mode: 1
  - .args:
      - .address_space:  global
        .offset:         0
        .size:           8
        .value_kind:     global_buffer
      - .address_space:  global
        .offset:         8
        .size:           8
        .value_kind:     global_buffer
      - .address_space:  global
        .offset:         16
        .size:           8
        .value_kind:     global_buffer
      - .offset:         24
        .size:           1
        .value_kind:     by_value
    .group_segment_fixed_size: 16416
    .kernarg_segment_align: 8
    .kernarg_segment_size: 28
    .language:       OpenCL C
    .language_version:
      - 2
      - 0
    .max_flat_workgroup_size: 256
    .name:           _Z20sort_pairs_segmentedILj256ELj64ELj8ExN10test_utils4lessEEvPKT2_PS2_PKjT3_
    .private_segment_fixed_size: 0
    .sgpr_count:     22
    .sgpr_spill_count: 0
    .symbol:         _Z20sort_pairs_segmentedILj256ELj64ELj8ExN10test_utils4lessEEvPKT2_PS2_PKjT3_.kd
    .uniform_work_group_size: 1
    .uses_dynamic_stack: false
    .vgpr_count:     75
    .vgpr_spill_count: 0
    .wavefront_size: 32
    .workgroup_processor_mode: 1
amdhsa.target:   amdgcn-amd-amdhsa--gfx1030
amdhsa.version:
  - 1
  - 2
...

	.end_amdgpu_metadata
